;; amdgpu-corpus repo=ROCm/rocSPARSE kind=compiled arch=gfx1030 opt=O3
	.amdgcn_target "amdgcn-amd-amdhsa--gfx1030"
	.amdhsa_code_object_version 6
	.section	.text._ZN9rocsparseL19gebsrmvn_2xn_kernelILj128ELj1ELj4EfEEvi20rocsparse_direction_NS_24const_host_device_scalarIT2_EEPKiS6_PKS3_S8_S4_PS3_21rocsparse_index_base_b,"axG",@progbits,_ZN9rocsparseL19gebsrmvn_2xn_kernelILj128ELj1ELj4EfEEvi20rocsparse_direction_NS_24const_host_device_scalarIT2_EEPKiS6_PKS3_S8_S4_PS3_21rocsparse_index_base_b,comdat
	.globl	_ZN9rocsparseL19gebsrmvn_2xn_kernelILj128ELj1ELj4EfEEvi20rocsparse_direction_NS_24const_host_device_scalarIT2_EEPKiS6_PKS3_S8_S4_PS3_21rocsparse_index_base_b ; -- Begin function _ZN9rocsparseL19gebsrmvn_2xn_kernelILj128ELj1ELj4EfEEvi20rocsparse_direction_NS_24const_host_device_scalarIT2_EEPKiS6_PKS3_S8_S4_PS3_21rocsparse_index_base_b
	.p2align	8
	.type	_ZN9rocsparseL19gebsrmvn_2xn_kernelILj128ELj1ELj4EfEEvi20rocsparse_direction_NS_24const_host_device_scalarIT2_EEPKiS6_PKS3_S8_S4_PS3_21rocsparse_index_base_b,@function
_ZN9rocsparseL19gebsrmvn_2xn_kernelILj128ELj1ELj4EfEEvi20rocsparse_direction_NS_24const_host_device_scalarIT2_EEPKiS6_PKS3_S8_S4_PS3_21rocsparse_index_base_b: ; @_ZN9rocsparseL19gebsrmvn_2xn_kernelILj128ELj1ELj4EfEEvi20rocsparse_direction_NS_24const_host_device_scalarIT2_EEPKiS6_PKS3_S8_S4_PS3_21rocsparse_index_base_b
; %bb.0:
	s_clause 0x2
	s_load_dwordx2 s[18:19], s[4:5], 0x40
	s_load_dwordx2 s[16:17], s[4:5], 0x8
	;; [unrolled: 1-line block ×3, first 2 shown]
	s_waitcnt lgkmcnt(0)
	s_bitcmp1_b32 s19, 0
	s_cselect_b32 s0, -1, 0
	s_and_b32 vcc_lo, exec_lo, s0
	s_xor_b32 s0, s0, -1
	s_cbranch_vccnz .LBB0_2
; %bb.1:
	s_load_dword s16, s[16:17], 0x0
.LBB0_2:
	s_andn2_b32 vcc_lo, exec_lo, s0
	s_cbranch_vccnz .LBB0_4
; %bb.3:
	s_load_dword s2, s[2:3], 0x0
.LBB0_4:
	s_waitcnt lgkmcnt(0)
	v_cmp_eq_f32_e64 s0, s16, 0
	v_cmp_eq_f32_e64 s1, s2, 1.0
	s_and_b32 s0, s0, s1
	s_and_b32 vcc_lo, exec_lo, s0
	s_cbranch_vccnz .LBB0_23
; %bb.5:
	s_load_dwordx2 s[0:1], s[4:5], 0x0
	v_lshrrev_b32_e32 v1, 2, v0
	v_lshl_or_b32 v1, s6, 5, v1
	s_waitcnt lgkmcnt(0)
	v_cmp_gt_i32_e32 vcc_lo, s0, v1
	s_and_saveexec_b32 s0, vcc_lo
	s_cbranch_execz .LBB0_23
; %bb.6:
	s_load_dwordx8 s[8:15], s[4:5], 0x10
	v_ashrrev_i32_e32 v2, 31, v1
	v_and_b32_e32 v0, 3, v0
	s_cmp_lg_u32 s1, 0
	v_lshlrev_b64 v[2:3], 2, v[1:2]
	s_waitcnt lgkmcnt(0)
	v_add_co_u32 v2, vcc_lo, s8, v2
	v_add_co_ci_u32_e64 v3, null, s9, v3, vcc_lo
	global_load_dwordx2 v[2:3], v[2:3], off
	s_waitcnt vmcnt(0)
	v_subrev_nc_u32_e32 v2, s18, v2
	v_subrev_nc_u32_e32 v9, s18, v3
	v_add_nc_u32_e32 v2, v2, v0
	v_cmp_lt_i32_e64 s0, v2, v9
	s_cbranch_scc0 .LBB0_12
; %bb.7:
	v_mov_b32_e32 v7, 0
	v_mov_b32_e32 v8, 0
	s_and_saveexec_b32 s1, s0
	s_cbranch_execz .LBB0_11
; %bb.8:
	v_mov_b32_e32 v4, 0
	v_lshlrev_b32_e32 v3, 1, v2
	v_mov_b32_e32 v5, v2
	s_mov_b32 s3, 0
	v_mov_b32_e32 v7, v4
	v_mov_b32_e32 v8, v4
	s_inst_prefetch 0x1
	.p2align	6
.LBB0_9:                                ; =>This Inner Loop Header: Depth=1
	v_ashrrev_i32_e32 v6, 31, v5
	v_mov_b32_e32 v13, v4
	v_lshlrev_b64 v[10:11], 2, v[5:6]
	v_add_nc_u32_e32 v5, 4, v5
	v_add_co_u32 v10, vcc_lo, s10, v10
	v_add_co_ci_u32_e64 v11, null, s11, v11, vcc_lo
	global_load_dword v6, v[10:11], off
	v_lshlrev_b64 v[10:11], 2, v[3:4]
	v_add_nc_u32_e32 v3, 8, v3
	v_add_co_u32 v10, vcc_lo, s12, v10
	v_add_co_ci_u32_e64 v11, null, s13, v11, vcc_lo
	s_waitcnt vmcnt(0)
	v_subrev_nc_u32_e32 v12, s18, v6
	v_lshlrev_b64 v[12:13], 2, v[12:13]
	v_add_co_u32 v12, vcc_lo, s14, v12
	v_add_co_ci_u32_e64 v13, null, s15, v13, vcc_lo
	v_cmp_ge_i32_e32 vcc_lo, v5, v9
	global_load_dwordx2 v[10:11], v[10:11], off
	global_load_dword v6, v[12:13], off
	s_or_b32 s3, vcc_lo, s3
	s_waitcnt vmcnt(0)
	v_fmac_f32_e32 v7, v10, v6
	v_fmac_f32_e32 v8, v11, v6
	s_andn2_b32 exec_lo, exec_lo, s3
	s_cbranch_execnz .LBB0_9
; %bb.10:
	s_inst_prefetch 0x2
	s_or_b32 exec_lo, exec_lo, s3
.LBB0_11:
	s_or_b32 exec_lo, exec_lo, s1
	s_cbranch_execz .LBB0_13
	s_branch .LBB0_18
.LBB0_12:
                                        ; implicit-def: $vgpr7
                                        ; implicit-def: $vgpr8
.LBB0_13:
	v_mov_b32_e32 v7, 0
	v_mov_b32_e32 v8, 0
	s_and_saveexec_b32 s1, s0
	s_cbranch_execz .LBB0_17
; %bb.14:
	v_mov_b32_e32 v5, 0
	v_lshlrev_b32_e32 v4, 1, v2
	s_mov_b32 s0, 0
	v_mov_b32_e32 v7, v5
	v_mov_b32_e32 v8, v5
	s_inst_prefetch 0x1
	.p2align	6
.LBB0_15:                               ; =>This Inner Loop Header: Depth=1
	v_ashrrev_i32_e32 v3, 31, v2
	v_mov_b32_e32 v13, v5
	v_lshlrev_b64 v[10:11], 2, v[2:3]
	v_add_nc_u32_e32 v2, 4, v2
	v_add_co_u32 v10, vcc_lo, s10, v10
	v_add_co_ci_u32_e64 v11, null, s11, v11, vcc_lo
	global_load_dword v3, v[10:11], off
	v_lshlrev_b64 v[10:11], 2, v[4:5]
	v_add_nc_u32_e32 v4, 8, v4
	v_add_co_u32 v10, vcc_lo, s12, v10
	v_add_co_ci_u32_e64 v11, null, s13, v11, vcc_lo
	s_waitcnt vmcnt(0)
	v_subrev_nc_u32_e32 v12, s18, v3
	v_lshlrev_b64 v[12:13], 2, v[12:13]
	v_add_co_u32 v12, vcc_lo, s14, v12
	v_add_co_ci_u32_e64 v13, null, s15, v13, vcc_lo
	v_cmp_ge_i32_e32 vcc_lo, v2, v9
	global_load_dwordx2 v[10:11], v[10:11], off
	global_load_dword v3, v[12:13], off
	s_or_b32 s0, vcc_lo, s0
	s_waitcnt vmcnt(0)
	v_fmac_f32_e32 v7, v10, v3
	v_fmac_f32_e32 v8, v11, v3
	s_andn2_b32 exec_lo, exec_lo, s0
	s_cbranch_execnz .LBB0_15
; %bb.16:
	s_inst_prefetch 0x2
	s_or_b32 exec_lo, exec_lo, s0
.LBB0_17:
	s_or_b32 exec_lo, exec_lo, s1
.LBB0_18:
	v_mbcnt_lo_u32_b32 v2, -1, 0
	s_mov_b32 s3, -1
	v_xor_b32_e32 v3, 2, v2
	v_xor_b32_e32 v5, 1, v2
	v_cmp_gt_i32_e32 vcc_lo, 32, v3
	v_cndmask_b32_e32 v3, v2, v3, vcc_lo
	v_cmp_gt_i32_e32 vcc_lo, 32, v5
	v_lshlrev_b32_e32 v3, 2, v3
	v_cndmask_b32_e32 v2, v2, v5, vcc_lo
	v_cmp_eq_u32_e32 vcc_lo, 3, v0
	ds_bpermute_b32 v4, v3, v7
	ds_bpermute_b32 v3, v3, v8
	v_lshlrev_b32_e32 v5, 2, v2
	s_waitcnt lgkmcnt(1)
	v_add_f32_e32 v2, v7, v4
	s_waitcnt lgkmcnt(0)
	v_add_f32_e32 v3, v8, v3
	ds_bpermute_b32 v4, v5, v2
	ds_bpermute_b32 v5, v5, v3
	s_and_b32 exec_lo, exec_lo, vcc_lo
	s_cbranch_execz .LBB0_23
; %bb.19:
	s_load_dwordx2 s[0:1], s[4:5], 0x38
	s_waitcnt lgkmcnt(0)
	v_add_f32_e32 v0, v2, v4
	v_add_f32_e32 v3, v3, v5
	v_cmp_eq_f32_e64 s4, s2, 0
	v_mul_f32_e32 v2, s16, v0
	v_mul_f32_e32 v3, s16, v3
	v_lshlrev_b32_e32 v0, 1, v1
	s_and_b32 vcc_lo, exec_lo, s4
	s_cbranch_vccz .LBB0_21
; %bb.20:
	v_ashrrev_i32_e32 v1, 31, v0
	s_mov_b32 s3, 0
	v_lshlrev_b64 v[4:5], 2, v[0:1]
	v_add_co_u32 v4, vcc_lo, s0, v4
	v_add_co_ci_u32_e64 v5, null, s1, v5, vcc_lo
	global_store_dwordx2 v[4:5], v[2:3], off
.LBB0_21:
	s_andn2_b32 vcc_lo, exec_lo, s3
	s_cbranch_vccnz .LBB0_23
; %bb.22:
	v_ashrrev_i32_e32 v1, 31, v0
	v_lshlrev_b64 v[0:1], 2, v[0:1]
	v_add_co_u32 v0, vcc_lo, s0, v0
	v_add_co_ci_u32_e64 v1, null, s1, v1, vcc_lo
	global_load_dwordx2 v[4:5], v[0:1], off
	s_waitcnt vmcnt(0)
	v_fmac_f32_e32 v2, s2, v4
	v_fmac_f32_e32 v3, s2, v5
	global_store_dwordx2 v[0:1], v[2:3], off
.LBB0_23:
	s_endpgm
	.section	.rodata,"a",@progbits
	.p2align	6, 0x0
	.amdhsa_kernel _ZN9rocsparseL19gebsrmvn_2xn_kernelILj128ELj1ELj4EfEEvi20rocsparse_direction_NS_24const_host_device_scalarIT2_EEPKiS6_PKS3_S8_S4_PS3_21rocsparse_index_base_b
		.amdhsa_group_segment_fixed_size 0
		.amdhsa_private_segment_fixed_size 0
		.amdhsa_kernarg_size 72
		.amdhsa_user_sgpr_count 6
		.amdhsa_user_sgpr_private_segment_buffer 1
		.amdhsa_user_sgpr_dispatch_ptr 0
		.amdhsa_user_sgpr_queue_ptr 0
		.amdhsa_user_sgpr_kernarg_segment_ptr 1
		.amdhsa_user_sgpr_dispatch_id 0
		.amdhsa_user_sgpr_flat_scratch_init 0
		.amdhsa_user_sgpr_private_segment_size 0
		.amdhsa_wavefront_size32 1
		.amdhsa_uses_dynamic_stack 0
		.amdhsa_system_sgpr_private_segment_wavefront_offset 0
		.amdhsa_system_sgpr_workgroup_id_x 1
		.amdhsa_system_sgpr_workgroup_id_y 0
		.amdhsa_system_sgpr_workgroup_id_z 0
		.amdhsa_system_sgpr_workgroup_info 0
		.amdhsa_system_vgpr_workitem_id 0
		.amdhsa_next_free_vgpr 14
		.amdhsa_next_free_sgpr 20
		.amdhsa_reserve_vcc 1
		.amdhsa_reserve_flat_scratch 0
		.amdhsa_float_round_mode_32 0
		.amdhsa_float_round_mode_16_64 0
		.amdhsa_float_denorm_mode_32 3
		.amdhsa_float_denorm_mode_16_64 3
		.amdhsa_dx10_clamp 1
		.amdhsa_ieee_mode 1
		.amdhsa_fp16_overflow 0
		.amdhsa_workgroup_processor_mode 1
		.amdhsa_memory_ordered 1
		.amdhsa_forward_progress 1
		.amdhsa_shared_vgpr_count 0
		.amdhsa_exception_fp_ieee_invalid_op 0
		.amdhsa_exception_fp_denorm_src 0
		.amdhsa_exception_fp_ieee_div_zero 0
		.amdhsa_exception_fp_ieee_overflow 0
		.amdhsa_exception_fp_ieee_underflow 0
		.amdhsa_exception_fp_ieee_inexact 0
		.amdhsa_exception_int_div_zero 0
	.end_amdhsa_kernel
	.section	.text._ZN9rocsparseL19gebsrmvn_2xn_kernelILj128ELj1ELj4EfEEvi20rocsparse_direction_NS_24const_host_device_scalarIT2_EEPKiS6_PKS3_S8_S4_PS3_21rocsparse_index_base_b,"axG",@progbits,_ZN9rocsparseL19gebsrmvn_2xn_kernelILj128ELj1ELj4EfEEvi20rocsparse_direction_NS_24const_host_device_scalarIT2_EEPKiS6_PKS3_S8_S4_PS3_21rocsparse_index_base_b,comdat
.Lfunc_end0:
	.size	_ZN9rocsparseL19gebsrmvn_2xn_kernelILj128ELj1ELj4EfEEvi20rocsparse_direction_NS_24const_host_device_scalarIT2_EEPKiS6_PKS3_S8_S4_PS3_21rocsparse_index_base_b, .Lfunc_end0-_ZN9rocsparseL19gebsrmvn_2xn_kernelILj128ELj1ELj4EfEEvi20rocsparse_direction_NS_24const_host_device_scalarIT2_EEPKiS6_PKS3_S8_S4_PS3_21rocsparse_index_base_b
                                        ; -- End function
	.set _ZN9rocsparseL19gebsrmvn_2xn_kernelILj128ELj1ELj4EfEEvi20rocsparse_direction_NS_24const_host_device_scalarIT2_EEPKiS6_PKS3_S8_S4_PS3_21rocsparse_index_base_b.num_vgpr, 14
	.set _ZN9rocsparseL19gebsrmvn_2xn_kernelILj128ELj1ELj4EfEEvi20rocsparse_direction_NS_24const_host_device_scalarIT2_EEPKiS6_PKS3_S8_S4_PS3_21rocsparse_index_base_b.num_agpr, 0
	.set _ZN9rocsparseL19gebsrmvn_2xn_kernelILj128ELj1ELj4EfEEvi20rocsparse_direction_NS_24const_host_device_scalarIT2_EEPKiS6_PKS3_S8_S4_PS3_21rocsparse_index_base_b.numbered_sgpr, 20
	.set _ZN9rocsparseL19gebsrmvn_2xn_kernelILj128ELj1ELj4EfEEvi20rocsparse_direction_NS_24const_host_device_scalarIT2_EEPKiS6_PKS3_S8_S4_PS3_21rocsparse_index_base_b.num_named_barrier, 0
	.set _ZN9rocsparseL19gebsrmvn_2xn_kernelILj128ELj1ELj4EfEEvi20rocsparse_direction_NS_24const_host_device_scalarIT2_EEPKiS6_PKS3_S8_S4_PS3_21rocsparse_index_base_b.private_seg_size, 0
	.set _ZN9rocsparseL19gebsrmvn_2xn_kernelILj128ELj1ELj4EfEEvi20rocsparse_direction_NS_24const_host_device_scalarIT2_EEPKiS6_PKS3_S8_S4_PS3_21rocsparse_index_base_b.uses_vcc, 1
	.set _ZN9rocsparseL19gebsrmvn_2xn_kernelILj128ELj1ELj4EfEEvi20rocsparse_direction_NS_24const_host_device_scalarIT2_EEPKiS6_PKS3_S8_S4_PS3_21rocsparse_index_base_b.uses_flat_scratch, 0
	.set _ZN9rocsparseL19gebsrmvn_2xn_kernelILj128ELj1ELj4EfEEvi20rocsparse_direction_NS_24const_host_device_scalarIT2_EEPKiS6_PKS3_S8_S4_PS3_21rocsparse_index_base_b.has_dyn_sized_stack, 0
	.set _ZN9rocsparseL19gebsrmvn_2xn_kernelILj128ELj1ELj4EfEEvi20rocsparse_direction_NS_24const_host_device_scalarIT2_EEPKiS6_PKS3_S8_S4_PS3_21rocsparse_index_base_b.has_recursion, 0
	.set _ZN9rocsparseL19gebsrmvn_2xn_kernelILj128ELj1ELj4EfEEvi20rocsparse_direction_NS_24const_host_device_scalarIT2_EEPKiS6_PKS3_S8_S4_PS3_21rocsparse_index_base_b.has_indirect_call, 0
	.section	.AMDGPU.csdata,"",@progbits
; Kernel info:
; codeLenInByte = 996
; TotalNumSgprs: 22
; NumVgprs: 14
; ScratchSize: 0
; MemoryBound: 0
; FloatMode: 240
; IeeeMode: 1
; LDSByteSize: 0 bytes/workgroup (compile time only)
; SGPRBlocks: 0
; VGPRBlocks: 1
; NumSGPRsForWavesPerEU: 22
; NumVGPRsForWavesPerEU: 14
; Occupancy: 16
; WaveLimiterHint : 1
; COMPUTE_PGM_RSRC2:SCRATCH_EN: 0
; COMPUTE_PGM_RSRC2:USER_SGPR: 6
; COMPUTE_PGM_RSRC2:TRAP_HANDLER: 0
; COMPUTE_PGM_RSRC2:TGID_X_EN: 1
; COMPUTE_PGM_RSRC2:TGID_Y_EN: 0
; COMPUTE_PGM_RSRC2:TGID_Z_EN: 0
; COMPUTE_PGM_RSRC2:TIDIG_COMP_CNT: 0
	.section	.text._ZN9rocsparseL19gebsrmvn_2xn_kernelILj128ELj1ELj8EfEEvi20rocsparse_direction_NS_24const_host_device_scalarIT2_EEPKiS6_PKS3_S8_S4_PS3_21rocsparse_index_base_b,"axG",@progbits,_ZN9rocsparseL19gebsrmvn_2xn_kernelILj128ELj1ELj8EfEEvi20rocsparse_direction_NS_24const_host_device_scalarIT2_EEPKiS6_PKS3_S8_S4_PS3_21rocsparse_index_base_b,comdat
	.globl	_ZN9rocsparseL19gebsrmvn_2xn_kernelILj128ELj1ELj8EfEEvi20rocsparse_direction_NS_24const_host_device_scalarIT2_EEPKiS6_PKS3_S8_S4_PS3_21rocsparse_index_base_b ; -- Begin function _ZN9rocsparseL19gebsrmvn_2xn_kernelILj128ELj1ELj8EfEEvi20rocsparse_direction_NS_24const_host_device_scalarIT2_EEPKiS6_PKS3_S8_S4_PS3_21rocsparse_index_base_b
	.p2align	8
	.type	_ZN9rocsparseL19gebsrmvn_2xn_kernelILj128ELj1ELj8EfEEvi20rocsparse_direction_NS_24const_host_device_scalarIT2_EEPKiS6_PKS3_S8_S4_PS3_21rocsparse_index_base_b,@function
_ZN9rocsparseL19gebsrmvn_2xn_kernelILj128ELj1ELj8EfEEvi20rocsparse_direction_NS_24const_host_device_scalarIT2_EEPKiS6_PKS3_S8_S4_PS3_21rocsparse_index_base_b: ; @_ZN9rocsparseL19gebsrmvn_2xn_kernelILj128ELj1ELj8EfEEvi20rocsparse_direction_NS_24const_host_device_scalarIT2_EEPKiS6_PKS3_S8_S4_PS3_21rocsparse_index_base_b
; %bb.0:
	s_clause 0x2
	s_load_dwordx2 s[18:19], s[4:5], 0x40
	s_load_dwordx2 s[16:17], s[4:5], 0x8
	;; [unrolled: 1-line block ×3, first 2 shown]
	s_waitcnt lgkmcnt(0)
	s_bitcmp1_b32 s19, 0
	s_cselect_b32 s0, -1, 0
	s_and_b32 vcc_lo, exec_lo, s0
	s_xor_b32 s0, s0, -1
	s_cbranch_vccnz .LBB1_2
; %bb.1:
	s_load_dword s16, s[16:17], 0x0
.LBB1_2:
	s_andn2_b32 vcc_lo, exec_lo, s0
	s_cbranch_vccnz .LBB1_4
; %bb.3:
	s_load_dword s2, s[2:3], 0x0
.LBB1_4:
	s_waitcnt lgkmcnt(0)
	v_cmp_eq_f32_e64 s0, s16, 0
	v_cmp_eq_f32_e64 s1, s2, 1.0
	s_and_b32 s0, s0, s1
	s_and_b32 vcc_lo, exec_lo, s0
	s_cbranch_vccnz .LBB1_23
; %bb.5:
	s_load_dwordx2 s[0:1], s[4:5], 0x0
	v_lshrrev_b32_e32 v1, 3, v0
	v_lshl_or_b32 v1, s6, 4, v1
	s_waitcnt lgkmcnt(0)
	v_cmp_gt_i32_e32 vcc_lo, s0, v1
	s_and_saveexec_b32 s0, vcc_lo
	s_cbranch_execz .LBB1_23
; %bb.6:
	s_load_dwordx8 s[8:15], s[4:5], 0x10
	v_ashrrev_i32_e32 v2, 31, v1
	v_and_b32_e32 v0, 7, v0
	s_cmp_lg_u32 s1, 0
	v_lshlrev_b64 v[2:3], 2, v[1:2]
	s_waitcnt lgkmcnt(0)
	v_add_co_u32 v2, vcc_lo, s8, v2
	v_add_co_ci_u32_e64 v3, null, s9, v3, vcc_lo
	global_load_dwordx2 v[2:3], v[2:3], off
	s_waitcnt vmcnt(0)
	v_subrev_nc_u32_e32 v2, s18, v2
	v_subrev_nc_u32_e32 v9, s18, v3
	v_add_nc_u32_e32 v2, v2, v0
	v_cmp_lt_i32_e64 s0, v2, v9
	s_cbranch_scc0 .LBB1_12
; %bb.7:
	v_mov_b32_e32 v7, 0
	v_mov_b32_e32 v8, 0
	s_and_saveexec_b32 s1, s0
	s_cbranch_execz .LBB1_11
; %bb.8:
	v_mov_b32_e32 v4, 0
	v_lshlrev_b32_e32 v3, 1, v2
	v_mov_b32_e32 v5, v2
	s_mov_b32 s3, 0
	v_mov_b32_e32 v7, v4
	v_mov_b32_e32 v8, v4
	s_inst_prefetch 0x1
	.p2align	6
.LBB1_9:                                ; =>This Inner Loop Header: Depth=1
	v_ashrrev_i32_e32 v6, 31, v5
	v_mov_b32_e32 v13, v4
	v_lshlrev_b64 v[10:11], 2, v[5:6]
	v_add_nc_u32_e32 v5, 8, v5
	v_add_co_u32 v10, vcc_lo, s10, v10
	v_add_co_ci_u32_e64 v11, null, s11, v11, vcc_lo
	global_load_dword v6, v[10:11], off
	v_lshlrev_b64 v[10:11], 2, v[3:4]
	v_add_nc_u32_e32 v3, 16, v3
	v_add_co_u32 v10, vcc_lo, s12, v10
	v_add_co_ci_u32_e64 v11, null, s13, v11, vcc_lo
	s_waitcnt vmcnt(0)
	v_subrev_nc_u32_e32 v12, s18, v6
	v_lshlrev_b64 v[12:13], 2, v[12:13]
	v_add_co_u32 v12, vcc_lo, s14, v12
	v_add_co_ci_u32_e64 v13, null, s15, v13, vcc_lo
	v_cmp_ge_i32_e32 vcc_lo, v5, v9
	global_load_dwordx2 v[10:11], v[10:11], off
	global_load_dword v6, v[12:13], off
	s_or_b32 s3, vcc_lo, s3
	s_waitcnt vmcnt(0)
	v_fmac_f32_e32 v7, v10, v6
	v_fmac_f32_e32 v8, v11, v6
	s_andn2_b32 exec_lo, exec_lo, s3
	s_cbranch_execnz .LBB1_9
; %bb.10:
	s_inst_prefetch 0x2
	s_or_b32 exec_lo, exec_lo, s3
.LBB1_11:
	s_or_b32 exec_lo, exec_lo, s1
	s_cbranch_execz .LBB1_13
	s_branch .LBB1_18
.LBB1_12:
                                        ; implicit-def: $vgpr7
                                        ; implicit-def: $vgpr8
.LBB1_13:
	v_mov_b32_e32 v7, 0
	v_mov_b32_e32 v8, 0
	s_and_saveexec_b32 s1, s0
	s_cbranch_execz .LBB1_17
; %bb.14:
	v_mov_b32_e32 v5, 0
	v_lshlrev_b32_e32 v4, 1, v2
	s_mov_b32 s0, 0
	v_mov_b32_e32 v7, v5
	v_mov_b32_e32 v8, v5
	s_inst_prefetch 0x1
	.p2align	6
.LBB1_15:                               ; =>This Inner Loop Header: Depth=1
	v_ashrrev_i32_e32 v3, 31, v2
	v_mov_b32_e32 v13, v5
	v_lshlrev_b64 v[10:11], 2, v[2:3]
	v_add_nc_u32_e32 v2, 8, v2
	v_add_co_u32 v10, vcc_lo, s10, v10
	v_add_co_ci_u32_e64 v11, null, s11, v11, vcc_lo
	global_load_dword v3, v[10:11], off
	v_lshlrev_b64 v[10:11], 2, v[4:5]
	v_add_nc_u32_e32 v4, 16, v4
	v_add_co_u32 v10, vcc_lo, s12, v10
	v_add_co_ci_u32_e64 v11, null, s13, v11, vcc_lo
	s_waitcnt vmcnt(0)
	v_subrev_nc_u32_e32 v12, s18, v3
	v_lshlrev_b64 v[12:13], 2, v[12:13]
	v_add_co_u32 v12, vcc_lo, s14, v12
	v_add_co_ci_u32_e64 v13, null, s15, v13, vcc_lo
	v_cmp_ge_i32_e32 vcc_lo, v2, v9
	global_load_dwordx2 v[10:11], v[10:11], off
	global_load_dword v3, v[12:13], off
	s_or_b32 s0, vcc_lo, s0
	s_waitcnt vmcnt(0)
	v_fmac_f32_e32 v7, v10, v3
	v_fmac_f32_e32 v8, v11, v3
	s_andn2_b32 exec_lo, exec_lo, s0
	s_cbranch_execnz .LBB1_15
; %bb.16:
	s_inst_prefetch 0x2
	s_or_b32 exec_lo, exec_lo, s0
.LBB1_17:
	s_or_b32 exec_lo, exec_lo, s1
.LBB1_18:
	v_mbcnt_lo_u32_b32 v2, -1, 0
	s_mov_b32 s3, -1
	v_xor_b32_e32 v3, 4, v2
	v_xor_b32_e32 v5, 2, v2
	v_cmp_gt_i32_e32 vcc_lo, 32, v3
	v_cndmask_b32_e32 v3, v2, v3, vcc_lo
	v_cmp_gt_i32_e32 vcc_lo, 32, v5
	v_lshlrev_b32_e32 v3, 2, v3
	v_cndmask_b32_e32 v5, v2, v5, vcc_lo
	ds_bpermute_b32 v4, v3, v7
	ds_bpermute_b32 v3, v3, v8
	v_lshlrev_b32_e32 v5, 2, v5
	s_waitcnt lgkmcnt(1)
	v_add_f32_e32 v4, v7, v4
	s_waitcnt lgkmcnt(0)
	v_add_f32_e32 v3, v8, v3
	v_xor_b32_e32 v7, 1, v2
	ds_bpermute_b32 v6, v5, v4
	ds_bpermute_b32 v5, v5, v3
	v_cmp_gt_i32_e32 vcc_lo, 32, v7
	v_cndmask_b32_e32 v2, v2, v7, vcc_lo
	v_cmp_eq_u32_e32 vcc_lo, 7, v0
	v_lshlrev_b32_e32 v7, 2, v2
	s_waitcnt lgkmcnt(1)
	v_add_f32_e32 v2, v4, v6
	s_waitcnt lgkmcnt(0)
	v_add_f32_e32 v3, v3, v5
	ds_bpermute_b32 v4, v7, v2
	ds_bpermute_b32 v5, v7, v3
	s_and_b32 exec_lo, exec_lo, vcc_lo
	s_cbranch_execz .LBB1_23
; %bb.19:
	s_load_dwordx2 s[0:1], s[4:5], 0x38
	s_waitcnt lgkmcnt(0)
	v_add_f32_e32 v0, v2, v4
	v_add_f32_e32 v3, v3, v5
	v_cmp_eq_f32_e64 s4, s2, 0
	v_mul_f32_e32 v2, s16, v0
	v_mul_f32_e32 v3, s16, v3
	v_lshlrev_b32_e32 v0, 1, v1
	s_and_b32 vcc_lo, exec_lo, s4
	s_cbranch_vccz .LBB1_21
; %bb.20:
	v_ashrrev_i32_e32 v1, 31, v0
	s_mov_b32 s3, 0
	v_lshlrev_b64 v[4:5], 2, v[0:1]
	v_add_co_u32 v4, vcc_lo, s0, v4
	v_add_co_ci_u32_e64 v5, null, s1, v5, vcc_lo
	global_store_dwordx2 v[4:5], v[2:3], off
.LBB1_21:
	s_andn2_b32 vcc_lo, exec_lo, s3
	s_cbranch_vccnz .LBB1_23
; %bb.22:
	v_ashrrev_i32_e32 v1, 31, v0
	v_lshlrev_b64 v[0:1], 2, v[0:1]
	v_add_co_u32 v0, vcc_lo, s0, v0
	v_add_co_ci_u32_e64 v1, null, s1, v1, vcc_lo
	global_load_dwordx2 v[4:5], v[0:1], off
	s_waitcnt vmcnt(0)
	v_fmac_f32_e32 v2, s2, v4
	v_fmac_f32_e32 v3, s2, v5
	global_store_dwordx2 v[0:1], v[2:3], off
.LBB1_23:
	s_endpgm
	.section	.rodata,"a",@progbits
	.p2align	6, 0x0
	.amdhsa_kernel _ZN9rocsparseL19gebsrmvn_2xn_kernelILj128ELj1ELj8EfEEvi20rocsparse_direction_NS_24const_host_device_scalarIT2_EEPKiS6_PKS3_S8_S4_PS3_21rocsparse_index_base_b
		.amdhsa_group_segment_fixed_size 0
		.amdhsa_private_segment_fixed_size 0
		.amdhsa_kernarg_size 72
		.amdhsa_user_sgpr_count 6
		.amdhsa_user_sgpr_private_segment_buffer 1
		.amdhsa_user_sgpr_dispatch_ptr 0
		.amdhsa_user_sgpr_queue_ptr 0
		.amdhsa_user_sgpr_kernarg_segment_ptr 1
		.amdhsa_user_sgpr_dispatch_id 0
		.amdhsa_user_sgpr_flat_scratch_init 0
		.amdhsa_user_sgpr_private_segment_size 0
		.amdhsa_wavefront_size32 1
		.amdhsa_uses_dynamic_stack 0
		.amdhsa_system_sgpr_private_segment_wavefront_offset 0
		.amdhsa_system_sgpr_workgroup_id_x 1
		.amdhsa_system_sgpr_workgroup_id_y 0
		.amdhsa_system_sgpr_workgroup_id_z 0
		.amdhsa_system_sgpr_workgroup_info 0
		.amdhsa_system_vgpr_workitem_id 0
		.amdhsa_next_free_vgpr 14
		.amdhsa_next_free_sgpr 20
		.amdhsa_reserve_vcc 1
		.amdhsa_reserve_flat_scratch 0
		.amdhsa_float_round_mode_32 0
		.amdhsa_float_round_mode_16_64 0
		.amdhsa_float_denorm_mode_32 3
		.amdhsa_float_denorm_mode_16_64 3
		.amdhsa_dx10_clamp 1
		.amdhsa_ieee_mode 1
		.amdhsa_fp16_overflow 0
		.amdhsa_workgroup_processor_mode 1
		.amdhsa_memory_ordered 1
		.amdhsa_forward_progress 1
		.amdhsa_shared_vgpr_count 0
		.amdhsa_exception_fp_ieee_invalid_op 0
		.amdhsa_exception_fp_denorm_src 0
		.amdhsa_exception_fp_ieee_div_zero 0
		.amdhsa_exception_fp_ieee_overflow 0
		.amdhsa_exception_fp_ieee_underflow 0
		.amdhsa_exception_fp_ieee_inexact 0
		.amdhsa_exception_int_div_zero 0
	.end_amdhsa_kernel
	.section	.text._ZN9rocsparseL19gebsrmvn_2xn_kernelILj128ELj1ELj8EfEEvi20rocsparse_direction_NS_24const_host_device_scalarIT2_EEPKiS6_PKS3_S8_S4_PS3_21rocsparse_index_base_b,"axG",@progbits,_ZN9rocsparseL19gebsrmvn_2xn_kernelILj128ELj1ELj8EfEEvi20rocsparse_direction_NS_24const_host_device_scalarIT2_EEPKiS6_PKS3_S8_S4_PS3_21rocsparse_index_base_b,comdat
.Lfunc_end1:
	.size	_ZN9rocsparseL19gebsrmvn_2xn_kernelILj128ELj1ELj8EfEEvi20rocsparse_direction_NS_24const_host_device_scalarIT2_EEPKiS6_PKS3_S8_S4_PS3_21rocsparse_index_base_b, .Lfunc_end1-_ZN9rocsparseL19gebsrmvn_2xn_kernelILj128ELj1ELj8EfEEvi20rocsparse_direction_NS_24const_host_device_scalarIT2_EEPKiS6_PKS3_S8_S4_PS3_21rocsparse_index_base_b
                                        ; -- End function
	.set _ZN9rocsparseL19gebsrmvn_2xn_kernelILj128ELj1ELj8EfEEvi20rocsparse_direction_NS_24const_host_device_scalarIT2_EEPKiS6_PKS3_S8_S4_PS3_21rocsparse_index_base_b.num_vgpr, 14
	.set _ZN9rocsparseL19gebsrmvn_2xn_kernelILj128ELj1ELj8EfEEvi20rocsparse_direction_NS_24const_host_device_scalarIT2_EEPKiS6_PKS3_S8_S4_PS3_21rocsparse_index_base_b.num_agpr, 0
	.set _ZN9rocsparseL19gebsrmvn_2xn_kernelILj128ELj1ELj8EfEEvi20rocsparse_direction_NS_24const_host_device_scalarIT2_EEPKiS6_PKS3_S8_S4_PS3_21rocsparse_index_base_b.numbered_sgpr, 20
	.set _ZN9rocsparseL19gebsrmvn_2xn_kernelILj128ELj1ELj8EfEEvi20rocsparse_direction_NS_24const_host_device_scalarIT2_EEPKiS6_PKS3_S8_S4_PS3_21rocsparse_index_base_b.num_named_barrier, 0
	.set _ZN9rocsparseL19gebsrmvn_2xn_kernelILj128ELj1ELj8EfEEvi20rocsparse_direction_NS_24const_host_device_scalarIT2_EEPKiS6_PKS3_S8_S4_PS3_21rocsparse_index_base_b.private_seg_size, 0
	.set _ZN9rocsparseL19gebsrmvn_2xn_kernelILj128ELj1ELj8EfEEvi20rocsparse_direction_NS_24const_host_device_scalarIT2_EEPKiS6_PKS3_S8_S4_PS3_21rocsparse_index_base_b.uses_vcc, 1
	.set _ZN9rocsparseL19gebsrmvn_2xn_kernelILj128ELj1ELj8EfEEvi20rocsparse_direction_NS_24const_host_device_scalarIT2_EEPKiS6_PKS3_S8_S4_PS3_21rocsparse_index_base_b.uses_flat_scratch, 0
	.set _ZN9rocsparseL19gebsrmvn_2xn_kernelILj128ELj1ELj8EfEEvi20rocsparse_direction_NS_24const_host_device_scalarIT2_EEPKiS6_PKS3_S8_S4_PS3_21rocsparse_index_base_b.has_dyn_sized_stack, 0
	.set _ZN9rocsparseL19gebsrmvn_2xn_kernelILj128ELj1ELj8EfEEvi20rocsparse_direction_NS_24const_host_device_scalarIT2_EEPKiS6_PKS3_S8_S4_PS3_21rocsparse_index_base_b.has_recursion, 0
	.set _ZN9rocsparseL19gebsrmvn_2xn_kernelILj128ELj1ELj8EfEEvi20rocsparse_direction_NS_24const_host_device_scalarIT2_EEPKiS6_PKS3_S8_S4_PS3_21rocsparse_index_base_b.has_indirect_call, 0
	.section	.AMDGPU.csdata,"",@progbits
; Kernel info:
; codeLenInByte = 1044
; TotalNumSgprs: 22
; NumVgprs: 14
; ScratchSize: 0
; MemoryBound: 0
; FloatMode: 240
; IeeeMode: 1
; LDSByteSize: 0 bytes/workgroup (compile time only)
; SGPRBlocks: 0
; VGPRBlocks: 1
; NumSGPRsForWavesPerEU: 22
; NumVGPRsForWavesPerEU: 14
; Occupancy: 16
; WaveLimiterHint : 1
; COMPUTE_PGM_RSRC2:SCRATCH_EN: 0
; COMPUTE_PGM_RSRC2:USER_SGPR: 6
; COMPUTE_PGM_RSRC2:TRAP_HANDLER: 0
; COMPUTE_PGM_RSRC2:TGID_X_EN: 1
; COMPUTE_PGM_RSRC2:TGID_Y_EN: 0
; COMPUTE_PGM_RSRC2:TGID_Z_EN: 0
; COMPUTE_PGM_RSRC2:TIDIG_COMP_CNT: 0
	.section	.text._ZN9rocsparseL19gebsrmvn_2xn_kernelILj128ELj1ELj16EfEEvi20rocsparse_direction_NS_24const_host_device_scalarIT2_EEPKiS6_PKS3_S8_S4_PS3_21rocsparse_index_base_b,"axG",@progbits,_ZN9rocsparseL19gebsrmvn_2xn_kernelILj128ELj1ELj16EfEEvi20rocsparse_direction_NS_24const_host_device_scalarIT2_EEPKiS6_PKS3_S8_S4_PS3_21rocsparse_index_base_b,comdat
	.globl	_ZN9rocsparseL19gebsrmvn_2xn_kernelILj128ELj1ELj16EfEEvi20rocsparse_direction_NS_24const_host_device_scalarIT2_EEPKiS6_PKS3_S8_S4_PS3_21rocsparse_index_base_b ; -- Begin function _ZN9rocsparseL19gebsrmvn_2xn_kernelILj128ELj1ELj16EfEEvi20rocsparse_direction_NS_24const_host_device_scalarIT2_EEPKiS6_PKS3_S8_S4_PS3_21rocsparse_index_base_b
	.p2align	8
	.type	_ZN9rocsparseL19gebsrmvn_2xn_kernelILj128ELj1ELj16EfEEvi20rocsparse_direction_NS_24const_host_device_scalarIT2_EEPKiS6_PKS3_S8_S4_PS3_21rocsparse_index_base_b,@function
_ZN9rocsparseL19gebsrmvn_2xn_kernelILj128ELj1ELj16EfEEvi20rocsparse_direction_NS_24const_host_device_scalarIT2_EEPKiS6_PKS3_S8_S4_PS3_21rocsparse_index_base_b: ; @_ZN9rocsparseL19gebsrmvn_2xn_kernelILj128ELj1ELj16EfEEvi20rocsparse_direction_NS_24const_host_device_scalarIT2_EEPKiS6_PKS3_S8_S4_PS3_21rocsparse_index_base_b
; %bb.0:
	s_clause 0x2
	s_load_dwordx2 s[18:19], s[4:5], 0x40
	s_load_dwordx2 s[16:17], s[4:5], 0x8
	;; [unrolled: 1-line block ×3, first 2 shown]
	s_waitcnt lgkmcnt(0)
	s_bitcmp1_b32 s19, 0
	s_cselect_b32 s0, -1, 0
	s_and_b32 vcc_lo, exec_lo, s0
	s_xor_b32 s0, s0, -1
	s_cbranch_vccnz .LBB2_2
; %bb.1:
	s_load_dword s16, s[16:17], 0x0
.LBB2_2:
	s_andn2_b32 vcc_lo, exec_lo, s0
	s_cbranch_vccnz .LBB2_4
; %bb.3:
	s_load_dword s2, s[2:3], 0x0
.LBB2_4:
	s_waitcnt lgkmcnt(0)
	v_cmp_eq_f32_e64 s0, s16, 0
	v_cmp_eq_f32_e64 s1, s2, 1.0
	s_and_b32 s0, s0, s1
	s_and_b32 vcc_lo, exec_lo, s0
	s_cbranch_vccnz .LBB2_23
; %bb.5:
	s_load_dwordx2 s[0:1], s[4:5], 0x0
	v_lshrrev_b32_e32 v1, 4, v0
	v_lshl_or_b32 v1, s6, 3, v1
	s_waitcnt lgkmcnt(0)
	v_cmp_gt_i32_e32 vcc_lo, s0, v1
	s_and_saveexec_b32 s0, vcc_lo
	s_cbranch_execz .LBB2_23
; %bb.6:
	s_load_dwordx8 s[8:15], s[4:5], 0x10
	v_ashrrev_i32_e32 v2, 31, v1
	v_and_b32_e32 v0, 15, v0
	s_cmp_lg_u32 s1, 0
	v_lshlrev_b64 v[2:3], 2, v[1:2]
	s_waitcnt lgkmcnt(0)
	v_add_co_u32 v2, vcc_lo, s8, v2
	v_add_co_ci_u32_e64 v3, null, s9, v3, vcc_lo
	global_load_dwordx2 v[2:3], v[2:3], off
	s_waitcnt vmcnt(0)
	v_subrev_nc_u32_e32 v2, s18, v2
	v_subrev_nc_u32_e32 v9, s18, v3
	v_add_nc_u32_e32 v2, v2, v0
	v_cmp_lt_i32_e64 s0, v2, v9
	s_cbranch_scc0 .LBB2_12
; %bb.7:
	v_mov_b32_e32 v7, 0
	v_mov_b32_e32 v8, 0
	s_and_saveexec_b32 s1, s0
	s_cbranch_execz .LBB2_11
; %bb.8:
	v_mov_b32_e32 v4, 0
	v_lshlrev_b32_e32 v3, 1, v2
	v_mov_b32_e32 v5, v2
	s_mov_b32 s3, 0
	v_mov_b32_e32 v7, v4
	v_mov_b32_e32 v8, v4
	s_inst_prefetch 0x1
	.p2align	6
.LBB2_9:                                ; =>This Inner Loop Header: Depth=1
	v_ashrrev_i32_e32 v6, 31, v5
	v_mov_b32_e32 v13, v4
	v_lshlrev_b64 v[10:11], 2, v[5:6]
	v_add_nc_u32_e32 v5, 16, v5
	v_add_co_u32 v10, vcc_lo, s10, v10
	v_add_co_ci_u32_e64 v11, null, s11, v11, vcc_lo
	global_load_dword v6, v[10:11], off
	v_lshlrev_b64 v[10:11], 2, v[3:4]
	v_add_nc_u32_e32 v3, 32, v3
	v_add_co_u32 v10, vcc_lo, s12, v10
	v_add_co_ci_u32_e64 v11, null, s13, v11, vcc_lo
	s_waitcnt vmcnt(0)
	v_subrev_nc_u32_e32 v12, s18, v6
	v_lshlrev_b64 v[12:13], 2, v[12:13]
	v_add_co_u32 v12, vcc_lo, s14, v12
	v_add_co_ci_u32_e64 v13, null, s15, v13, vcc_lo
	v_cmp_ge_i32_e32 vcc_lo, v5, v9
	global_load_dwordx2 v[10:11], v[10:11], off
	global_load_dword v6, v[12:13], off
	s_or_b32 s3, vcc_lo, s3
	s_waitcnt vmcnt(0)
	v_fmac_f32_e32 v7, v10, v6
	v_fmac_f32_e32 v8, v11, v6
	s_andn2_b32 exec_lo, exec_lo, s3
	s_cbranch_execnz .LBB2_9
; %bb.10:
	s_inst_prefetch 0x2
	s_or_b32 exec_lo, exec_lo, s3
.LBB2_11:
	s_or_b32 exec_lo, exec_lo, s1
	s_cbranch_execz .LBB2_13
	s_branch .LBB2_18
.LBB2_12:
                                        ; implicit-def: $vgpr7
                                        ; implicit-def: $vgpr8
.LBB2_13:
	v_mov_b32_e32 v7, 0
	v_mov_b32_e32 v8, 0
	s_and_saveexec_b32 s1, s0
	s_cbranch_execz .LBB2_17
; %bb.14:
	v_mov_b32_e32 v5, 0
	v_lshlrev_b32_e32 v4, 1, v2
	s_mov_b32 s0, 0
	v_mov_b32_e32 v7, v5
	v_mov_b32_e32 v8, v5
	s_inst_prefetch 0x1
	.p2align	6
.LBB2_15:                               ; =>This Inner Loop Header: Depth=1
	v_ashrrev_i32_e32 v3, 31, v2
	v_mov_b32_e32 v13, v5
	v_lshlrev_b64 v[10:11], 2, v[2:3]
	v_add_nc_u32_e32 v2, 16, v2
	v_add_co_u32 v10, vcc_lo, s10, v10
	v_add_co_ci_u32_e64 v11, null, s11, v11, vcc_lo
	global_load_dword v3, v[10:11], off
	v_lshlrev_b64 v[10:11], 2, v[4:5]
	v_add_nc_u32_e32 v4, 32, v4
	v_add_co_u32 v10, vcc_lo, s12, v10
	v_add_co_ci_u32_e64 v11, null, s13, v11, vcc_lo
	s_waitcnt vmcnt(0)
	v_subrev_nc_u32_e32 v12, s18, v3
	v_lshlrev_b64 v[12:13], 2, v[12:13]
	v_add_co_u32 v12, vcc_lo, s14, v12
	v_add_co_ci_u32_e64 v13, null, s15, v13, vcc_lo
	v_cmp_ge_i32_e32 vcc_lo, v2, v9
	global_load_dwordx2 v[10:11], v[10:11], off
	global_load_dword v3, v[12:13], off
	s_or_b32 s0, vcc_lo, s0
	s_waitcnt vmcnt(0)
	v_fmac_f32_e32 v7, v10, v3
	v_fmac_f32_e32 v8, v11, v3
	s_andn2_b32 exec_lo, exec_lo, s0
	s_cbranch_execnz .LBB2_15
; %bb.16:
	s_inst_prefetch 0x2
	s_or_b32 exec_lo, exec_lo, s0
.LBB2_17:
	s_or_b32 exec_lo, exec_lo, s1
.LBB2_18:
	v_mbcnt_lo_u32_b32 v2, -1, 0
	s_mov_b32 s3, -1
	v_xor_b32_e32 v3, 8, v2
	v_xor_b32_e32 v5, 4, v2
	v_cmp_gt_i32_e32 vcc_lo, 32, v3
	v_cndmask_b32_e32 v3, v2, v3, vcc_lo
	v_cmp_gt_i32_e32 vcc_lo, 32, v5
	v_lshlrev_b32_e32 v3, 2, v3
	v_cndmask_b32_e32 v5, v2, v5, vcc_lo
	ds_bpermute_b32 v4, v3, v7
	ds_bpermute_b32 v3, v3, v8
	v_lshlrev_b32_e32 v5, 2, v5
	s_waitcnt lgkmcnt(1)
	v_add_f32_e32 v4, v7, v4
	s_waitcnt lgkmcnt(0)
	v_add_f32_e32 v3, v8, v3
	v_xor_b32_e32 v7, 2, v2
	ds_bpermute_b32 v6, v5, v4
	ds_bpermute_b32 v5, v5, v3
	v_cmp_gt_i32_e32 vcc_lo, 32, v7
	v_cndmask_b32_e32 v7, v2, v7, vcc_lo
	v_lshlrev_b32_e32 v7, 2, v7
	s_waitcnt lgkmcnt(1)
	v_add_f32_e32 v4, v4, v6
	s_waitcnt lgkmcnt(0)
	v_add_f32_e32 v3, v3, v5
	ds_bpermute_b32 v5, v7, v4
	ds_bpermute_b32 v6, v7, v3
	v_xor_b32_e32 v7, 1, v2
	v_cmp_gt_i32_e32 vcc_lo, 32, v7
	v_cndmask_b32_e32 v2, v2, v7, vcc_lo
	v_cmp_eq_u32_e32 vcc_lo, 15, v0
	v_lshlrev_b32_e32 v7, 2, v2
	s_waitcnt lgkmcnt(1)
	v_add_f32_e32 v2, v4, v5
	s_waitcnt lgkmcnt(0)
	v_add_f32_e32 v3, v3, v6
	ds_bpermute_b32 v4, v7, v2
	ds_bpermute_b32 v5, v7, v3
	s_and_b32 exec_lo, exec_lo, vcc_lo
	s_cbranch_execz .LBB2_23
; %bb.19:
	s_load_dwordx2 s[0:1], s[4:5], 0x38
	s_waitcnt lgkmcnt(0)
	v_add_f32_e32 v0, v2, v4
	v_add_f32_e32 v3, v3, v5
	v_cmp_eq_f32_e64 s4, s2, 0
	v_mul_f32_e32 v2, s16, v0
	v_mul_f32_e32 v3, s16, v3
	v_lshlrev_b32_e32 v0, 1, v1
	s_and_b32 vcc_lo, exec_lo, s4
	s_cbranch_vccz .LBB2_21
; %bb.20:
	v_ashrrev_i32_e32 v1, 31, v0
	s_mov_b32 s3, 0
	v_lshlrev_b64 v[4:5], 2, v[0:1]
	v_add_co_u32 v4, vcc_lo, s0, v4
	v_add_co_ci_u32_e64 v5, null, s1, v5, vcc_lo
	global_store_dwordx2 v[4:5], v[2:3], off
.LBB2_21:
	s_andn2_b32 vcc_lo, exec_lo, s3
	s_cbranch_vccnz .LBB2_23
; %bb.22:
	v_ashrrev_i32_e32 v1, 31, v0
	v_lshlrev_b64 v[0:1], 2, v[0:1]
	v_add_co_u32 v0, vcc_lo, s0, v0
	v_add_co_ci_u32_e64 v1, null, s1, v1, vcc_lo
	global_load_dwordx2 v[4:5], v[0:1], off
	s_waitcnt vmcnt(0)
	v_fmac_f32_e32 v2, s2, v4
	v_fmac_f32_e32 v3, s2, v5
	global_store_dwordx2 v[0:1], v[2:3], off
.LBB2_23:
	s_endpgm
	.section	.rodata,"a",@progbits
	.p2align	6, 0x0
	.amdhsa_kernel _ZN9rocsparseL19gebsrmvn_2xn_kernelILj128ELj1ELj16EfEEvi20rocsparse_direction_NS_24const_host_device_scalarIT2_EEPKiS6_PKS3_S8_S4_PS3_21rocsparse_index_base_b
		.amdhsa_group_segment_fixed_size 0
		.amdhsa_private_segment_fixed_size 0
		.amdhsa_kernarg_size 72
		.amdhsa_user_sgpr_count 6
		.amdhsa_user_sgpr_private_segment_buffer 1
		.amdhsa_user_sgpr_dispatch_ptr 0
		.amdhsa_user_sgpr_queue_ptr 0
		.amdhsa_user_sgpr_kernarg_segment_ptr 1
		.amdhsa_user_sgpr_dispatch_id 0
		.amdhsa_user_sgpr_flat_scratch_init 0
		.amdhsa_user_sgpr_private_segment_size 0
		.amdhsa_wavefront_size32 1
		.amdhsa_uses_dynamic_stack 0
		.amdhsa_system_sgpr_private_segment_wavefront_offset 0
		.amdhsa_system_sgpr_workgroup_id_x 1
		.amdhsa_system_sgpr_workgroup_id_y 0
		.amdhsa_system_sgpr_workgroup_id_z 0
		.amdhsa_system_sgpr_workgroup_info 0
		.amdhsa_system_vgpr_workitem_id 0
		.amdhsa_next_free_vgpr 14
		.amdhsa_next_free_sgpr 20
		.amdhsa_reserve_vcc 1
		.amdhsa_reserve_flat_scratch 0
		.amdhsa_float_round_mode_32 0
		.amdhsa_float_round_mode_16_64 0
		.amdhsa_float_denorm_mode_32 3
		.amdhsa_float_denorm_mode_16_64 3
		.amdhsa_dx10_clamp 1
		.amdhsa_ieee_mode 1
		.amdhsa_fp16_overflow 0
		.amdhsa_workgroup_processor_mode 1
		.amdhsa_memory_ordered 1
		.amdhsa_forward_progress 1
		.amdhsa_shared_vgpr_count 0
		.amdhsa_exception_fp_ieee_invalid_op 0
		.amdhsa_exception_fp_denorm_src 0
		.amdhsa_exception_fp_ieee_div_zero 0
		.amdhsa_exception_fp_ieee_overflow 0
		.amdhsa_exception_fp_ieee_underflow 0
		.amdhsa_exception_fp_ieee_inexact 0
		.amdhsa_exception_int_div_zero 0
	.end_amdhsa_kernel
	.section	.text._ZN9rocsparseL19gebsrmvn_2xn_kernelILj128ELj1ELj16EfEEvi20rocsparse_direction_NS_24const_host_device_scalarIT2_EEPKiS6_PKS3_S8_S4_PS3_21rocsparse_index_base_b,"axG",@progbits,_ZN9rocsparseL19gebsrmvn_2xn_kernelILj128ELj1ELj16EfEEvi20rocsparse_direction_NS_24const_host_device_scalarIT2_EEPKiS6_PKS3_S8_S4_PS3_21rocsparse_index_base_b,comdat
.Lfunc_end2:
	.size	_ZN9rocsparseL19gebsrmvn_2xn_kernelILj128ELj1ELj16EfEEvi20rocsparse_direction_NS_24const_host_device_scalarIT2_EEPKiS6_PKS3_S8_S4_PS3_21rocsparse_index_base_b, .Lfunc_end2-_ZN9rocsparseL19gebsrmvn_2xn_kernelILj128ELj1ELj16EfEEvi20rocsparse_direction_NS_24const_host_device_scalarIT2_EEPKiS6_PKS3_S8_S4_PS3_21rocsparse_index_base_b
                                        ; -- End function
	.set _ZN9rocsparseL19gebsrmvn_2xn_kernelILj128ELj1ELj16EfEEvi20rocsparse_direction_NS_24const_host_device_scalarIT2_EEPKiS6_PKS3_S8_S4_PS3_21rocsparse_index_base_b.num_vgpr, 14
	.set _ZN9rocsparseL19gebsrmvn_2xn_kernelILj128ELj1ELj16EfEEvi20rocsparse_direction_NS_24const_host_device_scalarIT2_EEPKiS6_PKS3_S8_S4_PS3_21rocsparse_index_base_b.num_agpr, 0
	.set _ZN9rocsparseL19gebsrmvn_2xn_kernelILj128ELj1ELj16EfEEvi20rocsparse_direction_NS_24const_host_device_scalarIT2_EEPKiS6_PKS3_S8_S4_PS3_21rocsparse_index_base_b.numbered_sgpr, 20
	.set _ZN9rocsparseL19gebsrmvn_2xn_kernelILj128ELj1ELj16EfEEvi20rocsparse_direction_NS_24const_host_device_scalarIT2_EEPKiS6_PKS3_S8_S4_PS3_21rocsparse_index_base_b.num_named_barrier, 0
	.set _ZN9rocsparseL19gebsrmvn_2xn_kernelILj128ELj1ELj16EfEEvi20rocsparse_direction_NS_24const_host_device_scalarIT2_EEPKiS6_PKS3_S8_S4_PS3_21rocsparse_index_base_b.private_seg_size, 0
	.set _ZN9rocsparseL19gebsrmvn_2xn_kernelILj128ELj1ELj16EfEEvi20rocsparse_direction_NS_24const_host_device_scalarIT2_EEPKiS6_PKS3_S8_S4_PS3_21rocsparse_index_base_b.uses_vcc, 1
	.set _ZN9rocsparseL19gebsrmvn_2xn_kernelILj128ELj1ELj16EfEEvi20rocsparse_direction_NS_24const_host_device_scalarIT2_EEPKiS6_PKS3_S8_S4_PS3_21rocsparse_index_base_b.uses_flat_scratch, 0
	.set _ZN9rocsparseL19gebsrmvn_2xn_kernelILj128ELj1ELj16EfEEvi20rocsparse_direction_NS_24const_host_device_scalarIT2_EEPKiS6_PKS3_S8_S4_PS3_21rocsparse_index_base_b.has_dyn_sized_stack, 0
	.set _ZN9rocsparseL19gebsrmvn_2xn_kernelILj128ELj1ELj16EfEEvi20rocsparse_direction_NS_24const_host_device_scalarIT2_EEPKiS6_PKS3_S8_S4_PS3_21rocsparse_index_base_b.has_recursion, 0
	.set _ZN9rocsparseL19gebsrmvn_2xn_kernelILj128ELj1ELj16EfEEvi20rocsparse_direction_NS_24const_host_device_scalarIT2_EEPKiS6_PKS3_S8_S4_PS3_21rocsparse_index_base_b.has_indirect_call, 0
	.section	.AMDGPU.csdata,"",@progbits
; Kernel info:
; codeLenInByte = 1092
; TotalNumSgprs: 22
; NumVgprs: 14
; ScratchSize: 0
; MemoryBound: 0
; FloatMode: 240
; IeeeMode: 1
; LDSByteSize: 0 bytes/workgroup (compile time only)
; SGPRBlocks: 0
; VGPRBlocks: 1
; NumSGPRsForWavesPerEU: 22
; NumVGPRsForWavesPerEU: 14
; Occupancy: 16
; WaveLimiterHint : 1
; COMPUTE_PGM_RSRC2:SCRATCH_EN: 0
; COMPUTE_PGM_RSRC2:USER_SGPR: 6
; COMPUTE_PGM_RSRC2:TRAP_HANDLER: 0
; COMPUTE_PGM_RSRC2:TGID_X_EN: 1
; COMPUTE_PGM_RSRC2:TGID_Y_EN: 0
; COMPUTE_PGM_RSRC2:TGID_Z_EN: 0
; COMPUTE_PGM_RSRC2:TIDIG_COMP_CNT: 0
	.section	.text._ZN9rocsparseL19gebsrmvn_2xn_kernelILj128ELj1ELj32EfEEvi20rocsparse_direction_NS_24const_host_device_scalarIT2_EEPKiS6_PKS3_S8_S4_PS3_21rocsparse_index_base_b,"axG",@progbits,_ZN9rocsparseL19gebsrmvn_2xn_kernelILj128ELj1ELj32EfEEvi20rocsparse_direction_NS_24const_host_device_scalarIT2_EEPKiS6_PKS3_S8_S4_PS3_21rocsparse_index_base_b,comdat
	.globl	_ZN9rocsparseL19gebsrmvn_2xn_kernelILj128ELj1ELj32EfEEvi20rocsparse_direction_NS_24const_host_device_scalarIT2_EEPKiS6_PKS3_S8_S4_PS3_21rocsparse_index_base_b ; -- Begin function _ZN9rocsparseL19gebsrmvn_2xn_kernelILj128ELj1ELj32EfEEvi20rocsparse_direction_NS_24const_host_device_scalarIT2_EEPKiS6_PKS3_S8_S4_PS3_21rocsparse_index_base_b
	.p2align	8
	.type	_ZN9rocsparseL19gebsrmvn_2xn_kernelILj128ELj1ELj32EfEEvi20rocsparse_direction_NS_24const_host_device_scalarIT2_EEPKiS6_PKS3_S8_S4_PS3_21rocsparse_index_base_b,@function
_ZN9rocsparseL19gebsrmvn_2xn_kernelILj128ELj1ELj32EfEEvi20rocsparse_direction_NS_24const_host_device_scalarIT2_EEPKiS6_PKS3_S8_S4_PS3_21rocsparse_index_base_b: ; @_ZN9rocsparseL19gebsrmvn_2xn_kernelILj128ELj1ELj32EfEEvi20rocsparse_direction_NS_24const_host_device_scalarIT2_EEPKiS6_PKS3_S8_S4_PS3_21rocsparse_index_base_b
; %bb.0:
	s_clause 0x2
	s_load_dwordx2 s[18:19], s[4:5], 0x40
	s_load_dwordx2 s[16:17], s[4:5], 0x8
	;; [unrolled: 1-line block ×3, first 2 shown]
	s_waitcnt lgkmcnt(0)
	s_bitcmp1_b32 s19, 0
	s_cselect_b32 s0, -1, 0
	s_and_b32 vcc_lo, exec_lo, s0
	s_xor_b32 s0, s0, -1
	s_cbranch_vccnz .LBB3_2
; %bb.1:
	s_load_dword s16, s[16:17], 0x0
.LBB3_2:
	s_andn2_b32 vcc_lo, exec_lo, s0
	s_cbranch_vccnz .LBB3_4
; %bb.3:
	s_load_dword s2, s[2:3], 0x0
.LBB3_4:
	s_waitcnt lgkmcnt(0)
	v_cmp_eq_f32_e64 s0, s16, 0
	v_cmp_eq_f32_e64 s1, s2, 1.0
	s_and_b32 s0, s0, s1
	s_and_b32 vcc_lo, exec_lo, s0
	s_cbranch_vccnz .LBB3_23
; %bb.5:
	s_load_dwordx2 s[0:1], s[4:5], 0x0
	v_lshrrev_b32_e32 v1, 5, v0
	v_lshl_or_b32 v1, s6, 2, v1
	s_waitcnt lgkmcnt(0)
	v_cmp_gt_i32_e32 vcc_lo, s0, v1
	s_and_saveexec_b32 s0, vcc_lo
	s_cbranch_execz .LBB3_23
; %bb.6:
	s_load_dwordx8 s[8:15], s[4:5], 0x10
	v_ashrrev_i32_e32 v2, 31, v1
	v_and_b32_e32 v0, 31, v0
	s_cmp_lg_u32 s1, 0
	v_lshlrev_b64 v[2:3], 2, v[1:2]
	s_waitcnt lgkmcnt(0)
	v_add_co_u32 v2, vcc_lo, s8, v2
	v_add_co_ci_u32_e64 v3, null, s9, v3, vcc_lo
	global_load_dwordx2 v[2:3], v[2:3], off
	s_waitcnt vmcnt(0)
	v_subrev_nc_u32_e32 v2, s18, v2
	v_subrev_nc_u32_e32 v9, s18, v3
	v_add_nc_u32_e32 v2, v2, v0
	v_cmp_lt_i32_e64 s0, v2, v9
	s_cbranch_scc0 .LBB3_12
; %bb.7:
	v_mov_b32_e32 v7, 0
	v_mov_b32_e32 v8, 0
	s_and_saveexec_b32 s1, s0
	s_cbranch_execz .LBB3_11
; %bb.8:
	v_mov_b32_e32 v4, 0
	v_lshlrev_b32_e32 v3, 1, v2
	v_mov_b32_e32 v5, v2
	s_mov_b32 s3, 0
	v_mov_b32_e32 v7, v4
	v_mov_b32_e32 v8, v4
	s_inst_prefetch 0x1
	.p2align	6
.LBB3_9:                                ; =>This Inner Loop Header: Depth=1
	v_ashrrev_i32_e32 v6, 31, v5
	v_mov_b32_e32 v13, v4
	v_lshlrev_b64 v[10:11], 2, v[5:6]
	v_add_nc_u32_e32 v5, 32, v5
	v_add_co_u32 v10, vcc_lo, s10, v10
	v_add_co_ci_u32_e64 v11, null, s11, v11, vcc_lo
	global_load_dword v6, v[10:11], off
	v_lshlrev_b64 v[10:11], 2, v[3:4]
	v_add_nc_u32_e32 v3, 64, v3
	v_add_co_u32 v10, vcc_lo, s12, v10
	v_add_co_ci_u32_e64 v11, null, s13, v11, vcc_lo
	s_waitcnt vmcnt(0)
	v_subrev_nc_u32_e32 v12, s18, v6
	v_lshlrev_b64 v[12:13], 2, v[12:13]
	v_add_co_u32 v12, vcc_lo, s14, v12
	v_add_co_ci_u32_e64 v13, null, s15, v13, vcc_lo
	v_cmp_ge_i32_e32 vcc_lo, v5, v9
	global_load_dwordx2 v[10:11], v[10:11], off
	global_load_dword v6, v[12:13], off
	s_or_b32 s3, vcc_lo, s3
	s_waitcnt vmcnt(0)
	v_fmac_f32_e32 v7, v10, v6
	v_fmac_f32_e32 v8, v11, v6
	s_andn2_b32 exec_lo, exec_lo, s3
	s_cbranch_execnz .LBB3_9
; %bb.10:
	s_inst_prefetch 0x2
	s_or_b32 exec_lo, exec_lo, s3
.LBB3_11:
	s_or_b32 exec_lo, exec_lo, s1
	s_cbranch_execz .LBB3_13
	s_branch .LBB3_18
.LBB3_12:
                                        ; implicit-def: $vgpr7
                                        ; implicit-def: $vgpr8
.LBB3_13:
	v_mov_b32_e32 v7, 0
	v_mov_b32_e32 v8, 0
	s_and_saveexec_b32 s1, s0
	s_cbranch_execz .LBB3_17
; %bb.14:
	v_mov_b32_e32 v5, 0
	v_lshlrev_b32_e32 v4, 1, v2
	s_mov_b32 s0, 0
	v_mov_b32_e32 v7, v5
	v_mov_b32_e32 v8, v5
	s_inst_prefetch 0x1
	.p2align	6
.LBB3_15:                               ; =>This Inner Loop Header: Depth=1
	v_ashrrev_i32_e32 v3, 31, v2
	v_mov_b32_e32 v13, v5
	v_lshlrev_b64 v[10:11], 2, v[2:3]
	v_add_nc_u32_e32 v2, 32, v2
	v_add_co_u32 v10, vcc_lo, s10, v10
	v_add_co_ci_u32_e64 v11, null, s11, v11, vcc_lo
	global_load_dword v3, v[10:11], off
	v_lshlrev_b64 v[10:11], 2, v[4:5]
	v_add_nc_u32_e32 v4, 64, v4
	v_add_co_u32 v10, vcc_lo, s12, v10
	v_add_co_ci_u32_e64 v11, null, s13, v11, vcc_lo
	s_waitcnt vmcnt(0)
	v_subrev_nc_u32_e32 v12, s18, v3
	v_lshlrev_b64 v[12:13], 2, v[12:13]
	v_add_co_u32 v12, vcc_lo, s14, v12
	v_add_co_ci_u32_e64 v13, null, s15, v13, vcc_lo
	v_cmp_ge_i32_e32 vcc_lo, v2, v9
	global_load_dwordx2 v[10:11], v[10:11], off
	global_load_dword v3, v[12:13], off
	s_or_b32 s0, vcc_lo, s0
	s_waitcnt vmcnt(0)
	v_fmac_f32_e32 v7, v10, v3
	v_fmac_f32_e32 v8, v11, v3
	s_andn2_b32 exec_lo, exec_lo, s0
	s_cbranch_execnz .LBB3_15
; %bb.16:
	s_inst_prefetch 0x2
	s_or_b32 exec_lo, exec_lo, s0
.LBB3_17:
	s_or_b32 exec_lo, exec_lo, s1
.LBB3_18:
	v_mbcnt_lo_u32_b32 v2, -1, 0
	s_mov_b32 s3, -1
	v_xor_b32_e32 v3, 16, v2
	v_xor_b32_e32 v5, 8, v2
	v_cmp_gt_i32_e32 vcc_lo, 32, v3
	v_cndmask_b32_e32 v3, v2, v3, vcc_lo
	v_cmp_gt_i32_e32 vcc_lo, 32, v5
	v_lshlrev_b32_e32 v3, 2, v3
	v_cndmask_b32_e32 v5, v2, v5, vcc_lo
	ds_bpermute_b32 v4, v3, v7
	ds_bpermute_b32 v3, v3, v8
	v_lshlrev_b32_e32 v5, 2, v5
	s_waitcnt lgkmcnt(1)
	v_add_f32_e32 v4, v7, v4
	s_waitcnt lgkmcnt(0)
	v_add_f32_e32 v3, v8, v3
	v_xor_b32_e32 v7, 4, v2
	ds_bpermute_b32 v6, v5, v4
	ds_bpermute_b32 v5, v5, v3
	v_cmp_gt_i32_e32 vcc_lo, 32, v7
	v_cndmask_b32_e32 v7, v2, v7, vcc_lo
	v_lshlrev_b32_e32 v7, 2, v7
	s_waitcnt lgkmcnt(1)
	v_add_f32_e32 v4, v4, v6
	s_waitcnt lgkmcnt(0)
	v_add_f32_e32 v3, v3, v5
	ds_bpermute_b32 v5, v7, v4
	ds_bpermute_b32 v6, v7, v3
	v_xor_b32_e32 v7, 2, v2
	v_cmp_gt_i32_e32 vcc_lo, 32, v7
	v_cndmask_b32_e32 v7, v2, v7, vcc_lo
	v_lshlrev_b32_e32 v7, 2, v7
	s_waitcnt lgkmcnt(1)
	v_add_f32_e32 v4, v4, v5
	s_waitcnt lgkmcnt(0)
	v_add_f32_e32 v3, v3, v6
	ds_bpermute_b32 v5, v7, v4
	ds_bpermute_b32 v6, v7, v3
	v_xor_b32_e32 v7, 1, v2
	v_cmp_gt_i32_e32 vcc_lo, 32, v7
	v_cndmask_b32_e32 v2, v2, v7, vcc_lo
	v_cmp_eq_u32_e32 vcc_lo, 31, v0
	v_lshlrev_b32_e32 v7, 2, v2
	s_waitcnt lgkmcnt(1)
	v_add_f32_e32 v2, v4, v5
	s_waitcnt lgkmcnt(0)
	v_add_f32_e32 v3, v3, v6
	ds_bpermute_b32 v4, v7, v2
	ds_bpermute_b32 v5, v7, v3
	s_and_b32 exec_lo, exec_lo, vcc_lo
	s_cbranch_execz .LBB3_23
; %bb.19:
	s_load_dwordx2 s[0:1], s[4:5], 0x38
	s_waitcnt lgkmcnt(0)
	v_add_f32_e32 v0, v2, v4
	v_add_f32_e32 v3, v3, v5
	v_cmp_eq_f32_e64 s4, s2, 0
	v_mul_f32_e32 v2, s16, v0
	v_mul_f32_e32 v3, s16, v3
	v_lshlrev_b32_e32 v0, 1, v1
	s_and_b32 vcc_lo, exec_lo, s4
	s_cbranch_vccz .LBB3_21
; %bb.20:
	v_ashrrev_i32_e32 v1, 31, v0
	s_mov_b32 s3, 0
	v_lshlrev_b64 v[4:5], 2, v[0:1]
	v_add_co_u32 v4, vcc_lo, s0, v4
	v_add_co_ci_u32_e64 v5, null, s1, v5, vcc_lo
	global_store_dwordx2 v[4:5], v[2:3], off
.LBB3_21:
	s_andn2_b32 vcc_lo, exec_lo, s3
	s_cbranch_vccnz .LBB3_23
; %bb.22:
	v_ashrrev_i32_e32 v1, 31, v0
	v_lshlrev_b64 v[0:1], 2, v[0:1]
	v_add_co_u32 v0, vcc_lo, s0, v0
	v_add_co_ci_u32_e64 v1, null, s1, v1, vcc_lo
	global_load_dwordx2 v[4:5], v[0:1], off
	s_waitcnt vmcnt(0)
	v_fmac_f32_e32 v2, s2, v4
	v_fmac_f32_e32 v3, s2, v5
	global_store_dwordx2 v[0:1], v[2:3], off
.LBB3_23:
	s_endpgm
	.section	.rodata,"a",@progbits
	.p2align	6, 0x0
	.amdhsa_kernel _ZN9rocsparseL19gebsrmvn_2xn_kernelILj128ELj1ELj32EfEEvi20rocsparse_direction_NS_24const_host_device_scalarIT2_EEPKiS6_PKS3_S8_S4_PS3_21rocsparse_index_base_b
		.amdhsa_group_segment_fixed_size 0
		.amdhsa_private_segment_fixed_size 0
		.amdhsa_kernarg_size 72
		.amdhsa_user_sgpr_count 6
		.amdhsa_user_sgpr_private_segment_buffer 1
		.amdhsa_user_sgpr_dispatch_ptr 0
		.amdhsa_user_sgpr_queue_ptr 0
		.amdhsa_user_sgpr_kernarg_segment_ptr 1
		.amdhsa_user_sgpr_dispatch_id 0
		.amdhsa_user_sgpr_flat_scratch_init 0
		.amdhsa_user_sgpr_private_segment_size 0
		.amdhsa_wavefront_size32 1
		.amdhsa_uses_dynamic_stack 0
		.amdhsa_system_sgpr_private_segment_wavefront_offset 0
		.amdhsa_system_sgpr_workgroup_id_x 1
		.amdhsa_system_sgpr_workgroup_id_y 0
		.amdhsa_system_sgpr_workgroup_id_z 0
		.amdhsa_system_sgpr_workgroup_info 0
		.amdhsa_system_vgpr_workitem_id 0
		.amdhsa_next_free_vgpr 14
		.amdhsa_next_free_sgpr 20
		.amdhsa_reserve_vcc 1
		.amdhsa_reserve_flat_scratch 0
		.amdhsa_float_round_mode_32 0
		.amdhsa_float_round_mode_16_64 0
		.amdhsa_float_denorm_mode_32 3
		.amdhsa_float_denorm_mode_16_64 3
		.amdhsa_dx10_clamp 1
		.amdhsa_ieee_mode 1
		.amdhsa_fp16_overflow 0
		.amdhsa_workgroup_processor_mode 1
		.amdhsa_memory_ordered 1
		.amdhsa_forward_progress 1
		.amdhsa_shared_vgpr_count 0
		.amdhsa_exception_fp_ieee_invalid_op 0
		.amdhsa_exception_fp_denorm_src 0
		.amdhsa_exception_fp_ieee_div_zero 0
		.amdhsa_exception_fp_ieee_overflow 0
		.amdhsa_exception_fp_ieee_underflow 0
		.amdhsa_exception_fp_ieee_inexact 0
		.amdhsa_exception_int_div_zero 0
	.end_amdhsa_kernel
	.section	.text._ZN9rocsparseL19gebsrmvn_2xn_kernelILj128ELj1ELj32EfEEvi20rocsparse_direction_NS_24const_host_device_scalarIT2_EEPKiS6_PKS3_S8_S4_PS3_21rocsparse_index_base_b,"axG",@progbits,_ZN9rocsparseL19gebsrmvn_2xn_kernelILj128ELj1ELj32EfEEvi20rocsparse_direction_NS_24const_host_device_scalarIT2_EEPKiS6_PKS3_S8_S4_PS3_21rocsparse_index_base_b,comdat
.Lfunc_end3:
	.size	_ZN9rocsparseL19gebsrmvn_2xn_kernelILj128ELj1ELj32EfEEvi20rocsparse_direction_NS_24const_host_device_scalarIT2_EEPKiS6_PKS3_S8_S4_PS3_21rocsparse_index_base_b, .Lfunc_end3-_ZN9rocsparseL19gebsrmvn_2xn_kernelILj128ELj1ELj32EfEEvi20rocsparse_direction_NS_24const_host_device_scalarIT2_EEPKiS6_PKS3_S8_S4_PS3_21rocsparse_index_base_b
                                        ; -- End function
	.set _ZN9rocsparseL19gebsrmvn_2xn_kernelILj128ELj1ELj32EfEEvi20rocsparse_direction_NS_24const_host_device_scalarIT2_EEPKiS6_PKS3_S8_S4_PS3_21rocsparse_index_base_b.num_vgpr, 14
	.set _ZN9rocsparseL19gebsrmvn_2xn_kernelILj128ELj1ELj32EfEEvi20rocsparse_direction_NS_24const_host_device_scalarIT2_EEPKiS6_PKS3_S8_S4_PS3_21rocsparse_index_base_b.num_agpr, 0
	.set _ZN9rocsparseL19gebsrmvn_2xn_kernelILj128ELj1ELj32EfEEvi20rocsparse_direction_NS_24const_host_device_scalarIT2_EEPKiS6_PKS3_S8_S4_PS3_21rocsparse_index_base_b.numbered_sgpr, 20
	.set _ZN9rocsparseL19gebsrmvn_2xn_kernelILj128ELj1ELj32EfEEvi20rocsparse_direction_NS_24const_host_device_scalarIT2_EEPKiS6_PKS3_S8_S4_PS3_21rocsparse_index_base_b.num_named_barrier, 0
	.set _ZN9rocsparseL19gebsrmvn_2xn_kernelILj128ELj1ELj32EfEEvi20rocsparse_direction_NS_24const_host_device_scalarIT2_EEPKiS6_PKS3_S8_S4_PS3_21rocsparse_index_base_b.private_seg_size, 0
	.set _ZN9rocsparseL19gebsrmvn_2xn_kernelILj128ELj1ELj32EfEEvi20rocsparse_direction_NS_24const_host_device_scalarIT2_EEPKiS6_PKS3_S8_S4_PS3_21rocsparse_index_base_b.uses_vcc, 1
	.set _ZN9rocsparseL19gebsrmvn_2xn_kernelILj128ELj1ELj32EfEEvi20rocsparse_direction_NS_24const_host_device_scalarIT2_EEPKiS6_PKS3_S8_S4_PS3_21rocsparse_index_base_b.uses_flat_scratch, 0
	.set _ZN9rocsparseL19gebsrmvn_2xn_kernelILj128ELj1ELj32EfEEvi20rocsparse_direction_NS_24const_host_device_scalarIT2_EEPKiS6_PKS3_S8_S4_PS3_21rocsparse_index_base_b.has_dyn_sized_stack, 0
	.set _ZN9rocsparseL19gebsrmvn_2xn_kernelILj128ELj1ELj32EfEEvi20rocsparse_direction_NS_24const_host_device_scalarIT2_EEPKiS6_PKS3_S8_S4_PS3_21rocsparse_index_base_b.has_recursion, 0
	.set _ZN9rocsparseL19gebsrmvn_2xn_kernelILj128ELj1ELj32EfEEvi20rocsparse_direction_NS_24const_host_device_scalarIT2_EEPKiS6_PKS3_S8_S4_PS3_21rocsparse_index_base_b.has_indirect_call, 0
	.section	.AMDGPU.csdata,"",@progbits
; Kernel info:
; codeLenInByte = 1140
; TotalNumSgprs: 22
; NumVgprs: 14
; ScratchSize: 0
; MemoryBound: 0
; FloatMode: 240
; IeeeMode: 1
; LDSByteSize: 0 bytes/workgroup (compile time only)
; SGPRBlocks: 0
; VGPRBlocks: 1
; NumSGPRsForWavesPerEU: 22
; NumVGPRsForWavesPerEU: 14
; Occupancy: 16
; WaveLimiterHint : 1
; COMPUTE_PGM_RSRC2:SCRATCH_EN: 0
; COMPUTE_PGM_RSRC2:USER_SGPR: 6
; COMPUTE_PGM_RSRC2:TRAP_HANDLER: 0
; COMPUTE_PGM_RSRC2:TGID_X_EN: 1
; COMPUTE_PGM_RSRC2:TGID_Y_EN: 0
; COMPUTE_PGM_RSRC2:TGID_Z_EN: 0
; COMPUTE_PGM_RSRC2:TIDIG_COMP_CNT: 0
	.section	.text._ZN9rocsparseL19gebsrmvn_2xn_kernelILj128ELj1ELj64EfEEvi20rocsparse_direction_NS_24const_host_device_scalarIT2_EEPKiS6_PKS3_S8_S4_PS3_21rocsparse_index_base_b,"axG",@progbits,_ZN9rocsparseL19gebsrmvn_2xn_kernelILj128ELj1ELj64EfEEvi20rocsparse_direction_NS_24const_host_device_scalarIT2_EEPKiS6_PKS3_S8_S4_PS3_21rocsparse_index_base_b,comdat
	.globl	_ZN9rocsparseL19gebsrmvn_2xn_kernelILj128ELj1ELj64EfEEvi20rocsparse_direction_NS_24const_host_device_scalarIT2_EEPKiS6_PKS3_S8_S4_PS3_21rocsparse_index_base_b ; -- Begin function _ZN9rocsparseL19gebsrmvn_2xn_kernelILj128ELj1ELj64EfEEvi20rocsparse_direction_NS_24const_host_device_scalarIT2_EEPKiS6_PKS3_S8_S4_PS3_21rocsparse_index_base_b
	.p2align	8
	.type	_ZN9rocsparseL19gebsrmvn_2xn_kernelILj128ELj1ELj64EfEEvi20rocsparse_direction_NS_24const_host_device_scalarIT2_EEPKiS6_PKS3_S8_S4_PS3_21rocsparse_index_base_b,@function
_ZN9rocsparseL19gebsrmvn_2xn_kernelILj128ELj1ELj64EfEEvi20rocsparse_direction_NS_24const_host_device_scalarIT2_EEPKiS6_PKS3_S8_S4_PS3_21rocsparse_index_base_b: ; @_ZN9rocsparseL19gebsrmvn_2xn_kernelILj128ELj1ELj64EfEEvi20rocsparse_direction_NS_24const_host_device_scalarIT2_EEPKiS6_PKS3_S8_S4_PS3_21rocsparse_index_base_b
; %bb.0:
	s_clause 0x2
	s_load_dwordx2 s[18:19], s[4:5], 0x40
	s_load_dwordx2 s[16:17], s[4:5], 0x8
	;; [unrolled: 1-line block ×3, first 2 shown]
	s_waitcnt lgkmcnt(0)
	s_bitcmp1_b32 s19, 0
	s_cselect_b32 s0, -1, 0
	s_and_b32 vcc_lo, exec_lo, s0
	s_xor_b32 s0, s0, -1
	s_cbranch_vccnz .LBB4_2
; %bb.1:
	s_load_dword s16, s[16:17], 0x0
.LBB4_2:
	s_andn2_b32 vcc_lo, exec_lo, s0
	s_cbranch_vccnz .LBB4_4
; %bb.3:
	s_load_dword s2, s[2:3], 0x0
.LBB4_4:
	s_waitcnt lgkmcnt(0)
	v_cmp_eq_f32_e64 s0, s16, 0
	v_cmp_eq_f32_e64 s1, s2, 1.0
	s_and_b32 s0, s0, s1
	s_and_b32 vcc_lo, exec_lo, s0
	s_cbranch_vccnz .LBB4_23
; %bb.5:
	s_load_dwordx2 s[0:1], s[4:5], 0x0
	v_lshrrev_b32_e32 v1, 6, v0
	v_lshl_or_b32 v1, s6, 1, v1
	s_waitcnt lgkmcnt(0)
	v_cmp_gt_i32_e32 vcc_lo, s0, v1
	s_and_saveexec_b32 s0, vcc_lo
	s_cbranch_execz .LBB4_23
; %bb.6:
	s_load_dwordx8 s[8:15], s[4:5], 0x10
	v_ashrrev_i32_e32 v2, 31, v1
	v_and_b32_e32 v0, 63, v0
	s_cmp_lg_u32 s1, 0
	v_lshlrev_b64 v[2:3], 2, v[1:2]
	s_waitcnt lgkmcnt(0)
	v_add_co_u32 v2, vcc_lo, s8, v2
	v_add_co_ci_u32_e64 v3, null, s9, v3, vcc_lo
	global_load_dwordx2 v[2:3], v[2:3], off
	s_waitcnt vmcnt(0)
	v_subrev_nc_u32_e32 v2, s18, v2
	v_subrev_nc_u32_e32 v9, s18, v3
	v_add_nc_u32_e32 v2, v2, v0
	v_cmp_lt_i32_e64 s0, v2, v9
	s_cbranch_scc0 .LBB4_12
; %bb.7:
	v_mov_b32_e32 v7, 0
	v_mov_b32_e32 v8, 0
	s_and_saveexec_b32 s1, s0
	s_cbranch_execz .LBB4_11
; %bb.8:
	v_mov_b32_e32 v4, 0
	v_lshlrev_b32_e32 v3, 1, v2
	v_mov_b32_e32 v5, v2
	s_mov_b32 s3, 0
	v_mov_b32_e32 v7, v4
	v_mov_b32_e32 v8, v4
	s_inst_prefetch 0x1
	.p2align	6
.LBB4_9:                                ; =>This Inner Loop Header: Depth=1
	v_ashrrev_i32_e32 v6, 31, v5
	v_mov_b32_e32 v13, v4
	v_lshlrev_b64 v[10:11], 2, v[5:6]
	v_add_nc_u32_e32 v5, 64, v5
	v_add_co_u32 v10, vcc_lo, s10, v10
	v_add_co_ci_u32_e64 v11, null, s11, v11, vcc_lo
	global_load_dword v6, v[10:11], off
	v_lshlrev_b64 v[10:11], 2, v[3:4]
	v_add_nc_u32_e32 v3, 0x80, v3
	v_add_co_u32 v10, vcc_lo, s12, v10
	v_add_co_ci_u32_e64 v11, null, s13, v11, vcc_lo
	s_waitcnt vmcnt(0)
	v_subrev_nc_u32_e32 v12, s18, v6
	v_lshlrev_b64 v[12:13], 2, v[12:13]
	v_add_co_u32 v12, vcc_lo, s14, v12
	v_add_co_ci_u32_e64 v13, null, s15, v13, vcc_lo
	v_cmp_ge_i32_e32 vcc_lo, v5, v9
	global_load_dwordx2 v[10:11], v[10:11], off
	global_load_dword v6, v[12:13], off
	s_or_b32 s3, vcc_lo, s3
	s_waitcnt vmcnt(0)
	v_fmac_f32_e32 v7, v10, v6
	v_fmac_f32_e32 v8, v11, v6
	s_andn2_b32 exec_lo, exec_lo, s3
	s_cbranch_execnz .LBB4_9
; %bb.10:
	s_inst_prefetch 0x2
	s_or_b32 exec_lo, exec_lo, s3
.LBB4_11:
	s_or_b32 exec_lo, exec_lo, s1
	s_cbranch_execz .LBB4_13
	s_branch .LBB4_18
.LBB4_12:
                                        ; implicit-def: $vgpr7
                                        ; implicit-def: $vgpr8
.LBB4_13:
	v_mov_b32_e32 v7, 0
	v_mov_b32_e32 v8, 0
	s_and_saveexec_b32 s1, s0
	s_cbranch_execz .LBB4_17
; %bb.14:
	v_mov_b32_e32 v5, 0
	v_lshlrev_b32_e32 v4, 1, v2
	s_mov_b32 s0, 0
	v_mov_b32_e32 v7, v5
	v_mov_b32_e32 v8, v5
	s_inst_prefetch 0x1
	.p2align	6
.LBB4_15:                               ; =>This Inner Loop Header: Depth=1
	v_ashrrev_i32_e32 v3, 31, v2
	v_mov_b32_e32 v13, v5
	v_lshlrev_b64 v[10:11], 2, v[2:3]
	v_add_nc_u32_e32 v2, 64, v2
	v_add_co_u32 v10, vcc_lo, s10, v10
	v_add_co_ci_u32_e64 v11, null, s11, v11, vcc_lo
	global_load_dword v3, v[10:11], off
	v_lshlrev_b64 v[10:11], 2, v[4:5]
	v_add_nc_u32_e32 v4, 0x80, v4
	v_add_co_u32 v10, vcc_lo, s12, v10
	v_add_co_ci_u32_e64 v11, null, s13, v11, vcc_lo
	s_waitcnt vmcnt(0)
	v_subrev_nc_u32_e32 v12, s18, v3
	v_lshlrev_b64 v[12:13], 2, v[12:13]
	v_add_co_u32 v12, vcc_lo, s14, v12
	v_add_co_ci_u32_e64 v13, null, s15, v13, vcc_lo
	v_cmp_ge_i32_e32 vcc_lo, v2, v9
	global_load_dwordx2 v[10:11], v[10:11], off
	global_load_dword v3, v[12:13], off
	s_or_b32 s0, vcc_lo, s0
	s_waitcnt vmcnt(0)
	v_fmac_f32_e32 v7, v10, v3
	v_fmac_f32_e32 v8, v11, v3
	s_andn2_b32 exec_lo, exec_lo, s0
	s_cbranch_execnz .LBB4_15
; %bb.16:
	s_inst_prefetch 0x2
	s_or_b32 exec_lo, exec_lo, s0
.LBB4_17:
	s_or_b32 exec_lo, exec_lo, s1
.LBB4_18:
	v_mbcnt_lo_u32_b32 v2, -1, 0
	s_mov_b32 s3, -1
	v_or_b32_e32 v3, 32, v2
	v_xor_b32_e32 v5, 16, v2
	v_cmp_gt_i32_e32 vcc_lo, 32, v3
	v_cndmask_b32_e32 v3, v2, v3, vcc_lo
	v_cmp_gt_i32_e32 vcc_lo, 32, v5
	v_lshlrev_b32_e32 v3, 2, v3
	v_cndmask_b32_e32 v5, v2, v5, vcc_lo
	ds_bpermute_b32 v4, v3, v7
	ds_bpermute_b32 v3, v3, v8
	v_lshlrev_b32_e32 v5, 2, v5
	s_waitcnt lgkmcnt(1)
	v_add_f32_e32 v4, v7, v4
	s_waitcnt lgkmcnt(0)
	v_add_f32_e32 v3, v8, v3
	v_xor_b32_e32 v7, 8, v2
	ds_bpermute_b32 v6, v5, v4
	ds_bpermute_b32 v5, v5, v3
	v_cmp_gt_i32_e32 vcc_lo, 32, v7
	v_cndmask_b32_e32 v7, v2, v7, vcc_lo
	v_lshlrev_b32_e32 v7, 2, v7
	s_waitcnt lgkmcnt(1)
	v_add_f32_e32 v4, v4, v6
	s_waitcnt lgkmcnt(0)
	v_add_f32_e32 v3, v3, v5
	ds_bpermute_b32 v5, v7, v4
	ds_bpermute_b32 v6, v7, v3
	v_xor_b32_e32 v7, 4, v2
	v_cmp_gt_i32_e32 vcc_lo, 32, v7
	v_cndmask_b32_e32 v7, v2, v7, vcc_lo
	v_lshlrev_b32_e32 v7, 2, v7
	s_waitcnt lgkmcnt(1)
	v_add_f32_e32 v4, v4, v5
	s_waitcnt lgkmcnt(0)
	v_add_f32_e32 v3, v3, v6
	ds_bpermute_b32 v5, v7, v4
	ds_bpermute_b32 v6, v7, v3
	v_xor_b32_e32 v7, 2, v2
	;; [unrolled: 10-line block ×3, first 2 shown]
	v_cmp_gt_i32_e32 vcc_lo, 32, v7
	v_cndmask_b32_e32 v2, v2, v7, vcc_lo
	v_cmp_eq_u32_e32 vcc_lo, 63, v0
	v_lshlrev_b32_e32 v7, 2, v2
	s_waitcnt lgkmcnt(1)
	v_add_f32_e32 v2, v4, v5
	s_waitcnt lgkmcnt(0)
	v_add_f32_e32 v3, v3, v6
	ds_bpermute_b32 v4, v7, v2
	ds_bpermute_b32 v5, v7, v3
	s_and_b32 exec_lo, exec_lo, vcc_lo
	s_cbranch_execz .LBB4_23
; %bb.19:
	s_load_dwordx2 s[0:1], s[4:5], 0x38
	s_waitcnt lgkmcnt(0)
	v_add_f32_e32 v0, v2, v4
	v_add_f32_e32 v3, v3, v5
	v_cmp_eq_f32_e64 s4, s2, 0
	v_mul_f32_e32 v2, s16, v0
	v_mul_f32_e32 v3, s16, v3
	v_lshlrev_b32_e32 v0, 1, v1
	s_and_b32 vcc_lo, exec_lo, s4
	s_cbranch_vccz .LBB4_21
; %bb.20:
	v_ashrrev_i32_e32 v1, 31, v0
	s_mov_b32 s3, 0
	v_lshlrev_b64 v[4:5], 2, v[0:1]
	v_add_co_u32 v4, vcc_lo, s0, v4
	v_add_co_ci_u32_e64 v5, null, s1, v5, vcc_lo
	global_store_dwordx2 v[4:5], v[2:3], off
.LBB4_21:
	s_andn2_b32 vcc_lo, exec_lo, s3
	s_cbranch_vccnz .LBB4_23
; %bb.22:
	v_ashrrev_i32_e32 v1, 31, v0
	v_lshlrev_b64 v[0:1], 2, v[0:1]
	v_add_co_u32 v0, vcc_lo, s0, v0
	v_add_co_ci_u32_e64 v1, null, s1, v1, vcc_lo
	global_load_dwordx2 v[4:5], v[0:1], off
	s_waitcnt vmcnt(0)
	v_fmac_f32_e32 v2, s2, v4
	v_fmac_f32_e32 v3, s2, v5
	global_store_dwordx2 v[0:1], v[2:3], off
.LBB4_23:
	s_endpgm
	.section	.rodata,"a",@progbits
	.p2align	6, 0x0
	.amdhsa_kernel _ZN9rocsparseL19gebsrmvn_2xn_kernelILj128ELj1ELj64EfEEvi20rocsparse_direction_NS_24const_host_device_scalarIT2_EEPKiS6_PKS3_S8_S4_PS3_21rocsparse_index_base_b
		.amdhsa_group_segment_fixed_size 0
		.amdhsa_private_segment_fixed_size 0
		.amdhsa_kernarg_size 72
		.amdhsa_user_sgpr_count 6
		.amdhsa_user_sgpr_private_segment_buffer 1
		.amdhsa_user_sgpr_dispatch_ptr 0
		.amdhsa_user_sgpr_queue_ptr 0
		.amdhsa_user_sgpr_kernarg_segment_ptr 1
		.amdhsa_user_sgpr_dispatch_id 0
		.amdhsa_user_sgpr_flat_scratch_init 0
		.amdhsa_user_sgpr_private_segment_size 0
		.amdhsa_wavefront_size32 1
		.amdhsa_uses_dynamic_stack 0
		.amdhsa_system_sgpr_private_segment_wavefront_offset 0
		.amdhsa_system_sgpr_workgroup_id_x 1
		.amdhsa_system_sgpr_workgroup_id_y 0
		.amdhsa_system_sgpr_workgroup_id_z 0
		.amdhsa_system_sgpr_workgroup_info 0
		.amdhsa_system_vgpr_workitem_id 0
		.amdhsa_next_free_vgpr 14
		.amdhsa_next_free_sgpr 20
		.amdhsa_reserve_vcc 1
		.amdhsa_reserve_flat_scratch 0
		.amdhsa_float_round_mode_32 0
		.amdhsa_float_round_mode_16_64 0
		.amdhsa_float_denorm_mode_32 3
		.amdhsa_float_denorm_mode_16_64 3
		.amdhsa_dx10_clamp 1
		.amdhsa_ieee_mode 1
		.amdhsa_fp16_overflow 0
		.amdhsa_workgroup_processor_mode 1
		.amdhsa_memory_ordered 1
		.amdhsa_forward_progress 1
		.amdhsa_shared_vgpr_count 0
		.amdhsa_exception_fp_ieee_invalid_op 0
		.amdhsa_exception_fp_denorm_src 0
		.amdhsa_exception_fp_ieee_div_zero 0
		.amdhsa_exception_fp_ieee_overflow 0
		.amdhsa_exception_fp_ieee_underflow 0
		.amdhsa_exception_fp_ieee_inexact 0
		.amdhsa_exception_int_div_zero 0
	.end_amdhsa_kernel
	.section	.text._ZN9rocsparseL19gebsrmvn_2xn_kernelILj128ELj1ELj64EfEEvi20rocsparse_direction_NS_24const_host_device_scalarIT2_EEPKiS6_PKS3_S8_S4_PS3_21rocsparse_index_base_b,"axG",@progbits,_ZN9rocsparseL19gebsrmvn_2xn_kernelILj128ELj1ELj64EfEEvi20rocsparse_direction_NS_24const_host_device_scalarIT2_EEPKiS6_PKS3_S8_S4_PS3_21rocsparse_index_base_b,comdat
.Lfunc_end4:
	.size	_ZN9rocsparseL19gebsrmvn_2xn_kernelILj128ELj1ELj64EfEEvi20rocsparse_direction_NS_24const_host_device_scalarIT2_EEPKiS6_PKS3_S8_S4_PS3_21rocsparse_index_base_b, .Lfunc_end4-_ZN9rocsparseL19gebsrmvn_2xn_kernelILj128ELj1ELj64EfEEvi20rocsparse_direction_NS_24const_host_device_scalarIT2_EEPKiS6_PKS3_S8_S4_PS3_21rocsparse_index_base_b
                                        ; -- End function
	.set _ZN9rocsparseL19gebsrmvn_2xn_kernelILj128ELj1ELj64EfEEvi20rocsparse_direction_NS_24const_host_device_scalarIT2_EEPKiS6_PKS3_S8_S4_PS3_21rocsparse_index_base_b.num_vgpr, 14
	.set _ZN9rocsparseL19gebsrmvn_2xn_kernelILj128ELj1ELj64EfEEvi20rocsparse_direction_NS_24const_host_device_scalarIT2_EEPKiS6_PKS3_S8_S4_PS3_21rocsparse_index_base_b.num_agpr, 0
	.set _ZN9rocsparseL19gebsrmvn_2xn_kernelILj128ELj1ELj64EfEEvi20rocsparse_direction_NS_24const_host_device_scalarIT2_EEPKiS6_PKS3_S8_S4_PS3_21rocsparse_index_base_b.numbered_sgpr, 20
	.set _ZN9rocsparseL19gebsrmvn_2xn_kernelILj128ELj1ELj64EfEEvi20rocsparse_direction_NS_24const_host_device_scalarIT2_EEPKiS6_PKS3_S8_S4_PS3_21rocsparse_index_base_b.num_named_barrier, 0
	.set _ZN9rocsparseL19gebsrmvn_2xn_kernelILj128ELj1ELj64EfEEvi20rocsparse_direction_NS_24const_host_device_scalarIT2_EEPKiS6_PKS3_S8_S4_PS3_21rocsparse_index_base_b.private_seg_size, 0
	.set _ZN9rocsparseL19gebsrmvn_2xn_kernelILj128ELj1ELj64EfEEvi20rocsparse_direction_NS_24const_host_device_scalarIT2_EEPKiS6_PKS3_S8_S4_PS3_21rocsparse_index_base_b.uses_vcc, 1
	.set _ZN9rocsparseL19gebsrmvn_2xn_kernelILj128ELj1ELj64EfEEvi20rocsparse_direction_NS_24const_host_device_scalarIT2_EEPKiS6_PKS3_S8_S4_PS3_21rocsparse_index_base_b.uses_flat_scratch, 0
	.set _ZN9rocsparseL19gebsrmvn_2xn_kernelILj128ELj1ELj64EfEEvi20rocsparse_direction_NS_24const_host_device_scalarIT2_EEPKiS6_PKS3_S8_S4_PS3_21rocsparse_index_base_b.has_dyn_sized_stack, 0
	.set _ZN9rocsparseL19gebsrmvn_2xn_kernelILj128ELj1ELj64EfEEvi20rocsparse_direction_NS_24const_host_device_scalarIT2_EEPKiS6_PKS3_S8_S4_PS3_21rocsparse_index_base_b.has_recursion, 0
	.set _ZN9rocsparseL19gebsrmvn_2xn_kernelILj128ELj1ELj64EfEEvi20rocsparse_direction_NS_24const_host_device_scalarIT2_EEPKiS6_PKS3_S8_S4_PS3_21rocsparse_index_base_b.has_indirect_call, 0
	.section	.AMDGPU.csdata,"",@progbits
; Kernel info:
; codeLenInByte = 1192
; TotalNumSgprs: 22
; NumVgprs: 14
; ScratchSize: 0
; MemoryBound: 0
; FloatMode: 240
; IeeeMode: 1
; LDSByteSize: 0 bytes/workgroup (compile time only)
; SGPRBlocks: 0
; VGPRBlocks: 1
; NumSGPRsForWavesPerEU: 22
; NumVGPRsForWavesPerEU: 14
; Occupancy: 16
; WaveLimiterHint : 1
; COMPUTE_PGM_RSRC2:SCRATCH_EN: 0
; COMPUTE_PGM_RSRC2:USER_SGPR: 6
; COMPUTE_PGM_RSRC2:TRAP_HANDLER: 0
; COMPUTE_PGM_RSRC2:TGID_X_EN: 1
; COMPUTE_PGM_RSRC2:TGID_Y_EN: 0
; COMPUTE_PGM_RSRC2:TGID_Z_EN: 0
; COMPUTE_PGM_RSRC2:TIDIG_COMP_CNT: 0
	.section	.text._ZN9rocsparseL19gebsrmvn_2xn_kernelILj128ELj3ELj4EfEEvi20rocsparse_direction_NS_24const_host_device_scalarIT2_EEPKiS6_PKS3_S8_S4_PS3_21rocsparse_index_base_b,"axG",@progbits,_ZN9rocsparseL19gebsrmvn_2xn_kernelILj128ELj3ELj4EfEEvi20rocsparse_direction_NS_24const_host_device_scalarIT2_EEPKiS6_PKS3_S8_S4_PS3_21rocsparse_index_base_b,comdat
	.globl	_ZN9rocsparseL19gebsrmvn_2xn_kernelILj128ELj3ELj4EfEEvi20rocsparse_direction_NS_24const_host_device_scalarIT2_EEPKiS6_PKS3_S8_S4_PS3_21rocsparse_index_base_b ; -- Begin function _ZN9rocsparseL19gebsrmvn_2xn_kernelILj128ELj3ELj4EfEEvi20rocsparse_direction_NS_24const_host_device_scalarIT2_EEPKiS6_PKS3_S8_S4_PS3_21rocsparse_index_base_b
	.p2align	8
	.type	_ZN9rocsparseL19gebsrmvn_2xn_kernelILj128ELj3ELj4EfEEvi20rocsparse_direction_NS_24const_host_device_scalarIT2_EEPKiS6_PKS3_S8_S4_PS3_21rocsparse_index_base_b,@function
_ZN9rocsparseL19gebsrmvn_2xn_kernelILj128ELj3ELj4EfEEvi20rocsparse_direction_NS_24const_host_device_scalarIT2_EEPKiS6_PKS3_S8_S4_PS3_21rocsparse_index_base_b: ; @_ZN9rocsparseL19gebsrmvn_2xn_kernelILj128ELj3ELj4EfEEvi20rocsparse_direction_NS_24const_host_device_scalarIT2_EEPKiS6_PKS3_S8_S4_PS3_21rocsparse_index_base_b
; %bb.0:
	s_clause 0x2
	s_load_dwordx2 s[18:19], s[4:5], 0x40
	s_load_dwordx2 s[16:17], s[4:5], 0x8
	;; [unrolled: 1-line block ×3, first 2 shown]
	s_waitcnt lgkmcnt(0)
	s_bitcmp1_b32 s19, 0
	s_cselect_b32 s0, -1, 0
	s_and_b32 vcc_lo, exec_lo, s0
	s_xor_b32 s0, s0, -1
	s_cbranch_vccnz .LBB5_2
; %bb.1:
	s_load_dword s16, s[16:17], 0x0
.LBB5_2:
	s_andn2_b32 vcc_lo, exec_lo, s0
	s_cbranch_vccnz .LBB5_4
; %bb.3:
	s_load_dword s2, s[2:3], 0x0
.LBB5_4:
	s_waitcnt lgkmcnt(0)
	v_cmp_eq_f32_e64 s0, s16, 0
	v_cmp_eq_f32_e64 s1, s2, 1.0
	s_and_b32 s0, s0, s1
	s_and_b32 vcc_lo, exec_lo, s0
	s_cbranch_vccnz .LBB5_23
; %bb.5:
	s_load_dwordx2 s[0:1], s[4:5], 0x0
	v_lshrrev_b32_e32 v1, 2, v0
	v_lshl_or_b32 v1, s6, 5, v1
	s_waitcnt lgkmcnt(0)
	v_cmp_gt_i32_e32 vcc_lo, s0, v1
	s_and_saveexec_b32 s0, vcc_lo
	s_cbranch_execz .LBB5_23
; %bb.6:
	s_load_dwordx8 s[8:15], s[4:5], 0x10
	v_ashrrev_i32_e32 v2, 31, v1
	v_and_b32_e32 v0, 3, v0
	s_cmp_lg_u32 s1, 0
	v_lshlrev_b64 v[2:3], 2, v[1:2]
	s_waitcnt lgkmcnt(0)
	v_add_co_u32 v2, vcc_lo, s8, v2
	v_add_co_ci_u32_e64 v3, null, s9, v3, vcc_lo
	global_load_dwordx2 v[2:3], v[2:3], off
	s_waitcnt vmcnt(0)
	v_subrev_nc_u32_e32 v2, s18, v2
	v_subrev_nc_u32_e32 v10, s18, v3
	v_add_nc_u32_e32 v2, v2, v0
	v_cmp_lt_i32_e64 s0, v2, v10
	s_cbranch_scc0 .LBB5_12
; %bb.7:
	v_mov_b32_e32 v8, 0
	v_mov_b32_e32 v9, 0
	s_and_saveexec_b32 s1, s0
	s_cbranch_execz .LBB5_11
; %bb.8:
	v_mov_b32_e32 v4, 0
	v_mul_lo_u32 v3, v2, 6
	v_mov_b32_e32 v5, v2
	s_mov_b32 s3, 0
	v_mov_b32_e32 v8, v4
	v_mov_b32_e32 v9, v4
.LBB5_9:                                ; =>This Inner Loop Header: Depth=1
	v_ashrrev_i32_e32 v6, 31, v5
	v_add_nc_u32_e32 v11, 2, v3
	v_mov_b32_e32 v12, v4
	v_add_nc_u32_e32 v13, 4, v3
	v_mov_b32_e32 v14, v4
	v_lshlrev_b64 v[6:7], 2, v[5:6]
	v_mov_b32_e32 v15, v4
	v_lshlrev_b64 v[11:12], 2, v[11:12]
	;; [unrolled: 2-line block ×3, first 2 shown]
	v_mov_b32_e32 v19, v4
	v_add_co_u32 v6, vcc_lo, s10, v6
	v_add_co_ci_u32_e64 v7, null, s11, v7, vcc_lo
	v_add_nc_u32_e32 v5, 4, v5
	global_load_dword v16, v[6:7], off
	v_lshlrev_b64 v[6:7], 2, v[3:4]
	v_add_nc_u32_e32 v3, 24, v3
	v_add_co_u32 v6, vcc_lo, s12, v6
	v_add_co_ci_u32_e64 v7, null, s13, v7, vcc_lo
	v_add_co_u32 v11, vcc_lo, s12, v11
	v_add_co_ci_u32_e64 v12, null, s13, v12, vcc_lo
	v_add_co_u32 v20, vcc_lo, s12, v13
	v_add_co_ci_u32_e64 v21, null, s13, v14, vcc_lo
	s_clause 0x1
	global_load_dwordx2 v[6:7], v[6:7], off
	global_load_dwordx2 v[11:12], v[11:12], off
	s_waitcnt vmcnt(2)
	v_subrev_nc_u32_e32 v13, s18, v16
	v_lshl_add_u32 v14, v13, 1, v13
	v_add_nc_u32_e32 v16, 1, v14
	v_add_nc_u32_e32 v18, 2, v14
	v_lshlrev_b64 v[13:14], 2, v[14:15]
	v_lshlrev_b64 v[15:16], 2, v[16:17]
	;; [unrolled: 1-line block ×3, first 2 shown]
	v_add_co_u32 v13, vcc_lo, s14, v13
	v_add_co_ci_u32_e64 v14, null, s15, v14, vcc_lo
	global_load_dword v19, v[13:14], off
	v_add_co_u32 v13, vcc_lo, s14, v15
	v_add_co_ci_u32_e64 v14, null, s15, v16, vcc_lo
	v_add_co_u32 v15, vcc_lo, s14, v17
	v_add_co_ci_u32_e64 v16, null, s15, v18, vcc_lo
	global_load_dword v17, v[13:14], off
	global_load_dwordx2 v[13:14], v[20:21], off
	global_load_dword v15, v[15:16], off
	v_cmp_ge_i32_e32 vcc_lo, v5, v10
	s_or_b32 s3, vcc_lo, s3
	s_waitcnt vmcnt(3)
	v_fmac_f32_e32 v8, v6, v19
	v_fmac_f32_e32 v9, v7, v19
	s_waitcnt vmcnt(2)
	v_fmac_f32_e32 v8, v11, v17
	v_fmac_f32_e32 v9, v12, v17
	;; [unrolled: 3-line block ×3, first 2 shown]
	s_andn2_b32 exec_lo, exec_lo, s3
	s_cbranch_execnz .LBB5_9
; %bb.10:
	s_or_b32 exec_lo, exec_lo, s3
.LBB5_11:
	s_or_b32 exec_lo, exec_lo, s1
	s_cbranch_execz .LBB5_13
	s_branch .LBB5_18
.LBB5_12:
                                        ; implicit-def: $vgpr8
                                        ; implicit-def: $vgpr9
.LBB5_13:
	v_mov_b32_e32 v8, 0
	v_mov_b32_e32 v9, 0
	s_and_saveexec_b32 s1, s0
	s_cbranch_execz .LBB5_17
; %bb.14:
	v_mad_u64_u32 v[4:5], null, v2, 6, 5
	v_mov_b32_e32 v7, 0
	v_mov_b32_e32 v8, 0
	;; [unrolled: 1-line block ×3, first 2 shown]
	s_mov_b32 s0, 0
.LBB5_15:                               ; =>This Inner Loop Header: Depth=1
	v_ashrrev_i32_e32 v3, 31, v2
	v_add_nc_u32_e32 v11, -2, v4
	v_mov_b32_e32 v12, v7
	v_mov_b32_e32 v13, v7
	v_lshlrev_b64 v[5:6], 2, v[2:3]
	v_add_nc_u32_e32 v2, 4, v2
	v_lshlrev_b64 v[11:12], 2, v[11:12]
	v_add_co_u32 v5, vcc_lo, s10, v5
	v_add_co_ci_u32_e64 v6, null, s11, v6, vcc_lo
	global_load_dword v3, v[5:6], off
	v_add_nc_u32_e32 v6, -5, v4
	v_mov_b32_e32 v5, v7
	v_lshlrev_b64 v[14:15], 2, v[6:7]
	v_lshlrev_b64 v[5:6], 2, v[4:5]
	v_add_co_u32 v14, vcc_lo, s12, v14
	v_add_co_ci_u32_e64 v15, null, s13, v15, vcc_lo
	v_add_co_u32 v11, vcc_lo, s12, v11
	v_add_co_ci_u32_e64 v12, null, s13, v12, vcc_lo
	s_clause 0x1
	global_load_dwordx2 v[14:15], v[14:15], off
	global_load_dword v24, v[11:12], off
	v_add_co_u32 v16, vcc_lo, s12, v5
	v_add_co_ci_u32_e64 v17, null, s13, v6, vcc_lo
	s_waitcnt vmcnt(2)
	v_subrev_nc_u32_e32 v3, s18, v3
	v_lshl_add_u32 v12, v3, 1, v3
	v_add_nc_u32_e32 v6, 1, v12
	v_lshlrev_b64 v[18:19], 2, v[12:13]
	v_lshlrev_b64 v[20:21], 2, v[6:7]
	v_add_nc_u32_e32 v6, -1, v4
	v_add_co_u32 v18, vcc_lo, s14, v18
	v_add_co_ci_u32_e64 v19, null, s15, v19, vcc_lo
	v_lshlrev_b64 v[22:23], 2, v[6:7]
	v_add_nc_u32_e32 v6, -3, v4
	v_add_nc_u32_e32 v4, 24, v4
	global_load_dword v3, v[18:19], off
	v_add_co_u32 v18, vcc_lo, s14, v20
	v_add_co_ci_u32_e64 v19, null, s15, v21, vcc_lo
	v_lshlrev_b64 v[20:21], 2, v[6:7]
	v_add_nc_u32_e32 v6, 2, v12
	v_add_co_u32 v11, vcc_lo, s12, v22
	v_add_co_ci_u32_e64 v12, null, s13, v23, vcc_lo
	v_lshlrev_b64 v[5:6], 2, v[6:7]
	global_load_dword v13, v[18:19], off
	global_load_dword v18, v[11:12], off
	v_add_co_u32 v11, vcc_lo, s12, v20
	v_add_co_ci_u32_e64 v12, null, s13, v21, vcc_lo
	v_add_co_u32 v5, vcc_lo, s14, v5
	v_add_co_ci_u32_e64 v6, null, s15, v6, vcc_lo
	s_clause 0x1
	global_load_dword v16, v[16:17], off
	global_load_dword v11, v[11:12], off
	;; [unrolled: 1-line block ×3, first 2 shown]
	v_cmp_ge_i32_e32 vcc_lo, v2, v10
	s_or_b32 s0, vcc_lo, s0
	s_waitcnt vmcnt(5)
	v_fmac_f32_e32 v8, v14, v3
	v_fmac_f32_e32 v9, v24, v3
	s_waitcnt vmcnt(4)
	v_fmac_f32_e32 v8, v15, v13
	s_waitcnt vmcnt(3)
	v_fmac_f32_e32 v9, v18, v13
	s_waitcnt vmcnt(0)
	v_fmac_f32_e32 v8, v11, v5
	v_fmac_f32_e32 v9, v16, v5
	s_andn2_b32 exec_lo, exec_lo, s0
	s_cbranch_execnz .LBB5_15
; %bb.16:
	s_or_b32 exec_lo, exec_lo, s0
.LBB5_17:
	s_or_b32 exec_lo, exec_lo, s1
.LBB5_18:
	v_mbcnt_lo_u32_b32 v2, -1, 0
	s_mov_b32 s3, -1
	v_xor_b32_e32 v3, 2, v2
	v_xor_b32_e32 v5, 1, v2
	v_cmp_gt_i32_e32 vcc_lo, 32, v3
	v_cndmask_b32_e32 v3, v2, v3, vcc_lo
	v_cmp_gt_i32_e32 vcc_lo, 32, v5
	v_lshlrev_b32_e32 v3, 2, v3
	v_cndmask_b32_e32 v2, v2, v5, vcc_lo
	v_cmp_eq_u32_e32 vcc_lo, 3, v0
	ds_bpermute_b32 v4, v3, v8
	ds_bpermute_b32 v3, v3, v9
	v_lshlrev_b32_e32 v5, 2, v2
	s_waitcnt lgkmcnt(1)
	v_add_f32_e32 v2, v8, v4
	s_waitcnt lgkmcnt(0)
	v_add_f32_e32 v3, v9, v3
	ds_bpermute_b32 v4, v5, v2
	ds_bpermute_b32 v5, v5, v3
	s_and_b32 exec_lo, exec_lo, vcc_lo
	s_cbranch_execz .LBB5_23
; %bb.19:
	s_load_dwordx2 s[0:1], s[4:5], 0x38
	s_waitcnt lgkmcnt(0)
	v_add_f32_e32 v0, v2, v4
	v_add_f32_e32 v3, v3, v5
	v_cmp_eq_f32_e64 s4, s2, 0
	v_mul_f32_e32 v2, s16, v0
	v_mul_f32_e32 v3, s16, v3
	v_lshlrev_b32_e32 v0, 1, v1
	s_and_b32 vcc_lo, exec_lo, s4
	s_cbranch_vccz .LBB5_21
; %bb.20:
	v_ashrrev_i32_e32 v1, 31, v0
	s_mov_b32 s3, 0
	v_lshlrev_b64 v[4:5], 2, v[0:1]
	v_add_co_u32 v4, vcc_lo, s0, v4
	v_add_co_ci_u32_e64 v5, null, s1, v5, vcc_lo
	global_store_dwordx2 v[4:5], v[2:3], off
.LBB5_21:
	s_andn2_b32 vcc_lo, exec_lo, s3
	s_cbranch_vccnz .LBB5_23
; %bb.22:
	v_ashrrev_i32_e32 v1, 31, v0
	v_lshlrev_b64 v[0:1], 2, v[0:1]
	v_add_co_u32 v0, vcc_lo, s0, v0
	v_add_co_ci_u32_e64 v1, null, s1, v1, vcc_lo
	global_load_dwordx2 v[4:5], v[0:1], off
	s_waitcnt vmcnt(0)
	v_fmac_f32_e32 v2, s2, v4
	v_fmac_f32_e32 v3, s2, v5
	global_store_dwordx2 v[0:1], v[2:3], off
.LBB5_23:
	s_endpgm
	.section	.rodata,"a",@progbits
	.p2align	6, 0x0
	.amdhsa_kernel _ZN9rocsparseL19gebsrmvn_2xn_kernelILj128ELj3ELj4EfEEvi20rocsparse_direction_NS_24const_host_device_scalarIT2_EEPKiS6_PKS3_S8_S4_PS3_21rocsparse_index_base_b
		.amdhsa_group_segment_fixed_size 0
		.amdhsa_private_segment_fixed_size 0
		.amdhsa_kernarg_size 72
		.amdhsa_user_sgpr_count 6
		.amdhsa_user_sgpr_private_segment_buffer 1
		.amdhsa_user_sgpr_dispatch_ptr 0
		.amdhsa_user_sgpr_queue_ptr 0
		.amdhsa_user_sgpr_kernarg_segment_ptr 1
		.amdhsa_user_sgpr_dispatch_id 0
		.amdhsa_user_sgpr_flat_scratch_init 0
		.amdhsa_user_sgpr_private_segment_size 0
		.amdhsa_wavefront_size32 1
		.amdhsa_uses_dynamic_stack 0
		.amdhsa_system_sgpr_private_segment_wavefront_offset 0
		.amdhsa_system_sgpr_workgroup_id_x 1
		.amdhsa_system_sgpr_workgroup_id_y 0
		.amdhsa_system_sgpr_workgroup_id_z 0
		.amdhsa_system_sgpr_workgroup_info 0
		.amdhsa_system_vgpr_workitem_id 0
		.amdhsa_next_free_vgpr 25
		.amdhsa_next_free_sgpr 20
		.amdhsa_reserve_vcc 1
		.amdhsa_reserve_flat_scratch 0
		.amdhsa_float_round_mode_32 0
		.amdhsa_float_round_mode_16_64 0
		.amdhsa_float_denorm_mode_32 3
		.amdhsa_float_denorm_mode_16_64 3
		.amdhsa_dx10_clamp 1
		.amdhsa_ieee_mode 1
		.amdhsa_fp16_overflow 0
		.amdhsa_workgroup_processor_mode 1
		.amdhsa_memory_ordered 1
		.amdhsa_forward_progress 1
		.amdhsa_shared_vgpr_count 0
		.amdhsa_exception_fp_ieee_invalid_op 0
		.amdhsa_exception_fp_denorm_src 0
		.amdhsa_exception_fp_ieee_div_zero 0
		.amdhsa_exception_fp_ieee_overflow 0
		.amdhsa_exception_fp_ieee_underflow 0
		.amdhsa_exception_fp_ieee_inexact 0
		.amdhsa_exception_int_div_zero 0
	.end_amdhsa_kernel
	.section	.text._ZN9rocsparseL19gebsrmvn_2xn_kernelILj128ELj3ELj4EfEEvi20rocsparse_direction_NS_24const_host_device_scalarIT2_EEPKiS6_PKS3_S8_S4_PS3_21rocsparse_index_base_b,"axG",@progbits,_ZN9rocsparseL19gebsrmvn_2xn_kernelILj128ELj3ELj4EfEEvi20rocsparse_direction_NS_24const_host_device_scalarIT2_EEPKiS6_PKS3_S8_S4_PS3_21rocsparse_index_base_b,comdat
.Lfunc_end5:
	.size	_ZN9rocsparseL19gebsrmvn_2xn_kernelILj128ELj3ELj4EfEEvi20rocsparse_direction_NS_24const_host_device_scalarIT2_EEPKiS6_PKS3_S8_S4_PS3_21rocsparse_index_base_b, .Lfunc_end5-_ZN9rocsparseL19gebsrmvn_2xn_kernelILj128ELj3ELj4EfEEvi20rocsparse_direction_NS_24const_host_device_scalarIT2_EEPKiS6_PKS3_S8_S4_PS3_21rocsparse_index_base_b
                                        ; -- End function
	.set _ZN9rocsparseL19gebsrmvn_2xn_kernelILj128ELj3ELj4EfEEvi20rocsparse_direction_NS_24const_host_device_scalarIT2_EEPKiS6_PKS3_S8_S4_PS3_21rocsparse_index_base_b.num_vgpr, 25
	.set _ZN9rocsparseL19gebsrmvn_2xn_kernelILj128ELj3ELj4EfEEvi20rocsparse_direction_NS_24const_host_device_scalarIT2_EEPKiS6_PKS3_S8_S4_PS3_21rocsparse_index_base_b.num_agpr, 0
	.set _ZN9rocsparseL19gebsrmvn_2xn_kernelILj128ELj3ELj4EfEEvi20rocsparse_direction_NS_24const_host_device_scalarIT2_EEPKiS6_PKS3_S8_S4_PS3_21rocsparse_index_base_b.numbered_sgpr, 20
	.set _ZN9rocsparseL19gebsrmvn_2xn_kernelILj128ELj3ELj4EfEEvi20rocsparse_direction_NS_24const_host_device_scalarIT2_EEPKiS6_PKS3_S8_S4_PS3_21rocsparse_index_base_b.num_named_barrier, 0
	.set _ZN9rocsparseL19gebsrmvn_2xn_kernelILj128ELj3ELj4EfEEvi20rocsparse_direction_NS_24const_host_device_scalarIT2_EEPKiS6_PKS3_S8_S4_PS3_21rocsparse_index_base_b.private_seg_size, 0
	.set _ZN9rocsparseL19gebsrmvn_2xn_kernelILj128ELj3ELj4EfEEvi20rocsparse_direction_NS_24const_host_device_scalarIT2_EEPKiS6_PKS3_S8_S4_PS3_21rocsparse_index_base_b.uses_vcc, 1
	.set _ZN9rocsparseL19gebsrmvn_2xn_kernelILj128ELj3ELj4EfEEvi20rocsparse_direction_NS_24const_host_device_scalarIT2_EEPKiS6_PKS3_S8_S4_PS3_21rocsparse_index_base_b.uses_flat_scratch, 0
	.set _ZN9rocsparseL19gebsrmvn_2xn_kernelILj128ELj3ELj4EfEEvi20rocsparse_direction_NS_24const_host_device_scalarIT2_EEPKiS6_PKS3_S8_S4_PS3_21rocsparse_index_base_b.has_dyn_sized_stack, 0
	.set _ZN9rocsparseL19gebsrmvn_2xn_kernelILj128ELj3ELj4EfEEvi20rocsparse_direction_NS_24const_host_device_scalarIT2_EEPKiS6_PKS3_S8_S4_PS3_21rocsparse_index_base_b.has_recursion, 0
	.set _ZN9rocsparseL19gebsrmvn_2xn_kernelILj128ELj3ELj4EfEEvi20rocsparse_direction_NS_24const_host_device_scalarIT2_EEPKiS6_PKS3_S8_S4_PS3_21rocsparse_index_base_b.has_indirect_call, 0
	.section	.AMDGPU.csdata,"",@progbits
; Kernel info:
; codeLenInByte = 1356
; TotalNumSgprs: 22
; NumVgprs: 25
; ScratchSize: 0
; MemoryBound: 0
; FloatMode: 240
; IeeeMode: 1
; LDSByteSize: 0 bytes/workgroup (compile time only)
; SGPRBlocks: 0
; VGPRBlocks: 3
; NumSGPRsForWavesPerEU: 22
; NumVGPRsForWavesPerEU: 25
; Occupancy: 16
; WaveLimiterHint : 1
; COMPUTE_PGM_RSRC2:SCRATCH_EN: 0
; COMPUTE_PGM_RSRC2:USER_SGPR: 6
; COMPUTE_PGM_RSRC2:TRAP_HANDLER: 0
; COMPUTE_PGM_RSRC2:TGID_X_EN: 1
; COMPUTE_PGM_RSRC2:TGID_Y_EN: 0
; COMPUTE_PGM_RSRC2:TGID_Z_EN: 0
; COMPUTE_PGM_RSRC2:TIDIG_COMP_CNT: 0
	.section	.text._ZN9rocsparseL19gebsrmvn_2xn_kernelILj128ELj3ELj8EfEEvi20rocsparse_direction_NS_24const_host_device_scalarIT2_EEPKiS6_PKS3_S8_S4_PS3_21rocsparse_index_base_b,"axG",@progbits,_ZN9rocsparseL19gebsrmvn_2xn_kernelILj128ELj3ELj8EfEEvi20rocsparse_direction_NS_24const_host_device_scalarIT2_EEPKiS6_PKS3_S8_S4_PS3_21rocsparse_index_base_b,comdat
	.globl	_ZN9rocsparseL19gebsrmvn_2xn_kernelILj128ELj3ELj8EfEEvi20rocsparse_direction_NS_24const_host_device_scalarIT2_EEPKiS6_PKS3_S8_S4_PS3_21rocsparse_index_base_b ; -- Begin function _ZN9rocsparseL19gebsrmvn_2xn_kernelILj128ELj3ELj8EfEEvi20rocsparse_direction_NS_24const_host_device_scalarIT2_EEPKiS6_PKS3_S8_S4_PS3_21rocsparse_index_base_b
	.p2align	8
	.type	_ZN9rocsparseL19gebsrmvn_2xn_kernelILj128ELj3ELj8EfEEvi20rocsparse_direction_NS_24const_host_device_scalarIT2_EEPKiS6_PKS3_S8_S4_PS3_21rocsparse_index_base_b,@function
_ZN9rocsparseL19gebsrmvn_2xn_kernelILj128ELj3ELj8EfEEvi20rocsparse_direction_NS_24const_host_device_scalarIT2_EEPKiS6_PKS3_S8_S4_PS3_21rocsparse_index_base_b: ; @_ZN9rocsparseL19gebsrmvn_2xn_kernelILj128ELj3ELj8EfEEvi20rocsparse_direction_NS_24const_host_device_scalarIT2_EEPKiS6_PKS3_S8_S4_PS3_21rocsparse_index_base_b
; %bb.0:
	s_clause 0x2
	s_load_dwordx2 s[18:19], s[4:5], 0x40
	s_load_dwordx2 s[16:17], s[4:5], 0x8
	;; [unrolled: 1-line block ×3, first 2 shown]
	s_waitcnt lgkmcnt(0)
	s_bitcmp1_b32 s19, 0
	s_cselect_b32 s0, -1, 0
	s_and_b32 vcc_lo, exec_lo, s0
	s_xor_b32 s0, s0, -1
	s_cbranch_vccnz .LBB6_2
; %bb.1:
	s_load_dword s16, s[16:17], 0x0
.LBB6_2:
	s_andn2_b32 vcc_lo, exec_lo, s0
	s_cbranch_vccnz .LBB6_4
; %bb.3:
	s_load_dword s2, s[2:3], 0x0
.LBB6_4:
	s_waitcnt lgkmcnt(0)
	v_cmp_eq_f32_e64 s0, s16, 0
	v_cmp_eq_f32_e64 s1, s2, 1.0
	s_and_b32 s0, s0, s1
	s_and_b32 vcc_lo, exec_lo, s0
	s_cbranch_vccnz .LBB6_23
; %bb.5:
	s_load_dwordx2 s[0:1], s[4:5], 0x0
	v_lshrrev_b32_e32 v1, 3, v0
	v_lshl_or_b32 v1, s6, 4, v1
	s_waitcnt lgkmcnt(0)
	v_cmp_gt_i32_e32 vcc_lo, s0, v1
	s_and_saveexec_b32 s0, vcc_lo
	s_cbranch_execz .LBB6_23
; %bb.6:
	s_load_dwordx8 s[8:15], s[4:5], 0x10
	v_ashrrev_i32_e32 v2, 31, v1
	v_and_b32_e32 v0, 7, v0
	s_cmp_lg_u32 s1, 0
	v_lshlrev_b64 v[2:3], 2, v[1:2]
	s_waitcnt lgkmcnt(0)
	v_add_co_u32 v2, vcc_lo, s8, v2
	v_add_co_ci_u32_e64 v3, null, s9, v3, vcc_lo
	global_load_dwordx2 v[2:3], v[2:3], off
	s_waitcnt vmcnt(0)
	v_subrev_nc_u32_e32 v2, s18, v2
	v_subrev_nc_u32_e32 v10, s18, v3
	v_add_nc_u32_e32 v2, v2, v0
	v_cmp_lt_i32_e64 s0, v2, v10
	s_cbranch_scc0 .LBB6_12
; %bb.7:
	v_mov_b32_e32 v8, 0
	v_mov_b32_e32 v9, 0
	s_and_saveexec_b32 s1, s0
	s_cbranch_execz .LBB6_11
; %bb.8:
	v_mov_b32_e32 v4, 0
	v_mul_lo_u32 v3, v2, 6
	v_mov_b32_e32 v5, v2
	s_mov_b32 s3, 0
	v_mov_b32_e32 v8, v4
	v_mov_b32_e32 v9, v4
.LBB6_9:                                ; =>This Inner Loop Header: Depth=1
	v_ashrrev_i32_e32 v6, 31, v5
	v_add_nc_u32_e32 v11, 2, v3
	v_mov_b32_e32 v12, v4
	v_add_nc_u32_e32 v13, 4, v3
	v_mov_b32_e32 v14, v4
	v_lshlrev_b64 v[6:7], 2, v[5:6]
	v_mov_b32_e32 v15, v4
	v_lshlrev_b64 v[11:12], 2, v[11:12]
	;; [unrolled: 2-line block ×3, first 2 shown]
	v_mov_b32_e32 v19, v4
	v_add_co_u32 v6, vcc_lo, s10, v6
	v_add_co_ci_u32_e64 v7, null, s11, v7, vcc_lo
	v_add_nc_u32_e32 v5, 8, v5
	global_load_dword v16, v[6:7], off
	v_lshlrev_b64 v[6:7], 2, v[3:4]
	v_add_nc_u32_e32 v3, 48, v3
	v_add_co_u32 v6, vcc_lo, s12, v6
	v_add_co_ci_u32_e64 v7, null, s13, v7, vcc_lo
	v_add_co_u32 v11, vcc_lo, s12, v11
	v_add_co_ci_u32_e64 v12, null, s13, v12, vcc_lo
	;; [unrolled: 2-line block ×3, first 2 shown]
	s_clause 0x1
	global_load_dwordx2 v[6:7], v[6:7], off
	global_load_dwordx2 v[11:12], v[11:12], off
	s_waitcnt vmcnt(2)
	v_subrev_nc_u32_e32 v13, s18, v16
	v_lshl_add_u32 v14, v13, 1, v13
	v_add_nc_u32_e32 v16, 1, v14
	v_add_nc_u32_e32 v18, 2, v14
	v_lshlrev_b64 v[13:14], 2, v[14:15]
	v_lshlrev_b64 v[15:16], 2, v[16:17]
	;; [unrolled: 1-line block ×3, first 2 shown]
	v_add_co_u32 v13, vcc_lo, s14, v13
	v_add_co_ci_u32_e64 v14, null, s15, v14, vcc_lo
	global_load_dword v19, v[13:14], off
	v_add_co_u32 v13, vcc_lo, s14, v15
	v_add_co_ci_u32_e64 v14, null, s15, v16, vcc_lo
	v_add_co_u32 v15, vcc_lo, s14, v17
	v_add_co_ci_u32_e64 v16, null, s15, v18, vcc_lo
	global_load_dword v17, v[13:14], off
	global_load_dwordx2 v[13:14], v[20:21], off
	global_load_dword v15, v[15:16], off
	v_cmp_ge_i32_e32 vcc_lo, v5, v10
	s_or_b32 s3, vcc_lo, s3
	s_waitcnt vmcnt(3)
	v_fmac_f32_e32 v8, v6, v19
	v_fmac_f32_e32 v9, v7, v19
	s_waitcnt vmcnt(2)
	v_fmac_f32_e32 v8, v11, v17
	v_fmac_f32_e32 v9, v12, v17
	;; [unrolled: 3-line block ×3, first 2 shown]
	s_andn2_b32 exec_lo, exec_lo, s3
	s_cbranch_execnz .LBB6_9
; %bb.10:
	s_or_b32 exec_lo, exec_lo, s3
.LBB6_11:
	s_or_b32 exec_lo, exec_lo, s1
	s_cbranch_execz .LBB6_13
	s_branch .LBB6_18
.LBB6_12:
                                        ; implicit-def: $vgpr8
                                        ; implicit-def: $vgpr9
.LBB6_13:
	v_mov_b32_e32 v8, 0
	v_mov_b32_e32 v9, 0
	s_and_saveexec_b32 s1, s0
	s_cbranch_execz .LBB6_17
; %bb.14:
	v_mad_u64_u32 v[4:5], null, v2, 6, 5
	v_mov_b32_e32 v7, 0
	v_mov_b32_e32 v8, 0
	;; [unrolled: 1-line block ×3, first 2 shown]
	s_mov_b32 s0, 0
.LBB6_15:                               ; =>This Inner Loop Header: Depth=1
	v_ashrrev_i32_e32 v3, 31, v2
	v_add_nc_u32_e32 v11, -2, v4
	v_mov_b32_e32 v12, v7
	v_mov_b32_e32 v13, v7
	v_lshlrev_b64 v[5:6], 2, v[2:3]
	v_add_nc_u32_e32 v2, 8, v2
	v_lshlrev_b64 v[11:12], 2, v[11:12]
	v_add_co_u32 v5, vcc_lo, s10, v5
	v_add_co_ci_u32_e64 v6, null, s11, v6, vcc_lo
	global_load_dword v3, v[5:6], off
	v_add_nc_u32_e32 v6, -5, v4
	v_mov_b32_e32 v5, v7
	v_lshlrev_b64 v[14:15], 2, v[6:7]
	v_lshlrev_b64 v[5:6], 2, v[4:5]
	v_add_co_u32 v14, vcc_lo, s12, v14
	v_add_co_ci_u32_e64 v15, null, s13, v15, vcc_lo
	v_add_co_u32 v11, vcc_lo, s12, v11
	v_add_co_ci_u32_e64 v12, null, s13, v12, vcc_lo
	s_clause 0x1
	global_load_dwordx2 v[14:15], v[14:15], off
	global_load_dword v24, v[11:12], off
	v_add_co_u32 v16, vcc_lo, s12, v5
	v_add_co_ci_u32_e64 v17, null, s13, v6, vcc_lo
	s_waitcnt vmcnt(2)
	v_subrev_nc_u32_e32 v3, s18, v3
	v_lshl_add_u32 v12, v3, 1, v3
	v_add_nc_u32_e32 v6, 1, v12
	v_lshlrev_b64 v[18:19], 2, v[12:13]
	v_lshlrev_b64 v[20:21], 2, v[6:7]
	v_add_nc_u32_e32 v6, -1, v4
	v_add_co_u32 v18, vcc_lo, s14, v18
	v_add_co_ci_u32_e64 v19, null, s15, v19, vcc_lo
	v_lshlrev_b64 v[22:23], 2, v[6:7]
	v_add_nc_u32_e32 v6, -3, v4
	v_add_nc_u32_e32 v4, 48, v4
	global_load_dword v3, v[18:19], off
	v_add_co_u32 v18, vcc_lo, s14, v20
	v_add_co_ci_u32_e64 v19, null, s15, v21, vcc_lo
	v_lshlrev_b64 v[20:21], 2, v[6:7]
	v_add_nc_u32_e32 v6, 2, v12
	v_add_co_u32 v11, vcc_lo, s12, v22
	v_add_co_ci_u32_e64 v12, null, s13, v23, vcc_lo
	v_lshlrev_b64 v[5:6], 2, v[6:7]
	global_load_dword v13, v[18:19], off
	global_load_dword v18, v[11:12], off
	v_add_co_u32 v11, vcc_lo, s12, v20
	v_add_co_ci_u32_e64 v12, null, s13, v21, vcc_lo
	v_add_co_u32 v5, vcc_lo, s14, v5
	v_add_co_ci_u32_e64 v6, null, s15, v6, vcc_lo
	s_clause 0x1
	global_load_dword v16, v[16:17], off
	global_load_dword v11, v[11:12], off
	;; [unrolled: 1-line block ×3, first 2 shown]
	v_cmp_ge_i32_e32 vcc_lo, v2, v10
	s_or_b32 s0, vcc_lo, s0
	s_waitcnt vmcnt(5)
	v_fmac_f32_e32 v8, v14, v3
	v_fmac_f32_e32 v9, v24, v3
	s_waitcnt vmcnt(4)
	v_fmac_f32_e32 v8, v15, v13
	s_waitcnt vmcnt(3)
	;; [unrolled: 2-line block ×3, first 2 shown]
	v_fmac_f32_e32 v8, v11, v5
	v_fmac_f32_e32 v9, v16, v5
	s_andn2_b32 exec_lo, exec_lo, s0
	s_cbranch_execnz .LBB6_15
; %bb.16:
	s_or_b32 exec_lo, exec_lo, s0
.LBB6_17:
	s_or_b32 exec_lo, exec_lo, s1
.LBB6_18:
	v_mbcnt_lo_u32_b32 v2, -1, 0
	s_mov_b32 s3, -1
	v_xor_b32_e32 v3, 4, v2
	v_xor_b32_e32 v5, 2, v2
	v_xor_b32_e32 v7, 1, v2
	v_cmp_gt_i32_e32 vcc_lo, 32, v3
	v_cndmask_b32_e32 v3, v2, v3, vcc_lo
	v_cmp_gt_i32_e32 vcc_lo, 32, v5
	v_lshlrev_b32_e32 v3, 2, v3
	v_cndmask_b32_e32 v5, v2, v5, vcc_lo
	v_cmp_gt_i32_e32 vcc_lo, 32, v7
	ds_bpermute_b32 v4, v3, v8
	ds_bpermute_b32 v3, v3, v9
	v_lshlrev_b32_e32 v5, 2, v5
	v_cndmask_b32_e32 v2, v2, v7, vcc_lo
	v_cmp_eq_u32_e32 vcc_lo, 7, v0
	v_lshlrev_b32_e32 v7, 2, v2
	s_waitcnt lgkmcnt(1)
	v_add_f32_e32 v4, v8, v4
	s_waitcnt lgkmcnt(0)
	v_add_f32_e32 v3, v9, v3
	ds_bpermute_b32 v6, v5, v4
	ds_bpermute_b32 v5, v5, v3
	s_waitcnt lgkmcnt(1)
	v_add_f32_e32 v2, v4, v6
	s_waitcnt lgkmcnt(0)
	v_add_f32_e32 v3, v3, v5
	ds_bpermute_b32 v4, v7, v2
	ds_bpermute_b32 v5, v7, v3
	s_and_b32 exec_lo, exec_lo, vcc_lo
	s_cbranch_execz .LBB6_23
; %bb.19:
	s_load_dwordx2 s[0:1], s[4:5], 0x38
	s_waitcnt lgkmcnt(0)
	v_add_f32_e32 v0, v2, v4
	v_add_f32_e32 v3, v3, v5
	v_cmp_eq_f32_e64 s4, s2, 0
	v_mul_f32_e32 v2, s16, v0
	v_mul_f32_e32 v3, s16, v3
	v_lshlrev_b32_e32 v0, 1, v1
	s_and_b32 vcc_lo, exec_lo, s4
	s_cbranch_vccz .LBB6_21
; %bb.20:
	v_ashrrev_i32_e32 v1, 31, v0
	s_mov_b32 s3, 0
	v_lshlrev_b64 v[4:5], 2, v[0:1]
	v_add_co_u32 v4, vcc_lo, s0, v4
	v_add_co_ci_u32_e64 v5, null, s1, v5, vcc_lo
	global_store_dwordx2 v[4:5], v[2:3], off
.LBB6_21:
	s_andn2_b32 vcc_lo, exec_lo, s3
	s_cbranch_vccnz .LBB6_23
; %bb.22:
	v_ashrrev_i32_e32 v1, 31, v0
	v_lshlrev_b64 v[0:1], 2, v[0:1]
	v_add_co_u32 v0, vcc_lo, s0, v0
	v_add_co_ci_u32_e64 v1, null, s1, v1, vcc_lo
	global_load_dwordx2 v[4:5], v[0:1], off
	s_waitcnt vmcnt(0)
	v_fmac_f32_e32 v2, s2, v4
	v_fmac_f32_e32 v3, s2, v5
	global_store_dwordx2 v[0:1], v[2:3], off
.LBB6_23:
	s_endpgm
	.section	.rodata,"a",@progbits
	.p2align	6, 0x0
	.amdhsa_kernel _ZN9rocsparseL19gebsrmvn_2xn_kernelILj128ELj3ELj8EfEEvi20rocsparse_direction_NS_24const_host_device_scalarIT2_EEPKiS6_PKS3_S8_S4_PS3_21rocsparse_index_base_b
		.amdhsa_group_segment_fixed_size 0
		.amdhsa_private_segment_fixed_size 0
		.amdhsa_kernarg_size 72
		.amdhsa_user_sgpr_count 6
		.amdhsa_user_sgpr_private_segment_buffer 1
		.amdhsa_user_sgpr_dispatch_ptr 0
		.amdhsa_user_sgpr_queue_ptr 0
		.amdhsa_user_sgpr_kernarg_segment_ptr 1
		.amdhsa_user_sgpr_dispatch_id 0
		.amdhsa_user_sgpr_flat_scratch_init 0
		.amdhsa_user_sgpr_private_segment_size 0
		.amdhsa_wavefront_size32 1
		.amdhsa_uses_dynamic_stack 0
		.amdhsa_system_sgpr_private_segment_wavefront_offset 0
		.amdhsa_system_sgpr_workgroup_id_x 1
		.amdhsa_system_sgpr_workgroup_id_y 0
		.amdhsa_system_sgpr_workgroup_id_z 0
		.amdhsa_system_sgpr_workgroup_info 0
		.amdhsa_system_vgpr_workitem_id 0
		.amdhsa_next_free_vgpr 25
		.amdhsa_next_free_sgpr 20
		.amdhsa_reserve_vcc 1
		.amdhsa_reserve_flat_scratch 0
		.amdhsa_float_round_mode_32 0
		.amdhsa_float_round_mode_16_64 0
		.amdhsa_float_denorm_mode_32 3
		.amdhsa_float_denorm_mode_16_64 3
		.amdhsa_dx10_clamp 1
		.amdhsa_ieee_mode 1
		.amdhsa_fp16_overflow 0
		.amdhsa_workgroup_processor_mode 1
		.amdhsa_memory_ordered 1
		.amdhsa_forward_progress 1
		.amdhsa_shared_vgpr_count 0
		.amdhsa_exception_fp_ieee_invalid_op 0
		.amdhsa_exception_fp_denorm_src 0
		.amdhsa_exception_fp_ieee_div_zero 0
		.amdhsa_exception_fp_ieee_overflow 0
		.amdhsa_exception_fp_ieee_underflow 0
		.amdhsa_exception_fp_ieee_inexact 0
		.amdhsa_exception_int_div_zero 0
	.end_amdhsa_kernel
	.section	.text._ZN9rocsparseL19gebsrmvn_2xn_kernelILj128ELj3ELj8EfEEvi20rocsparse_direction_NS_24const_host_device_scalarIT2_EEPKiS6_PKS3_S8_S4_PS3_21rocsparse_index_base_b,"axG",@progbits,_ZN9rocsparseL19gebsrmvn_2xn_kernelILj128ELj3ELj8EfEEvi20rocsparse_direction_NS_24const_host_device_scalarIT2_EEPKiS6_PKS3_S8_S4_PS3_21rocsparse_index_base_b,comdat
.Lfunc_end6:
	.size	_ZN9rocsparseL19gebsrmvn_2xn_kernelILj128ELj3ELj8EfEEvi20rocsparse_direction_NS_24const_host_device_scalarIT2_EEPKiS6_PKS3_S8_S4_PS3_21rocsparse_index_base_b, .Lfunc_end6-_ZN9rocsparseL19gebsrmvn_2xn_kernelILj128ELj3ELj8EfEEvi20rocsparse_direction_NS_24const_host_device_scalarIT2_EEPKiS6_PKS3_S8_S4_PS3_21rocsparse_index_base_b
                                        ; -- End function
	.set _ZN9rocsparseL19gebsrmvn_2xn_kernelILj128ELj3ELj8EfEEvi20rocsparse_direction_NS_24const_host_device_scalarIT2_EEPKiS6_PKS3_S8_S4_PS3_21rocsparse_index_base_b.num_vgpr, 25
	.set _ZN9rocsparseL19gebsrmvn_2xn_kernelILj128ELj3ELj8EfEEvi20rocsparse_direction_NS_24const_host_device_scalarIT2_EEPKiS6_PKS3_S8_S4_PS3_21rocsparse_index_base_b.num_agpr, 0
	.set _ZN9rocsparseL19gebsrmvn_2xn_kernelILj128ELj3ELj8EfEEvi20rocsparse_direction_NS_24const_host_device_scalarIT2_EEPKiS6_PKS3_S8_S4_PS3_21rocsparse_index_base_b.numbered_sgpr, 20
	.set _ZN9rocsparseL19gebsrmvn_2xn_kernelILj128ELj3ELj8EfEEvi20rocsparse_direction_NS_24const_host_device_scalarIT2_EEPKiS6_PKS3_S8_S4_PS3_21rocsparse_index_base_b.num_named_barrier, 0
	.set _ZN9rocsparseL19gebsrmvn_2xn_kernelILj128ELj3ELj8EfEEvi20rocsparse_direction_NS_24const_host_device_scalarIT2_EEPKiS6_PKS3_S8_S4_PS3_21rocsparse_index_base_b.private_seg_size, 0
	.set _ZN9rocsparseL19gebsrmvn_2xn_kernelILj128ELj3ELj8EfEEvi20rocsparse_direction_NS_24const_host_device_scalarIT2_EEPKiS6_PKS3_S8_S4_PS3_21rocsparse_index_base_b.uses_vcc, 1
	.set _ZN9rocsparseL19gebsrmvn_2xn_kernelILj128ELj3ELj8EfEEvi20rocsparse_direction_NS_24const_host_device_scalarIT2_EEPKiS6_PKS3_S8_S4_PS3_21rocsparse_index_base_b.uses_flat_scratch, 0
	.set _ZN9rocsparseL19gebsrmvn_2xn_kernelILj128ELj3ELj8EfEEvi20rocsparse_direction_NS_24const_host_device_scalarIT2_EEPKiS6_PKS3_S8_S4_PS3_21rocsparse_index_base_b.has_dyn_sized_stack, 0
	.set _ZN9rocsparseL19gebsrmvn_2xn_kernelILj128ELj3ELj8EfEEvi20rocsparse_direction_NS_24const_host_device_scalarIT2_EEPKiS6_PKS3_S8_S4_PS3_21rocsparse_index_base_b.has_recursion, 0
	.set _ZN9rocsparseL19gebsrmvn_2xn_kernelILj128ELj3ELj8EfEEvi20rocsparse_direction_NS_24const_host_device_scalarIT2_EEPKiS6_PKS3_S8_S4_PS3_21rocsparse_index_base_b.has_indirect_call, 0
	.section	.AMDGPU.csdata,"",@progbits
; Kernel info:
; codeLenInByte = 1404
; TotalNumSgprs: 22
; NumVgprs: 25
; ScratchSize: 0
; MemoryBound: 0
; FloatMode: 240
; IeeeMode: 1
; LDSByteSize: 0 bytes/workgroup (compile time only)
; SGPRBlocks: 0
; VGPRBlocks: 3
; NumSGPRsForWavesPerEU: 22
; NumVGPRsForWavesPerEU: 25
; Occupancy: 16
; WaveLimiterHint : 1
; COMPUTE_PGM_RSRC2:SCRATCH_EN: 0
; COMPUTE_PGM_RSRC2:USER_SGPR: 6
; COMPUTE_PGM_RSRC2:TRAP_HANDLER: 0
; COMPUTE_PGM_RSRC2:TGID_X_EN: 1
; COMPUTE_PGM_RSRC2:TGID_Y_EN: 0
; COMPUTE_PGM_RSRC2:TGID_Z_EN: 0
; COMPUTE_PGM_RSRC2:TIDIG_COMP_CNT: 0
	.section	.text._ZN9rocsparseL19gebsrmvn_2xn_kernelILj128ELj3ELj16EfEEvi20rocsparse_direction_NS_24const_host_device_scalarIT2_EEPKiS6_PKS3_S8_S4_PS3_21rocsparse_index_base_b,"axG",@progbits,_ZN9rocsparseL19gebsrmvn_2xn_kernelILj128ELj3ELj16EfEEvi20rocsparse_direction_NS_24const_host_device_scalarIT2_EEPKiS6_PKS3_S8_S4_PS3_21rocsparse_index_base_b,comdat
	.globl	_ZN9rocsparseL19gebsrmvn_2xn_kernelILj128ELj3ELj16EfEEvi20rocsparse_direction_NS_24const_host_device_scalarIT2_EEPKiS6_PKS3_S8_S4_PS3_21rocsparse_index_base_b ; -- Begin function _ZN9rocsparseL19gebsrmvn_2xn_kernelILj128ELj3ELj16EfEEvi20rocsparse_direction_NS_24const_host_device_scalarIT2_EEPKiS6_PKS3_S8_S4_PS3_21rocsparse_index_base_b
	.p2align	8
	.type	_ZN9rocsparseL19gebsrmvn_2xn_kernelILj128ELj3ELj16EfEEvi20rocsparse_direction_NS_24const_host_device_scalarIT2_EEPKiS6_PKS3_S8_S4_PS3_21rocsparse_index_base_b,@function
_ZN9rocsparseL19gebsrmvn_2xn_kernelILj128ELj3ELj16EfEEvi20rocsparse_direction_NS_24const_host_device_scalarIT2_EEPKiS6_PKS3_S8_S4_PS3_21rocsparse_index_base_b: ; @_ZN9rocsparseL19gebsrmvn_2xn_kernelILj128ELj3ELj16EfEEvi20rocsparse_direction_NS_24const_host_device_scalarIT2_EEPKiS6_PKS3_S8_S4_PS3_21rocsparse_index_base_b
; %bb.0:
	s_clause 0x2
	s_load_dwordx2 s[18:19], s[4:5], 0x40
	s_load_dwordx2 s[16:17], s[4:5], 0x8
	;; [unrolled: 1-line block ×3, first 2 shown]
	s_waitcnt lgkmcnt(0)
	s_bitcmp1_b32 s19, 0
	s_cselect_b32 s0, -1, 0
	s_and_b32 vcc_lo, exec_lo, s0
	s_xor_b32 s0, s0, -1
	s_cbranch_vccnz .LBB7_2
; %bb.1:
	s_load_dword s16, s[16:17], 0x0
.LBB7_2:
	s_andn2_b32 vcc_lo, exec_lo, s0
	s_cbranch_vccnz .LBB7_4
; %bb.3:
	s_load_dword s2, s[2:3], 0x0
.LBB7_4:
	s_waitcnt lgkmcnt(0)
	v_cmp_eq_f32_e64 s0, s16, 0
	v_cmp_eq_f32_e64 s1, s2, 1.0
	s_and_b32 s0, s0, s1
	s_and_b32 vcc_lo, exec_lo, s0
	s_cbranch_vccnz .LBB7_23
; %bb.5:
	s_load_dwordx2 s[0:1], s[4:5], 0x0
	v_lshrrev_b32_e32 v1, 4, v0
	v_lshl_or_b32 v1, s6, 3, v1
	s_waitcnt lgkmcnt(0)
	v_cmp_gt_i32_e32 vcc_lo, s0, v1
	s_and_saveexec_b32 s0, vcc_lo
	s_cbranch_execz .LBB7_23
; %bb.6:
	s_load_dwordx8 s[8:15], s[4:5], 0x10
	v_ashrrev_i32_e32 v2, 31, v1
	v_and_b32_e32 v0, 15, v0
	s_cmp_lg_u32 s1, 0
	v_lshlrev_b64 v[2:3], 2, v[1:2]
	s_waitcnt lgkmcnt(0)
	v_add_co_u32 v2, vcc_lo, s8, v2
	v_add_co_ci_u32_e64 v3, null, s9, v3, vcc_lo
	global_load_dwordx2 v[2:3], v[2:3], off
	s_waitcnt vmcnt(0)
	v_subrev_nc_u32_e32 v2, s18, v2
	v_subrev_nc_u32_e32 v10, s18, v3
	v_add_nc_u32_e32 v2, v2, v0
	v_cmp_lt_i32_e64 s0, v2, v10
	s_cbranch_scc0 .LBB7_12
; %bb.7:
	v_mov_b32_e32 v8, 0
	v_mov_b32_e32 v9, 0
	s_and_saveexec_b32 s1, s0
	s_cbranch_execz .LBB7_11
; %bb.8:
	v_mov_b32_e32 v4, 0
	v_mul_lo_u32 v3, v2, 6
	v_mov_b32_e32 v5, v2
	s_mov_b32 s3, 0
	v_mov_b32_e32 v8, v4
	v_mov_b32_e32 v9, v4
.LBB7_9:                                ; =>This Inner Loop Header: Depth=1
	v_ashrrev_i32_e32 v6, 31, v5
	v_add_nc_u32_e32 v11, 2, v3
	v_mov_b32_e32 v12, v4
	v_add_nc_u32_e32 v13, 4, v3
	v_mov_b32_e32 v14, v4
	v_lshlrev_b64 v[6:7], 2, v[5:6]
	v_mov_b32_e32 v15, v4
	v_lshlrev_b64 v[11:12], 2, v[11:12]
	;; [unrolled: 2-line block ×3, first 2 shown]
	v_mov_b32_e32 v19, v4
	v_add_co_u32 v6, vcc_lo, s10, v6
	v_add_co_ci_u32_e64 v7, null, s11, v7, vcc_lo
	v_add_nc_u32_e32 v5, 16, v5
	global_load_dword v16, v[6:7], off
	v_lshlrev_b64 v[6:7], 2, v[3:4]
	v_add_nc_u32_e32 v3, 0x60, v3
	v_add_co_u32 v6, vcc_lo, s12, v6
	v_add_co_ci_u32_e64 v7, null, s13, v7, vcc_lo
	v_add_co_u32 v11, vcc_lo, s12, v11
	v_add_co_ci_u32_e64 v12, null, s13, v12, vcc_lo
	;; [unrolled: 2-line block ×3, first 2 shown]
	s_clause 0x1
	global_load_dwordx2 v[6:7], v[6:7], off
	global_load_dwordx2 v[11:12], v[11:12], off
	s_waitcnt vmcnt(2)
	v_subrev_nc_u32_e32 v13, s18, v16
	v_lshl_add_u32 v14, v13, 1, v13
	v_add_nc_u32_e32 v16, 1, v14
	v_add_nc_u32_e32 v18, 2, v14
	v_lshlrev_b64 v[13:14], 2, v[14:15]
	v_lshlrev_b64 v[15:16], 2, v[16:17]
	;; [unrolled: 1-line block ×3, first 2 shown]
	v_add_co_u32 v13, vcc_lo, s14, v13
	v_add_co_ci_u32_e64 v14, null, s15, v14, vcc_lo
	global_load_dword v19, v[13:14], off
	v_add_co_u32 v13, vcc_lo, s14, v15
	v_add_co_ci_u32_e64 v14, null, s15, v16, vcc_lo
	v_add_co_u32 v15, vcc_lo, s14, v17
	v_add_co_ci_u32_e64 v16, null, s15, v18, vcc_lo
	global_load_dword v17, v[13:14], off
	global_load_dwordx2 v[13:14], v[20:21], off
	global_load_dword v15, v[15:16], off
	v_cmp_ge_i32_e32 vcc_lo, v5, v10
	s_or_b32 s3, vcc_lo, s3
	s_waitcnt vmcnt(3)
	v_fmac_f32_e32 v8, v6, v19
	v_fmac_f32_e32 v9, v7, v19
	s_waitcnt vmcnt(2)
	v_fmac_f32_e32 v8, v11, v17
	v_fmac_f32_e32 v9, v12, v17
	;; [unrolled: 3-line block ×3, first 2 shown]
	s_andn2_b32 exec_lo, exec_lo, s3
	s_cbranch_execnz .LBB7_9
; %bb.10:
	s_or_b32 exec_lo, exec_lo, s3
.LBB7_11:
	s_or_b32 exec_lo, exec_lo, s1
	s_cbranch_execz .LBB7_13
	s_branch .LBB7_18
.LBB7_12:
                                        ; implicit-def: $vgpr8
                                        ; implicit-def: $vgpr9
.LBB7_13:
	v_mov_b32_e32 v8, 0
	v_mov_b32_e32 v9, 0
	s_and_saveexec_b32 s1, s0
	s_cbranch_execz .LBB7_17
; %bb.14:
	v_mad_u64_u32 v[4:5], null, v2, 6, 5
	v_mov_b32_e32 v7, 0
	v_mov_b32_e32 v8, 0
	v_mov_b32_e32 v9, 0
	s_mov_b32 s0, 0
.LBB7_15:                               ; =>This Inner Loop Header: Depth=1
	v_ashrrev_i32_e32 v3, 31, v2
	v_add_nc_u32_e32 v11, -2, v4
	v_mov_b32_e32 v12, v7
	v_mov_b32_e32 v13, v7
	v_lshlrev_b64 v[5:6], 2, v[2:3]
	v_add_nc_u32_e32 v2, 16, v2
	v_lshlrev_b64 v[11:12], 2, v[11:12]
	v_add_co_u32 v5, vcc_lo, s10, v5
	v_add_co_ci_u32_e64 v6, null, s11, v6, vcc_lo
	global_load_dword v3, v[5:6], off
	v_add_nc_u32_e32 v6, -5, v4
	v_mov_b32_e32 v5, v7
	v_lshlrev_b64 v[14:15], 2, v[6:7]
	v_lshlrev_b64 v[5:6], 2, v[4:5]
	v_add_co_u32 v14, vcc_lo, s12, v14
	v_add_co_ci_u32_e64 v15, null, s13, v15, vcc_lo
	v_add_co_u32 v11, vcc_lo, s12, v11
	v_add_co_ci_u32_e64 v12, null, s13, v12, vcc_lo
	s_clause 0x1
	global_load_dwordx2 v[14:15], v[14:15], off
	global_load_dword v24, v[11:12], off
	v_add_co_u32 v16, vcc_lo, s12, v5
	v_add_co_ci_u32_e64 v17, null, s13, v6, vcc_lo
	s_waitcnt vmcnt(2)
	v_subrev_nc_u32_e32 v3, s18, v3
	v_lshl_add_u32 v12, v3, 1, v3
	v_add_nc_u32_e32 v6, 1, v12
	v_lshlrev_b64 v[18:19], 2, v[12:13]
	v_lshlrev_b64 v[20:21], 2, v[6:7]
	v_add_nc_u32_e32 v6, -1, v4
	v_add_co_u32 v18, vcc_lo, s14, v18
	v_add_co_ci_u32_e64 v19, null, s15, v19, vcc_lo
	v_lshlrev_b64 v[22:23], 2, v[6:7]
	v_add_nc_u32_e32 v6, -3, v4
	v_add_nc_u32_e32 v4, 0x60, v4
	global_load_dword v3, v[18:19], off
	v_add_co_u32 v18, vcc_lo, s14, v20
	v_add_co_ci_u32_e64 v19, null, s15, v21, vcc_lo
	v_lshlrev_b64 v[20:21], 2, v[6:7]
	v_add_nc_u32_e32 v6, 2, v12
	v_add_co_u32 v11, vcc_lo, s12, v22
	v_add_co_ci_u32_e64 v12, null, s13, v23, vcc_lo
	v_lshlrev_b64 v[5:6], 2, v[6:7]
	global_load_dword v13, v[18:19], off
	global_load_dword v18, v[11:12], off
	v_add_co_u32 v11, vcc_lo, s12, v20
	v_add_co_ci_u32_e64 v12, null, s13, v21, vcc_lo
	v_add_co_u32 v5, vcc_lo, s14, v5
	v_add_co_ci_u32_e64 v6, null, s15, v6, vcc_lo
	s_clause 0x1
	global_load_dword v16, v[16:17], off
	global_load_dword v11, v[11:12], off
	;; [unrolled: 1-line block ×3, first 2 shown]
	v_cmp_ge_i32_e32 vcc_lo, v2, v10
	s_or_b32 s0, vcc_lo, s0
	s_waitcnt vmcnt(5)
	v_fmac_f32_e32 v8, v14, v3
	v_fmac_f32_e32 v9, v24, v3
	s_waitcnt vmcnt(4)
	v_fmac_f32_e32 v8, v15, v13
	s_waitcnt vmcnt(3)
	;; [unrolled: 2-line block ×3, first 2 shown]
	v_fmac_f32_e32 v8, v11, v5
	v_fmac_f32_e32 v9, v16, v5
	s_andn2_b32 exec_lo, exec_lo, s0
	s_cbranch_execnz .LBB7_15
; %bb.16:
	s_or_b32 exec_lo, exec_lo, s0
.LBB7_17:
	s_or_b32 exec_lo, exec_lo, s1
.LBB7_18:
	v_mbcnt_lo_u32_b32 v2, -1, 0
	s_mov_b32 s3, -1
	v_xor_b32_e32 v3, 8, v2
	v_xor_b32_e32 v5, 4, v2
	;; [unrolled: 1-line block ×3, first 2 shown]
	v_cmp_gt_i32_e32 vcc_lo, 32, v3
	v_cndmask_b32_e32 v3, v2, v3, vcc_lo
	v_cmp_gt_i32_e32 vcc_lo, 32, v5
	v_lshlrev_b32_e32 v3, 2, v3
	v_cndmask_b32_e32 v5, v2, v5, vcc_lo
	v_cmp_gt_i32_e32 vcc_lo, 32, v7
	ds_bpermute_b32 v4, v3, v8
	ds_bpermute_b32 v3, v3, v9
	v_lshlrev_b32_e32 v5, 2, v5
	v_cndmask_b32_e32 v7, v2, v7, vcc_lo
	v_lshlrev_b32_e32 v7, 2, v7
	s_waitcnt lgkmcnt(1)
	v_add_f32_e32 v4, v8, v4
	s_waitcnt lgkmcnt(0)
	v_add_f32_e32 v3, v9, v3
	ds_bpermute_b32 v6, v5, v4
	ds_bpermute_b32 v5, v5, v3
	s_waitcnt lgkmcnt(1)
	v_add_f32_e32 v4, v4, v6
	s_waitcnt lgkmcnt(0)
	v_add_f32_e32 v3, v3, v5
	ds_bpermute_b32 v5, v7, v4
	ds_bpermute_b32 v6, v7, v3
	v_xor_b32_e32 v7, 1, v2
	v_cmp_gt_i32_e32 vcc_lo, 32, v7
	v_cndmask_b32_e32 v2, v2, v7, vcc_lo
	v_cmp_eq_u32_e32 vcc_lo, 15, v0
	v_lshlrev_b32_e32 v7, 2, v2
	s_waitcnt lgkmcnt(1)
	v_add_f32_e32 v2, v4, v5
	s_waitcnt lgkmcnt(0)
	v_add_f32_e32 v3, v3, v6
	ds_bpermute_b32 v4, v7, v2
	ds_bpermute_b32 v5, v7, v3
	s_and_b32 exec_lo, exec_lo, vcc_lo
	s_cbranch_execz .LBB7_23
; %bb.19:
	s_load_dwordx2 s[0:1], s[4:5], 0x38
	s_waitcnt lgkmcnt(0)
	v_add_f32_e32 v0, v2, v4
	v_add_f32_e32 v3, v3, v5
	v_cmp_eq_f32_e64 s4, s2, 0
	v_mul_f32_e32 v2, s16, v0
	v_mul_f32_e32 v3, s16, v3
	v_lshlrev_b32_e32 v0, 1, v1
	s_and_b32 vcc_lo, exec_lo, s4
	s_cbranch_vccz .LBB7_21
; %bb.20:
	v_ashrrev_i32_e32 v1, 31, v0
	s_mov_b32 s3, 0
	v_lshlrev_b64 v[4:5], 2, v[0:1]
	v_add_co_u32 v4, vcc_lo, s0, v4
	v_add_co_ci_u32_e64 v5, null, s1, v5, vcc_lo
	global_store_dwordx2 v[4:5], v[2:3], off
.LBB7_21:
	s_andn2_b32 vcc_lo, exec_lo, s3
	s_cbranch_vccnz .LBB7_23
; %bb.22:
	v_ashrrev_i32_e32 v1, 31, v0
	v_lshlrev_b64 v[0:1], 2, v[0:1]
	v_add_co_u32 v0, vcc_lo, s0, v0
	v_add_co_ci_u32_e64 v1, null, s1, v1, vcc_lo
	global_load_dwordx2 v[4:5], v[0:1], off
	s_waitcnt vmcnt(0)
	v_fmac_f32_e32 v2, s2, v4
	v_fmac_f32_e32 v3, s2, v5
	global_store_dwordx2 v[0:1], v[2:3], off
.LBB7_23:
	s_endpgm
	.section	.rodata,"a",@progbits
	.p2align	6, 0x0
	.amdhsa_kernel _ZN9rocsparseL19gebsrmvn_2xn_kernelILj128ELj3ELj16EfEEvi20rocsparse_direction_NS_24const_host_device_scalarIT2_EEPKiS6_PKS3_S8_S4_PS3_21rocsparse_index_base_b
		.amdhsa_group_segment_fixed_size 0
		.amdhsa_private_segment_fixed_size 0
		.amdhsa_kernarg_size 72
		.amdhsa_user_sgpr_count 6
		.amdhsa_user_sgpr_private_segment_buffer 1
		.amdhsa_user_sgpr_dispatch_ptr 0
		.amdhsa_user_sgpr_queue_ptr 0
		.amdhsa_user_sgpr_kernarg_segment_ptr 1
		.amdhsa_user_sgpr_dispatch_id 0
		.amdhsa_user_sgpr_flat_scratch_init 0
		.amdhsa_user_sgpr_private_segment_size 0
		.amdhsa_wavefront_size32 1
		.amdhsa_uses_dynamic_stack 0
		.amdhsa_system_sgpr_private_segment_wavefront_offset 0
		.amdhsa_system_sgpr_workgroup_id_x 1
		.amdhsa_system_sgpr_workgroup_id_y 0
		.amdhsa_system_sgpr_workgroup_id_z 0
		.amdhsa_system_sgpr_workgroup_info 0
		.amdhsa_system_vgpr_workitem_id 0
		.amdhsa_next_free_vgpr 25
		.amdhsa_next_free_sgpr 20
		.amdhsa_reserve_vcc 1
		.amdhsa_reserve_flat_scratch 0
		.amdhsa_float_round_mode_32 0
		.amdhsa_float_round_mode_16_64 0
		.amdhsa_float_denorm_mode_32 3
		.amdhsa_float_denorm_mode_16_64 3
		.amdhsa_dx10_clamp 1
		.amdhsa_ieee_mode 1
		.amdhsa_fp16_overflow 0
		.amdhsa_workgroup_processor_mode 1
		.amdhsa_memory_ordered 1
		.amdhsa_forward_progress 1
		.amdhsa_shared_vgpr_count 0
		.amdhsa_exception_fp_ieee_invalid_op 0
		.amdhsa_exception_fp_denorm_src 0
		.amdhsa_exception_fp_ieee_div_zero 0
		.amdhsa_exception_fp_ieee_overflow 0
		.amdhsa_exception_fp_ieee_underflow 0
		.amdhsa_exception_fp_ieee_inexact 0
		.amdhsa_exception_int_div_zero 0
	.end_amdhsa_kernel
	.section	.text._ZN9rocsparseL19gebsrmvn_2xn_kernelILj128ELj3ELj16EfEEvi20rocsparse_direction_NS_24const_host_device_scalarIT2_EEPKiS6_PKS3_S8_S4_PS3_21rocsparse_index_base_b,"axG",@progbits,_ZN9rocsparseL19gebsrmvn_2xn_kernelILj128ELj3ELj16EfEEvi20rocsparse_direction_NS_24const_host_device_scalarIT2_EEPKiS6_PKS3_S8_S4_PS3_21rocsparse_index_base_b,comdat
.Lfunc_end7:
	.size	_ZN9rocsparseL19gebsrmvn_2xn_kernelILj128ELj3ELj16EfEEvi20rocsparse_direction_NS_24const_host_device_scalarIT2_EEPKiS6_PKS3_S8_S4_PS3_21rocsparse_index_base_b, .Lfunc_end7-_ZN9rocsparseL19gebsrmvn_2xn_kernelILj128ELj3ELj16EfEEvi20rocsparse_direction_NS_24const_host_device_scalarIT2_EEPKiS6_PKS3_S8_S4_PS3_21rocsparse_index_base_b
                                        ; -- End function
	.set _ZN9rocsparseL19gebsrmvn_2xn_kernelILj128ELj3ELj16EfEEvi20rocsparse_direction_NS_24const_host_device_scalarIT2_EEPKiS6_PKS3_S8_S4_PS3_21rocsparse_index_base_b.num_vgpr, 25
	.set _ZN9rocsparseL19gebsrmvn_2xn_kernelILj128ELj3ELj16EfEEvi20rocsparse_direction_NS_24const_host_device_scalarIT2_EEPKiS6_PKS3_S8_S4_PS3_21rocsparse_index_base_b.num_agpr, 0
	.set _ZN9rocsparseL19gebsrmvn_2xn_kernelILj128ELj3ELj16EfEEvi20rocsparse_direction_NS_24const_host_device_scalarIT2_EEPKiS6_PKS3_S8_S4_PS3_21rocsparse_index_base_b.numbered_sgpr, 20
	.set _ZN9rocsparseL19gebsrmvn_2xn_kernelILj128ELj3ELj16EfEEvi20rocsparse_direction_NS_24const_host_device_scalarIT2_EEPKiS6_PKS3_S8_S4_PS3_21rocsparse_index_base_b.num_named_barrier, 0
	.set _ZN9rocsparseL19gebsrmvn_2xn_kernelILj128ELj3ELj16EfEEvi20rocsparse_direction_NS_24const_host_device_scalarIT2_EEPKiS6_PKS3_S8_S4_PS3_21rocsparse_index_base_b.private_seg_size, 0
	.set _ZN9rocsparseL19gebsrmvn_2xn_kernelILj128ELj3ELj16EfEEvi20rocsparse_direction_NS_24const_host_device_scalarIT2_EEPKiS6_PKS3_S8_S4_PS3_21rocsparse_index_base_b.uses_vcc, 1
	.set _ZN9rocsparseL19gebsrmvn_2xn_kernelILj128ELj3ELj16EfEEvi20rocsparse_direction_NS_24const_host_device_scalarIT2_EEPKiS6_PKS3_S8_S4_PS3_21rocsparse_index_base_b.uses_flat_scratch, 0
	.set _ZN9rocsparseL19gebsrmvn_2xn_kernelILj128ELj3ELj16EfEEvi20rocsparse_direction_NS_24const_host_device_scalarIT2_EEPKiS6_PKS3_S8_S4_PS3_21rocsparse_index_base_b.has_dyn_sized_stack, 0
	.set _ZN9rocsparseL19gebsrmvn_2xn_kernelILj128ELj3ELj16EfEEvi20rocsparse_direction_NS_24const_host_device_scalarIT2_EEPKiS6_PKS3_S8_S4_PS3_21rocsparse_index_base_b.has_recursion, 0
	.set _ZN9rocsparseL19gebsrmvn_2xn_kernelILj128ELj3ELj16EfEEvi20rocsparse_direction_NS_24const_host_device_scalarIT2_EEPKiS6_PKS3_S8_S4_PS3_21rocsparse_index_base_b.has_indirect_call, 0
	.section	.AMDGPU.csdata,"",@progbits
; Kernel info:
; codeLenInByte = 1460
; TotalNumSgprs: 22
; NumVgprs: 25
; ScratchSize: 0
; MemoryBound: 0
; FloatMode: 240
; IeeeMode: 1
; LDSByteSize: 0 bytes/workgroup (compile time only)
; SGPRBlocks: 0
; VGPRBlocks: 3
; NumSGPRsForWavesPerEU: 22
; NumVGPRsForWavesPerEU: 25
; Occupancy: 16
; WaveLimiterHint : 1
; COMPUTE_PGM_RSRC2:SCRATCH_EN: 0
; COMPUTE_PGM_RSRC2:USER_SGPR: 6
; COMPUTE_PGM_RSRC2:TRAP_HANDLER: 0
; COMPUTE_PGM_RSRC2:TGID_X_EN: 1
; COMPUTE_PGM_RSRC2:TGID_Y_EN: 0
; COMPUTE_PGM_RSRC2:TGID_Z_EN: 0
; COMPUTE_PGM_RSRC2:TIDIG_COMP_CNT: 0
	.section	.text._ZN9rocsparseL19gebsrmvn_2xn_kernelILj128ELj3ELj32EfEEvi20rocsparse_direction_NS_24const_host_device_scalarIT2_EEPKiS6_PKS3_S8_S4_PS3_21rocsparse_index_base_b,"axG",@progbits,_ZN9rocsparseL19gebsrmvn_2xn_kernelILj128ELj3ELj32EfEEvi20rocsparse_direction_NS_24const_host_device_scalarIT2_EEPKiS6_PKS3_S8_S4_PS3_21rocsparse_index_base_b,comdat
	.globl	_ZN9rocsparseL19gebsrmvn_2xn_kernelILj128ELj3ELj32EfEEvi20rocsparse_direction_NS_24const_host_device_scalarIT2_EEPKiS6_PKS3_S8_S4_PS3_21rocsparse_index_base_b ; -- Begin function _ZN9rocsparseL19gebsrmvn_2xn_kernelILj128ELj3ELj32EfEEvi20rocsparse_direction_NS_24const_host_device_scalarIT2_EEPKiS6_PKS3_S8_S4_PS3_21rocsparse_index_base_b
	.p2align	8
	.type	_ZN9rocsparseL19gebsrmvn_2xn_kernelILj128ELj3ELj32EfEEvi20rocsparse_direction_NS_24const_host_device_scalarIT2_EEPKiS6_PKS3_S8_S4_PS3_21rocsparse_index_base_b,@function
_ZN9rocsparseL19gebsrmvn_2xn_kernelILj128ELj3ELj32EfEEvi20rocsparse_direction_NS_24const_host_device_scalarIT2_EEPKiS6_PKS3_S8_S4_PS3_21rocsparse_index_base_b: ; @_ZN9rocsparseL19gebsrmvn_2xn_kernelILj128ELj3ELj32EfEEvi20rocsparse_direction_NS_24const_host_device_scalarIT2_EEPKiS6_PKS3_S8_S4_PS3_21rocsparse_index_base_b
; %bb.0:
	s_clause 0x2
	s_load_dwordx2 s[18:19], s[4:5], 0x40
	s_load_dwordx2 s[16:17], s[4:5], 0x8
	;; [unrolled: 1-line block ×3, first 2 shown]
	s_waitcnt lgkmcnt(0)
	s_bitcmp1_b32 s19, 0
	s_cselect_b32 s0, -1, 0
	s_and_b32 vcc_lo, exec_lo, s0
	s_xor_b32 s0, s0, -1
	s_cbranch_vccnz .LBB8_2
; %bb.1:
	s_load_dword s16, s[16:17], 0x0
.LBB8_2:
	s_andn2_b32 vcc_lo, exec_lo, s0
	s_cbranch_vccnz .LBB8_4
; %bb.3:
	s_load_dword s2, s[2:3], 0x0
.LBB8_4:
	s_waitcnt lgkmcnt(0)
	v_cmp_eq_f32_e64 s0, s16, 0
	v_cmp_eq_f32_e64 s1, s2, 1.0
	s_and_b32 s0, s0, s1
	s_and_b32 vcc_lo, exec_lo, s0
	s_cbranch_vccnz .LBB8_23
; %bb.5:
	s_load_dwordx2 s[0:1], s[4:5], 0x0
	v_lshrrev_b32_e32 v1, 5, v0
	v_lshl_or_b32 v1, s6, 2, v1
	s_waitcnt lgkmcnt(0)
	v_cmp_gt_i32_e32 vcc_lo, s0, v1
	s_and_saveexec_b32 s0, vcc_lo
	s_cbranch_execz .LBB8_23
; %bb.6:
	s_load_dwordx8 s[8:15], s[4:5], 0x10
	v_ashrrev_i32_e32 v2, 31, v1
	v_and_b32_e32 v0, 31, v0
	s_cmp_lg_u32 s1, 0
	v_lshlrev_b64 v[2:3], 2, v[1:2]
	s_waitcnt lgkmcnt(0)
	v_add_co_u32 v2, vcc_lo, s8, v2
	v_add_co_ci_u32_e64 v3, null, s9, v3, vcc_lo
	global_load_dwordx2 v[2:3], v[2:3], off
	s_waitcnt vmcnt(0)
	v_subrev_nc_u32_e32 v2, s18, v2
	v_subrev_nc_u32_e32 v10, s18, v3
	v_add_nc_u32_e32 v2, v2, v0
	v_cmp_lt_i32_e64 s0, v2, v10
	s_cbranch_scc0 .LBB8_12
; %bb.7:
	v_mov_b32_e32 v8, 0
	v_mov_b32_e32 v9, 0
	s_and_saveexec_b32 s1, s0
	s_cbranch_execz .LBB8_11
; %bb.8:
	v_mov_b32_e32 v4, 0
	v_mul_lo_u32 v3, v2, 6
	v_mov_b32_e32 v5, v2
	s_mov_b32 s3, 0
	v_mov_b32_e32 v8, v4
	v_mov_b32_e32 v9, v4
.LBB8_9:                                ; =>This Inner Loop Header: Depth=1
	v_ashrrev_i32_e32 v6, 31, v5
	v_add_nc_u32_e32 v11, 2, v3
	v_mov_b32_e32 v12, v4
	v_add_nc_u32_e32 v13, 4, v3
	v_mov_b32_e32 v14, v4
	v_lshlrev_b64 v[6:7], 2, v[5:6]
	v_mov_b32_e32 v15, v4
	v_lshlrev_b64 v[11:12], 2, v[11:12]
	;; [unrolled: 2-line block ×3, first 2 shown]
	v_mov_b32_e32 v19, v4
	v_add_co_u32 v6, vcc_lo, s10, v6
	v_add_co_ci_u32_e64 v7, null, s11, v7, vcc_lo
	v_add_nc_u32_e32 v5, 32, v5
	global_load_dword v16, v[6:7], off
	v_lshlrev_b64 v[6:7], 2, v[3:4]
	v_add_nc_u32_e32 v3, 0xc0, v3
	v_add_co_u32 v6, vcc_lo, s12, v6
	v_add_co_ci_u32_e64 v7, null, s13, v7, vcc_lo
	v_add_co_u32 v11, vcc_lo, s12, v11
	v_add_co_ci_u32_e64 v12, null, s13, v12, vcc_lo
	;; [unrolled: 2-line block ×3, first 2 shown]
	s_clause 0x1
	global_load_dwordx2 v[6:7], v[6:7], off
	global_load_dwordx2 v[11:12], v[11:12], off
	s_waitcnt vmcnt(2)
	v_subrev_nc_u32_e32 v13, s18, v16
	v_lshl_add_u32 v14, v13, 1, v13
	v_add_nc_u32_e32 v16, 1, v14
	v_add_nc_u32_e32 v18, 2, v14
	v_lshlrev_b64 v[13:14], 2, v[14:15]
	v_lshlrev_b64 v[15:16], 2, v[16:17]
	;; [unrolled: 1-line block ×3, first 2 shown]
	v_add_co_u32 v13, vcc_lo, s14, v13
	v_add_co_ci_u32_e64 v14, null, s15, v14, vcc_lo
	global_load_dword v19, v[13:14], off
	v_add_co_u32 v13, vcc_lo, s14, v15
	v_add_co_ci_u32_e64 v14, null, s15, v16, vcc_lo
	v_add_co_u32 v15, vcc_lo, s14, v17
	v_add_co_ci_u32_e64 v16, null, s15, v18, vcc_lo
	global_load_dword v17, v[13:14], off
	global_load_dwordx2 v[13:14], v[20:21], off
	global_load_dword v15, v[15:16], off
	v_cmp_ge_i32_e32 vcc_lo, v5, v10
	s_or_b32 s3, vcc_lo, s3
	s_waitcnt vmcnt(3)
	v_fmac_f32_e32 v8, v6, v19
	v_fmac_f32_e32 v9, v7, v19
	s_waitcnt vmcnt(2)
	v_fmac_f32_e32 v8, v11, v17
	v_fmac_f32_e32 v9, v12, v17
	;; [unrolled: 3-line block ×3, first 2 shown]
	s_andn2_b32 exec_lo, exec_lo, s3
	s_cbranch_execnz .LBB8_9
; %bb.10:
	s_or_b32 exec_lo, exec_lo, s3
.LBB8_11:
	s_or_b32 exec_lo, exec_lo, s1
	s_cbranch_execz .LBB8_13
	s_branch .LBB8_18
.LBB8_12:
                                        ; implicit-def: $vgpr8
                                        ; implicit-def: $vgpr9
.LBB8_13:
	v_mov_b32_e32 v8, 0
	v_mov_b32_e32 v9, 0
	s_and_saveexec_b32 s1, s0
	s_cbranch_execz .LBB8_17
; %bb.14:
	v_mad_u64_u32 v[4:5], null, v2, 6, 5
	v_mov_b32_e32 v7, 0
	v_mov_b32_e32 v8, 0
	;; [unrolled: 1-line block ×3, first 2 shown]
	s_mov_b32 s0, 0
.LBB8_15:                               ; =>This Inner Loop Header: Depth=1
	v_ashrrev_i32_e32 v3, 31, v2
	v_add_nc_u32_e32 v11, -2, v4
	v_mov_b32_e32 v12, v7
	v_mov_b32_e32 v13, v7
	v_lshlrev_b64 v[5:6], 2, v[2:3]
	v_add_nc_u32_e32 v2, 32, v2
	v_lshlrev_b64 v[11:12], 2, v[11:12]
	v_add_co_u32 v5, vcc_lo, s10, v5
	v_add_co_ci_u32_e64 v6, null, s11, v6, vcc_lo
	global_load_dword v3, v[5:6], off
	v_add_nc_u32_e32 v6, -5, v4
	v_mov_b32_e32 v5, v7
	v_lshlrev_b64 v[14:15], 2, v[6:7]
	v_lshlrev_b64 v[5:6], 2, v[4:5]
	v_add_co_u32 v14, vcc_lo, s12, v14
	v_add_co_ci_u32_e64 v15, null, s13, v15, vcc_lo
	v_add_co_u32 v11, vcc_lo, s12, v11
	v_add_co_ci_u32_e64 v12, null, s13, v12, vcc_lo
	s_clause 0x1
	global_load_dwordx2 v[14:15], v[14:15], off
	global_load_dword v24, v[11:12], off
	v_add_co_u32 v16, vcc_lo, s12, v5
	v_add_co_ci_u32_e64 v17, null, s13, v6, vcc_lo
	s_waitcnt vmcnt(2)
	v_subrev_nc_u32_e32 v3, s18, v3
	v_lshl_add_u32 v12, v3, 1, v3
	v_add_nc_u32_e32 v6, 1, v12
	v_lshlrev_b64 v[18:19], 2, v[12:13]
	v_lshlrev_b64 v[20:21], 2, v[6:7]
	v_add_nc_u32_e32 v6, -1, v4
	v_add_co_u32 v18, vcc_lo, s14, v18
	v_add_co_ci_u32_e64 v19, null, s15, v19, vcc_lo
	v_lshlrev_b64 v[22:23], 2, v[6:7]
	v_add_nc_u32_e32 v6, -3, v4
	v_add_nc_u32_e32 v4, 0xc0, v4
	global_load_dword v3, v[18:19], off
	v_add_co_u32 v18, vcc_lo, s14, v20
	v_add_co_ci_u32_e64 v19, null, s15, v21, vcc_lo
	v_lshlrev_b64 v[20:21], 2, v[6:7]
	v_add_nc_u32_e32 v6, 2, v12
	v_add_co_u32 v11, vcc_lo, s12, v22
	v_add_co_ci_u32_e64 v12, null, s13, v23, vcc_lo
	v_lshlrev_b64 v[5:6], 2, v[6:7]
	global_load_dword v13, v[18:19], off
	global_load_dword v18, v[11:12], off
	v_add_co_u32 v11, vcc_lo, s12, v20
	v_add_co_ci_u32_e64 v12, null, s13, v21, vcc_lo
	v_add_co_u32 v5, vcc_lo, s14, v5
	v_add_co_ci_u32_e64 v6, null, s15, v6, vcc_lo
	s_clause 0x1
	global_load_dword v16, v[16:17], off
	global_load_dword v11, v[11:12], off
	global_load_dword v5, v[5:6], off
	v_cmp_ge_i32_e32 vcc_lo, v2, v10
	s_or_b32 s0, vcc_lo, s0
	s_waitcnt vmcnt(5)
	v_fmac_f32_e32 v8, v14, v3
	v_fmac_f32_e32 v9, v24, v3
	s_waitcnt vmcnt(4)
	v_fmac_f32_e32 v8, v15, v13
	s_waitcnt vmcnt(3)
	;; [unrolled: 2-line block ×3, first 2 shown]
	v_fmac_f32_e32 v8, v11, v5
	v_fmac_f32_e32 v9, v16, v5
	s_andn2_b32 exec_lo, exec_lo, s0
	s_cbranch_execnz .LBB8_15
; %bb.16:
	s_or_b32 exec_lo, exec_lo, s0
.LBB8_17:
	s_or_b32 exec_lo, exec_lo, s1
.LBB8_18:
	v_mbcnt_lo_u32_b32 v2, -1, 0
	s_mov_b32 s3, -1
	v_xor_b32_e32 v3, 16, v2
	v_xor_b32_e32 v5, 8, v2
	;; [unrolled: 1-line block ×3, first 2 shown]
	v_cmp_gt_i32_e32 vcc_lo, 32, v3
	v_cndmask_b32_e32 v3, v2, v3, vcc_lo
	v_cmp_gt_i32_e32 vcc_lo, 32, v5
	v_lshlrev_b32_e32 v3, 2, v3
	v_cndmask_b32_e32 v5, v2, v5, vcc_lo
	v_cmp_gt_i32_e32 vcc_lo, 32, v7
	ds_bpermute_b32 v4, v3, v8
	ds_bpermute_b32 v3, v3, v9
	v_lshlrev_b32_e32 v5, 2, v5
	v_cndmask_b32_e32 v7, v2, v7, vcc_lo
	v_lshlrev_b32_e32 v7, 2, v7
	s_waitcnt lgkmcnt(1)
	v_add_f32_e32 v4, v8, v4
	s_waitcnt lgkmcnt(0)
	v_add_f32_e32 v3, v9, v3
	ds_bpermute_b32 v6, v5, v4
	ds_bpermute_b32 v5, v5, v3
	s_waitcnt lgkmcnt(1)
	v_add_f32_e32 v4, v4, v6
	s_waitcnt lgkmcnt(0)
	v_add_f32_e32 v3, v3, v5
	ds_bpermute_b32 v5, v7, v4
	ds_bpermute_b32 v6, v7, v3
	v_xor_b32_e32 v7, 2, v2
	v_cmp_gt_i32_e32 vcc_lo, 32, v7
	v_cndmask_b32_e32 v7, v2, v7, vcc_lo
	v_lshlrev_b32_e32 v7, 2, v7
	s_waitcnt lgkmcnt(1)
	v_add_f32_e32 v4, v4, v5
	s_waitcnt lgkmcnt(0)
	v_add_f32_e32 v3, v3, v6
	ds_bpermute_b32 v5, v7, v4
	ds_bpermute_b32 v6, v7, v3
	v_xor_b32_e32 v7, 1, v2
	v_cmp_gt_i32_e32 vcc_lo, 32, v7
	v_cndmask_b32_e32 v2, v2, v7, vcc_lo
	v_cmp_eq_u32_e32 vcc_lo, 31, v0
	v_lshlrev_b32_e32 v7, 2, v2
	s_waitcnt lgkmcnt(1)
	v_add_f32_e32 v2, v4, v5
	s_waitcnt lgkmcnt(0)
	v_add_f32_e32 v3, v3, v6
	ds_bpermute_b32 v4, v7, v2
	ds_bpermute_b32 v5, v7, v3
	s_and_b32 exec_lo, exec_lo, vcc_lo
	s_cbranch_execz .LBB8_23
; %bb.19:
	s_load_dwordx2 s[0:1], s[4:5], 0x38
	s_waitcnt lgkmcnt(0)
	v_add_f32_e32 v0, v2, v4
	v_add_f32_e32 v3, v3, v5
	v_cmp_eq_f32_e64 s4, s2, 0
	v_mul_f32_e32 v2, s16, v0
	v_mul_f32_e32 v3, s16, v3
	v_lshlrev_b32_e32 v0, 1, v1
	s_and_b32 vcc_lo, exec_lo, s4
	s_cbranch_vccz .LBB8_21
; %bb.20:
	v_ashrrev_i32_e32 v1, 31, v0
	s_mov_b32 s3, 0
	v_lshlrev_b64 v[4:5], 2, v[0:1]
	v_add_co_u32 v4, vcc_lo, s0, v4
	v_add_co_ci_u32_e64 v5, null, s1, v5, vcc_lo
	global_store_dwordx2 v[4:5], v[2:3], off
.LBB8_21:
	s_andn2_b32 vcc_lo, exec_lo, s3
	s_cbranch_vccnz .LBB8_23
; %bb.22:
	v_ashrrev_i32_e32 v1, 31, v0
	v_lshlrev_b64 v[0:1], 2, v[0:1]
	v_add_co_u32 v0, vcc_lo, s0, v0
	v_add_co_ci_u32_e64 v1, null, s1, v1, vcc_lo
	global_load_dwordx2 v[4:5], v[0:1], off
	s_waitcnt vmcnt(0)
	v_fmac_f32_e32 v2, s2, v4
	v_fmac_f32_e32 v3, s2, v5
	global_store_dwordx2 v[0:1], v[2:3], off
.LBB8_23:
	s_endpgm
	.section	.rodata,"a",@progbits
	.p2align	6, 0x0
	.amdhsa_kernel _ZN9rocsparseL19gebsrmvn_2xn_kernelILj128ELj3ELj32EfEEvi20rocsparse_direction_NS_24const_host_device_scalarIT2_EEPKiS6_PKS3_S8_S4_PS3_21rocsparse_index_base_b
		.amdhsa_group_segment_fixed_size 0
		.amdhsa_private_segment_fixed_size 0
		.amdhsa_kernarg_size 72
		.amdhsa_user_sgpr_count 6
		.amdhsa_user_sgpr_private_segment_buffer 1
		.amdhsa_user_sgpr_dispatch_ptr 0
		.amdhsa_user_sgpr_queue_ptr 0
		.amdhsa_user_sgpr_kernarg_segment_ptr 1
		.amdhsa_user_sgpr_dispatch_id 0
		.amdhsa_user_sgpr_flat_scratch_init 0
		.amdhsa_user_sgpr_private_segment_size 0
		.amdhsa_wavefront_size32 1
		.amdhsa_uses_dynamic_stack 0
		.amdhsa_system_sgpr_private_segment_wavefront_offset 0
		.amdhsa_system_sgpr_workgroup_id_x 1
		.amdhsa_system_sgpr_workgroup_id_y 0
		.amdhsa_system_sgpr_workgroup_id_z 0
		.amdhsa_system_sgpr_workgroup_info 0
		.amdhsa_system_vgpr_workitem_id 0
		.amdhsa_next_free_vgpr 25
		.amdhsa_next_free_sgpr 20
		.amdhsa_reserve_vcc 1
		.amdhsa_reserve_flat_scratch 0
		.amdhsa_float_round_mode_32 0
		.amdhsa_float_round_mode_16_64 0
		.amdhsa_float_denorm_mode_32 3
		.amdhsa_float_denorm_mode_16_64 3
		.amdhsa_dx10_clamp 1
		.amdhsa_ieee_mode 1
		.amdhsa_fp16_overflow 0
		.amdhsa_workgroup_processor_mode 1
		.amdhsa_memory_ordered 1
		.amdhsa_forward_progress 1
		.amdhsa_shared_vgpr_count 0
		.amdhsa_exception_fp_ieee_invalid_op 0
		.amdhsa_exception_fp_denorm_src 0
		.amdhsa_exception_fp_ieee_div_zero 0
		.amdhsa_exception_fp_ieee_overflow 0
		.amdhsa_exception_fp_ieee_underflow 0
		.amdhsa_exception_fp_ieee_inexact 0
		.amdhsa_exception_int_div_zero 0
	.end_amdhsa_kernel
	.section	.text._ZN9rocsparseL19gebsrmvn_2xn_kernelILj128ELj3ELj32EfEEvi20rocsparse_direction_NS_24const_host_device_scalarIT2_EEPKiS6_PKS3_S8_S4_PS3_21rocsparse_index_base_b,"axG",@progbits,_ZN9rocsparseL19gebsrmvn_2xn_kernelILj128ELj3ELj32EfEEvi20rocsparse_direction_NS_24const_host_device_scalarIT2_EEPKiS6_PKS3_S8_S4_PS3_21rocsparse_index_base_b,comdat
.Lfunc_end8:
	.size	_ZN9rocsparseL19gebsrmvn_2xn_kernelILj128ELj3ELj32EfEEvi20rocsparse_direction_NS_24const_host_device_scalarIT2_EEPKiS6_PKS3_S8_S4_PS3_21rocsparse_index_base_b, .Lfunc_end8-_ZN9rocsparseL19gebsrmvn_2xn_kernelILj128ELj3ELj32EfEEvi20rocsparse_direction_NS_24const_host_device_scalarIT2_EEPKiS6_PKS3_S8_S4_PS3_21rocsparse_index_base_b
                                        ; -- End function
	.set _ZN9rocsparseL19gebsrmvn_2xn_kernelILj128ELj3ELj32EfEEvi20rocsparse_direction_NS_24const_host_device_scalarIT2_EEPKiS6_PKS3_S8_S4_PS3_21rocsparse_index_base_b.num_vgpr, 25
	.set _ZN9rocsparseL19gebsrmvn_2xn_kernelILj128ELj3ELj32EfEEvi20rocsparse_direction_NS_24const_host_device_scalarIT2_EEPKiS6_PKS3_S8_S4_PS3_21rocsparse_index_base_b.num_agpr, 0
	.set _ZN9rocsparseL19gebsrmvn_2xn_kernelILj128ELj3ELj32EfEEvi20rocsparse_direction_NS_24const_host_device_scalarIT2_EEPKiS6_PKS3_S8_S4_PS3_21rocsparse_index_base_b.numbered_sgpr, 20
	.set _ZN9rocsparseL19gebsrmvn_2xn_kernelILj128ELj3ELj32EfEEvi20rocsparse_direction_NS_24const_host_device_scalarIT2_EEPKiS6_PKS3_S8_S4_PS3_21rocsparse_index_base_b.num_named_barrier, 0
	.set _ZN9rocsparseL19gebsrmvn_2xn_kernelILj128ELj3ELj32EfEEvi20rocsparse_direction_NS_24const_host_device_scalarIT2_EEPKiS6_PKS3_S8_S4_PS3_21rocsparse_index_base_b.private_seg_size, 0
	.set _ZN9rocsparseL19gebsrmvn_2xn_kernelILj128ELj3ELj32EfEEvi20rocsparse_direction_NS_24const_host_device_scalarIT2_EEPKiS6_PKS3_S8_S4_PS3_21rocsparse_index_base_b.uses_vcc, 1
	.set _ZN9rocsparseL19gebsrmvn_2xn_kernelILj128ELj3ELj32EfEEvi20rocsparse_direction_NS_24const_host_device_scalarIT2_EEPKiS6_PKS3_S8_S4_PS3_21rocsparse_index_base_b.uses_flat_scratch, 0
	.set _ZN9rocsparseL19gebsrmvn_2xn_kernelILj128ELj3ELj32EfEEvi20rocsparse_direction_NS_24const_host_device_scalarIT2_EEPKiS6_PKS3_S8_S4_PS3_21rocsparse_index_base_b.has_dyn_sized_stack, 0
	.set _ZN9rocsparseL19gebsrmvn_2xn_kernelILj128ELj3ELj32EfEEvi20rocsparse_direction_NS_24const_host_device_scalarIT2_EEPKiS6_PKS3_S8_S4_PS3_21rocsparse_index_base_b.has_recursion, 0
	.set _ZN9rocsparseL19gebsrmvn_2xn_kernelILj128ELj3ELj32EfEEvi20rocsparse_direction_NS_24const_host_device_scalarIT2_EEPKiS6_PKS3_S8_S4_PS3_21rocsparse_index_base_b.has_indirect_call, 0
	.section	.AMDGPU.csdata,"",@progbits
; Kernel info:
; codeLenInByte = 1508
; TotalNumSgprs: 22
; NumVgprs: 25
; ScratchSize: 0
; MemoryBound: 0
; FloatMode: 240
; IeeeMode: 1
; LDSByteSize: 0 bytes/workgroup (compile time only)
; SGPRBlocks: 0
; VGPRBlocks: 3
; NumSGPRsForWavesPerEU: 22
; NumVGPRsForWavesPerEU: 25
; Occupancy: 16
; WaveLimiterHint : 1
; COMPUTE_PGM_RSRC2:SCRATCH_EN: 0
; COMPUTE_PGM_RSRC2:USER_SGPR: 6
; COMPUTE_PGM_RSRC2:TRAP_HANDLER: 0
; COMPUTE_PGM_RSRC2:TGID_X_EN: 1
; COMPUTE_PGM_RSRC2:TGID_Y_EN: 0
; COMPUTE_PGM_RSRC2:TGID_Z_EN: 0
; COMPUTE_PGM_RSRC2:TIDIG_COMP_CNT: 0
	.section	.text._ZN9rocsparseL19gebsrmvn_2xn_kernelILj128ELj3ELj64EfEEvi20rocsparse_direction_NS_24const_host_device_scalarIT2_EEPKiS6_PKS3_S8_S4_PS3_21rocsparse_index_base_b,"axG",@progbits,_ZN9rocsparseL19gebsrmvn_2xn_kernelILj128ELj3ELj64EfEEvi20rocsparse_direction_NS_24const_host_device_scalarIT2_EEPKiS6_PKS3_S8_S4_PS3_21rocsparse_index_base_b,comdat
	.globl	_ZN9rocsparseL19gebsrmvn_2xn_kernelILj128ELj3ELj64EfEEvi20rocsparse_direction_NS_24const_host_device_scalarIT2_EEPKiS6_PKS3_S8_S4_PS3_21rocsparse_index_base_b ; -- Begin function _ZN9rocsparseL19gebsrmvn_2xn_kernelILj128ELj3ELj64EfEEvi20rocsparse_direction_NS_24const_host_device_scalarIT2_EEPKiS6_PKS3_S8_S4_PS3_21rocsparse_index_base_b
	.p2align	8
	.type	_ZN9rocsparseL19gebsrmvn_2xn_kernelILj128ELj3ELj64EfEEvi20rocsparse_direction_NS_24const_host_device_scalarIT2_EEPKiS6_PKS3_S8_S4_PS3_21rocsparse_index_base_b,@function
_ZN9rocsparseL19gebsrmvn_2xn_kernelILj128ELj3ELj64EfEEvi20rocsparse_direction_NS_24const_host_device_scalarIT2_EEPKiS6_PKS3_S8_S4_PS3_21rocsparse_index_base_b: ; @_ZN9rocsparseL19gebsrmvn_2xn_kernelILj128ELj3ELj64EfEEvi20rocsparse_direction_NS_24const_host_device_scalarIT2_EEPKiS6_PKS3_S8_S4_PS3_21rocsparse_index_base_b
; %bb.0:
	s_clause 0x2
	s_load_dwordx2 s[18:19], s[4:5], 0x40
	s_load_dwordx2 s[16:17], s[4:5], 0x8
	;; [unrolled: 1-line block ×3, first 2 shown]
	s_waitcnt lgkmcnt(0)
	s_bitcmp1_b32 s19, 0
	s_cselect_b32 s0, -1, 0
	s_and_b32 vcc_lo, exec_lo, s0
	s_xor_b32 s0, s0, -1
	s_cbranch_vccnz .LBB9_2
; %bb.1:
	s_load_dword s16, s[16:17], 0x0
.LBB9_2:
	s_andn2_b32 vcc_lo, exec_lo, s0
	s_cbranch_vccnz .LBB9_4
; %bb.3:
	s_load_dword s2, s[2:3], 0x0
.LBB9_4:
	s_waitcnt lgkmcnt(0)
	v_cmp_eq_f32_e64 s0, s16, 0
	v_cmp_eq_f32_e64 s1, s2, 1.0
	s_and_b32 s0, s0, s1
	s_and_b32 vcc_lo, exec_lo, s0
	s_cbranch_vccnz .LBB9_23
; %bb.5:
	s_load_dwordx2 s[0:1], s[4:5], 0x0
	v_lshrrev_b32_e32 v1, 6, v0
	v_lshl_or_b32 v1, s6, 1, v1
	s_waitcnt lgkmcnt(0)
	v_cmp_gt_i32_e32 vcc_lo, s0, v1
	s_and_saveexec_b32 s0, vcc_lo
	s_cbranch_execz .LBB9_23
; %bb.6:
	s_load_dwordx8 s[8:15], s[4:5], 0x10
	v_ashrrev_i32_e32 v2, 31, v1
	v_and_b32_e32 v0, 63, v0
	s_cmp_lg_u32 s1, 0
	v_lshlrev_b64 v[2:3], 2, v[1:2]
	s_waitcnt lgkmcnt(0)
	v_add_co_u32 v2, vcc_lo, s8, v2
	v_add_co_ci_u32_e64 v3, null, s9, v3, vcc_lo
	global_load_dwordx2 v[2:3], v[2:3], off
	s_waitcnt vmcnt(0)
	v_subrev_nc_u32_e32 v2, s18, v2
	v_subrev_nc_u32_e32 v10, s18, v3
	v_add_nc_u32_e32 v2, v2, v0
	v_cmp_lt_i32_e64 s0, v2, v10
	s_cbranch_scc0 .LBB9_12
; %bb.7:
	v_mov_b32_e32 v8, 0
	v_mov_b32_e32 v9, 0
	s_and_saveexec_b32 s1, s0
	s_cbranch_execz .LBB9_11
; %bb.8:
	v_mov_b32_e32 v4, 0
	v_mul_lo_u32 v3, v2, 6
	v_mov_b32_e32 v5, v2
	s_mov_b32 s3, 0
	v_mov_b32_e32 v8, v4
	v_mov_b32_e32 v9, v4
.LBB9_9:                                ; =>This Inner Loop Header: Depth=1
	v_ashrrev_i32_e32 v6, 31, v5
	v_add_nc_u32_e32 v11, 2, v3
	v_mov_b32_e32 v12, v4
	v_add_nc_u32_e32 v13, 4, v3
	v_mov_b32_e32 v14, v4
	v_lshlrev_b64 v[6:7], 2, v[5:6]
	v_mov_b32_e32 v15, v4
	v_lshlrev_b64 v[11:12], 2, v[11:12]
	;; [unrolled: 2-line block ×3, first 2 shown]
	v_mov_b32_e32 v19, v4
	v_add_co_u32 v6, vcc_lo, s10, v6
	v_add_co_ci_u32_e64 v7, null, s11, v7, vcc_lo
	v_add_nc_u32_e32 v5, 64, v5
	global_load_dword v16, v[6:7], off
	v_lshlrev_b64 v[6:7], 2, v[3:4]
	v_add_nc_u32_e32 v3, 0x180, v3
	v_add_co_u32 v6, vcc_lo, s12, v6
	v_add_co_ci_u32_e64 v7, null, s13, v7, vcc_lo
	v_add_co_u32 v11, vcc_lo, s12, v11
	v_add_co_ci_u32_e64 v12, null, s13, v12, vcc_lo
	v_add_co_u32 v20, vcc_lo, s12, v13
	v_add_co_ci_u32_e64 v21, null, s13, v14, vcc_lo
	s_clause 0x1
	global_load_dwordx2 v[6:7], v[6:7], off
	global_load_dwordx2 v[11:12], v[11:12], off
	s_waitcnt vmcnt(2)
	v_subrev_nc_u32_e32 v13, s18, v16
	v_lshl_add_u32 v14, v13, 1, v13
	v_add_nc_u32_e32 v16, 1, v14
	v_add_nc_u32_e32 v18, 2, v14
	v_lshlrev_b64 v[13:14], 2, v[14:15]
	v_lshlrev_b64 v[15:16], 2, v[16:17]
	;; [unrolled: 1-line block ×3, first 2 shown]
	v_add_co_u32 v13, vcc_lo, s14, v13
	v_add_co_ci_u32_e64 v14, null, s15, v14, vcc_lo
	global_load_dword v19, v[13:14], off
	v_add_co_u32 v13, vcc_lo, s14, v15
	v_add_co_ci_u32_e64 v14, null, s15, v16, vcc_lo
	v_add_co_u32 v15, vcc_lo, s14, v17
	v_add_co_ci_u32_e64 v16, null, s15, v18, vcc_lo
	global_load_dword v17, v[13:14], off
	global_load_dwordx2 v[13:14], v[20:21], off
	global_load_dword v15, v[15:16], off
	v_cmp_ge_i32_e32 vcc_lo, v5, v10
	s_or_b32 s3, vcc_lo, s3
	s_waitcnt vmcnt(3)
	v_fmac_f32_e32 v8, v6, v19
	v_fmac_f32_e32 v9, v7, v19
	s_waitcnt vmcnt(2)
	v_fmac_f32_e32 v8, v11, v17
	v_fmac_f32_e32 v9, v12, v17
	;; [unrolled: 3-line block ×3, first 2 shown]
	s_andn2_b32 exec_lo, exec_lo, s3
	s_cbranch_execnz .LBB9_9
; %bb.10:
	s_or_b32 exec_lo, exec_lo, s3
.LBB9_11:
	s_or_b32 exec_lo, exec_lo, s1
	s_cbranch_execz .LBB9_13
	s_branch .LBB9_18
.LBB9_12:
                                        ; implicit-def: $vgpr8
                                        ; implicit-def: $vgpr9
.LBB9_13:
	v_mov_b32_e32 v8, 0
	v_mov_b32_e32 v9, 0
	s_and_saveexec_b32 s1, s0
	s_cbranch_execz .LBB9_17
; %bb.14:
	v_mad_u64_u32 v[4:5], null, v2, 6, 5
	v_mov_b32_e32 v7, 0
	v_mov_b32_e32 v8, 0
	;; [unrolled: 1-line block ×3, first 2 shown]
	s_mov_b32 s0, 0
.LBB9_15:                               ; =>This Inner Loop Header: Depth=1
	v_ashrrev_i32_e32 v3, 31, v2
	v_add_nc_u32_e32 v11, -2, v4
	v_mov_b32_e32 v12, v7
	v_mov_b32_e32 v13, v7
	v_lshlrev_b64 v[5:6], 2, v[2:3]
	v_add_nc_u32_e32 v2, 64, v2
	v_lshlrev_b64 v[11:12], 2, v[11:12]
	v_add_co_u32 v5, vcc_lo, s10, v5
	v_add_co_ci_u32_e64 v6, null, s11, v6, vcc_lo
	global_load_dword v3, v[5:6], off
	v_add_nc_u32_e32 v6, -5, v4
	v_mov_b32_e32 v5, v7
	v_lshlrev_b64 v[14:15], 2, v[6:7]
	v_lshlrev_b64 v[5:6], 2, v[4:5]
	v_add_co_u32 v14, vcc_lo, s12, v14
	v_add_co_ci_u32_e64 v15, null, s13, v15, vcc_lo
	v_add_co_u32 v11, vcc_lo, s12, v11
	v_add_co_ci_u32_e64 v12, null, s13, v12, vcc_lo
	s_clause 0x1
	global_load_dwordx2 v[14:15], v[14:15], off
	global_load_dword v24, v[11:12], off
	v_add_co_u32 v16, vcc_lo, s12, v5
	v_add_co_ci_u32_e64 v17, null, s13, v6, vcc_lo
	s_waitcnt vmcnt(2)
	v_subrev_nc_u32_e32 v3, s18, v3
	v_lshl_add_u32 v12, v3, 1, v3
	v_add_nc_u32_e32 v6, 1, v12
	v_lshlrev_b64 v[18:19], 2, v[12:13]
	v_lshlrev_b64 v[20:21], 2, v[6:7]
	v_add_nc_u32_e32 v6, -1, v4
	v_add_co_u32 v18, vcc_lo, s14, v18
	v_add_co_ci_u32_e64 v19, null, s15, v19, vcc_lo
	v_lshlrev_b64 v[22:23], 2, v[6:7]
	v_add_nc_u32_e32 v6, -3, v4
	v_add_nc_u32_e32 v4, 0x180, v4
	global_load_dword v3, v[18:19], off
	v_add_co_u32 v18, vcc_lo, s14, v20
	v_add_co_ci_u32_e64 v19, null, s15, v21, vcc_lo
	v_lshlrev_b64 v[20:21], 2, v[6:7]
	v_add_nc_u32_e32 v6, 2, v12
	v_add_co_u32 v11, vcc_lo, s12, v22
	v_add_co_ci_u32_e64 v12, null, s13, v23, vcc_lo
	v_lshlrev_b64 v[5:6], 2, v[6:7]
	global_load_dword v13, v[18:19], off
	global_load_dword v18, v[11:12], off
	v_add_co_u32 v11, vcc_lo, s12, v20
	v_add_co_ci_u32_e64 v12, null, s13, v21, vcc_lo
	v_add_co_u32 v5, vcc_lo, s14, v5
	v_add_co_ci_u32_e64 v6, null, s15, v6, vcc_lo
	s_clause 0x1
	global_load_dword v16, v[16:17], off
	global_load_dword v11, v[11:12], off
	;; [unrolled: 1-line block ×3, first 2 shown]
	v_cmp_ge_i32_e32 vcc_lo, v2, v10
	s_or_b32 s0, vcc_lo, s0
	s_waitcnt vmcnt(5)
	v_fmac_f32_e32 v8, v14, v3
	v_fmac_f32_e32 v9, v24, v3
	s_waitcnt vmcnt(4)
	v_fmac_f32_e32 v8, v15, v13
	s_waitcnt vmcnt(3)
	;; [unrolled: 2-line block ×3, first 2 shown]
	v_fmac_f32_e32 v8, v11, v5
	v_fmac_f32_e32 v9, v16, v5
	s_andn2_b32 exec_lo, exec_lo, s0
	s_cbranch_execnz .LBB9_15
; %bb.16:
	s_or_b32 exec_lo, exec_lo, s0
.LBB9_17:
	s_or_b32 exec_lo, exec_lo, s1
.LBB9_18:
	v_mbcnt_lo_u32_b32 v2, -1, 0
	s_mov_b32 s3, -1
	v_or_b32_e32 v3, 32, v2
	v_xor_b32_e32 v5, 16, v2
	v_xor_b32_e32 v7, 8, v2
	v_cmp_gt_i32_e32 vcc_lo, 32, v3
	v_cndmask_b32_e32 v3, v2, v3, vcc_lo
	v_cmp_gt_i32_e32 vcc_lo, 32, v5
	v_lshlrev_b32_e32 v3, 2, v3
	v_cndmask_b32_e32 v5, v2, v5, vcc_lo
	v_cmp_gt_i32_e32 vcc_lo, 32, v7
	ds_bpermute_b32 v4, v3, v8
	ds_bpermute_b32 v3, v3, v9
	v_lshlrev_b32_e32 v5, 2, v5
	v_cndmask_b32_e32 v7, v2, v7, vcc_lo
	v_lshlrev_b32_e32 v7, 2, v7
	s_waitcnt lgkmcnt(1)
	v_add_f32_e32 v4, v8, v4
	s_waitcnt lgkmcnt(0)
	v_add_f32_e32 v3, v9, v3
	ds_bpermute_b32 v6, v5, v4
	ds_bpermute_b32 v5, v5, v3
	s_waitcnt lgkmcnt(1)
	v_add_f32_e32 v4, v4, v6
	s_waitcnt lgkmcnt(0)
	v_add_f32_e32 v3, v3, v5
	ds_bpermute_b32 v5, v7, v4
	ds_bpermute_b32 v6, v7, v3
	v_xor_b32_e32 v7, 4, v2
	v_cmp_gt_i32_e32 vcc_lo, 32, v7
	v_cndmask_b32_e32 v7, v2, v7, vcc_lo
	v_lshlrev_b32_e32 v7, 2, v7
	s_waitcnt lgkmcnt(1)
	v_add_f32_e32 v4, v4, v5
	s_waitcnt lgkmcnt(0)
	v_add_f32_e32 v3, v3, v6
	ds_bpermute_b32 v5, v7, v4
	ds_bpermute_b32 v6, v7, v3
	v_xor_b32_e32 v7, 2, v2
	v_cmp_gt_i32_e32 vcc_lo, 32, v7
	v_cndmask_b32_e32 v7, v2, v7, vcc_lo
	v_lshlrev_b32_e32 v7, 2, v7
	s_waitcnt lgkmcnt(1)
	v_add_f32_e32 v4, v4, v5
	s_waitcnt lgkmcnt(0)
	v_add_f32_e32 v3, v3, v6
	ds_bpermute_b32 v5, v7, v4
	ds_bpermute_b32 v6, v7, v3
	v_xor_b32_e32 v7, 1, v2
	v_cmp_gt_i32_e32 vcc_lo, 32, v7
	v_cndmask_b32_e32 v2, v2, v7, vcc_lo
	v_cmp_eq_u32_e32 vcc_lo, 63, v0
	v_lshlrev_b32_e32 v7, 2, v2
	s_waitcnt lgkmcnt(1)
	v_add_f32_e32 v2, v4, v5
	s_waitcnt lgkmcnt(0)
	v_add_f32_e32 v3, v3, v6
	ds_bpermute_b32 v4, v7, v2
	ds_bpermute_b32 v5, v7, v3
	s_and_b32 exec_lo, exec_lo, vcc_lo
	s_cbranch_execz .LBB9_23
; %bb.19:
	s_load_dwordx2 s[0:1], s[4:5], 0x38
	s_waitcnt lgkmcnt(0)
	v_add_f32_e32 v0, v2, v4
	v_add_f32_e32 v3, v3, v5
	v_cmp_eq_f32_e64 s4, s2, 0
	v_mul_f32_e32 v2, s16, v0
	v_mul_f32_e32 v3, s16, v3
	v_lshlrev_b32_e32 v0, 1, v1
	s_and_b32 vcc_lo, exec_lo, s4
	s_cbranch_vccz .LBB9_21
; %bb.20:
	v_ashrrev_i32_e32 v1, 31, v0
	s_mov_b32 s3, 0
	v_lshlrev_b64 v[4:5], 2, v[0:1]
	v_add_co_u32 v4, vcc_lo, s0, v4
	v_add_co_ci_u32_e64 v5, null, s1, v5, vcc_lo
	global_store_dwordx2 v[4:5], v[2:3], off
.LBB9_21:
	s_andn2_b32 vcc_lo, exec_lo, s3
	s_cbranch_vccnz .LBB9_23
; %bb.22:
	v_ashrrev_i32_e32 v1, 31, v0
	v_lshlrev_b64 v[0:1], 2, v[0:1]
	v_add_co_u32 v0, vcc_lo, s0, v0
	v_add_co_ci_u32_e64 v1, null, s1, v1, vcc_lo
	global_load_dwordx2 v[4:5], v[0:1], off
	s_waitcnt vmcnt(0)
	v_fmac_f32_e32 v2, s2, v4
	v_fmac_f32_e32 v3, s2, v5
	global_store_dwordx2 v[0:1], v[2:3], off
.LBB9_23:
	s_endpgm
	.section	.rodata,"a",@progbits
	.p2align	6, 0x0
	.amdhsa_kernel _ZN9rocsparseL19gebsrmvn_2xn_kernelILj128ELj3ELj64EfEEvi20rocsparse_direction_NS_24const_host_device_scalarIT2_EEPKiS6_PKS3_S8_S4_PS3_21rocsparse_index_base_b
		.amdhsa_group_segment_fixed_size 0
		.amdhsa_private_segment_fixed_size 0
		.amdhsa_kernarg_size 72
		.amdhsa_user_sgpr_count 6
		.amdhsa_user_sgpr_private_segment_buffer 1
		.amdhsa_user_sgpr_dispatch_ptr 0
		.amdhsa_user_sgpr_queue_ptr 0
		.amdhsa_user_sgpr_kernarg_segment_ptr 1
		.amdhsa_user_sgpr_dispatch_id 0
		.amdhsa_user_sgpr_flat_scratch_init 0
		.amdhsa_user_sgpr_private_segment_size 0
		.amdhsa_wavefront_size32 1
		.amdhsa_uses_dynamic_stack 0
		.amdhsa_system_sgpr_private_segment_wavefront_offset 0
		.amdhsa_system_sgpr_workgroup_id_x 1
		.amdhsa_system_sgpr_workgroup_id_y 0
		.amdhsa_system_sgpr_workgroup_id_z 0
		.amdhsa_system_sgpr_workgroup_info 0
		.amdhsa_system_vgpr_workitem_id 0
		.amdhsa_next_free_vgpr 25
		.amdhsa_next_free_sgpr 20
		.amdhsa_reserve_vcc 1
		.amdhsa_reserve_flat_scratch 0
		.amdhsa_float_round_mode_32 0
		.amdhsa_float_round_mode_16_64 0
		.amdhsa_float_denorm_mode_32 3
		.amdhsa_float_denorm_mode_16_64 3
		.amdhsa_dx10_clamp 1
		.amdhsa_ieee_mode 1
		.amdhsa_fp16_overflow 0
		.amdhsa_workgroup_processor_mode 1
		.amdhsa_memory_ordered 1
		.amdhsa_forward_progress 1
		.amdhsa_shared_vgpr_count 0
		.amdhsa_exception_fp_ieee_invalid_op 0
		.amdhsa_exception_fp_denorm_src 0
		.amdhsa_exception_fp_ieee_div_zero 0
		.amdhsa_exception_fp_ieee_overflow 0
		.amdhsa_exception_fp_ieee_underflow 0
		.amdhsa_exception_fp_ieee_inexact 0
		.amdhsa_exception_int_div_zero 0
	.end_amdhsa_kernel
	.section	.text._ZN9rocsparseL19gebsrmvn_2xn_kernelILj128ELj3ELj64EfEEvi20rocsparse_direction_NS_24const_host_device_scalarIT2_EEPKiS6_PKS3_S8_S4_PS3_21rocsparse_index_base_b,"axG",@progbits,_ZN9rocsparseL19gebsrmvn_2xn_kernelILj128ELj3ELj64EfEEvi20rocsparse_direction_NS_24const_host_device_scalarIT2_EEPKiS6_PKS3_S8_S4_PS3_21rocsparse_index_base_b,comdat
.Lfunc_end9:
	.size	_ZN9rocsparseL19gebsrmvn_2xn_kernelILj128ELj3ELj64EfEEvi20rocsparse_direction_NS_24const_host_device_scalarIT2_EEPKiS6_PKS3_S8_S4_PS3_21rocsparse_index_base_b, .Lfunc_end9-_ZN9rocsparseL19gebsrmvn_2xn_kernelILj128ELj3ELj64EfEEvi20rocsparse_direction_NS_24const_host_device_scalarIT2_EEPKiS6_PKS3_S8_S4_PS3_21rocsparse_index_base_b
                                        ; -- End function
	.set _ZN9rocsparseL19gebsrmvn_2xn_kernelILj128ELj3ELj64EfEEvi20rocsparse_direction_NS_24const_host_device_scalarIT2_EEPKiS6_PKS3_S8_S4_PS3_21rocsparse_index_base_b.num_vgpr, 25
	.set _ZN9rocsparseL19gebsrmvn_2xn_kernelILj128ELj3ELj64EfEEvi20rocsparse_direction_NS_24const_host_device_scalarIT2_EEPKiS6_PKS3_S8_S4_PS3_21rocsparse_index_base_b.num_agpr, 0
	.set _ZN9rocsparseL19gebsrmvn_2xn_kernelILj128ELj3ELj64EfEEvi20rocsparse_direction_NS_24const_host_device_scalarIT2_EEPKiS6_PKS3_S8_S4_PS3_21rocsparse_index_base_b.numbered_sgpr, 20
	.set _ZN9rocsparseL19gebsrmvn_2xn_kernelILj128ELj3ELj64EfEEvi20rocsparse_direction_NS_24const_host_device_scalarIT2_EEPKiS6_PKS3_S8_S4_PS3_21rocsparse_index_base_b.num_named_barrier, 0
	.set _ZN9rocsparseL19gebsrmvn_2xn_kernelILj128ELj3ELj64EfEEvi20rocsparse_direction_NS_24const_host_device_scalarIT2_EEPKiS6_PKS3_S8_S4_PS3_21rocsparse_index_base_b.private_seg_size, 0
	.set _ZN9rocsparseL19gebsrmvn_2xn_kernelILj128ELj3ELj64EfEEvi20rocsparse_direction_NS_24const_host_device_scalarIT2_EEPKiS6_PKS3_S8_S4_PS3_21rocsparse_index_base_b.uses_vcc, 1
	.set _ZN9rocsparseL19gebsrmvn_2xn_kernelILj128ELj3ELj64EfEEvi20rocsparse_direction_NS_24const_host_device_scalarIT2_EEPKiS6_PKS3_S8_S4_PS3_21rocsparse_index_base_b.uses_flat_scratch, 0
	.set _ZN9rocsparseL19gebsrmvn_2xn_kernelILj128ELj3ELj64EfEEvi20rocsparse_direction_NS_24const_host_device_scalarIT2_EEPKiS6_PKS3_S8_S4_PS3_21rocsparse_index_base_b.has_dyn_sized_stack, 0
	.set _ZN9rocsparseL19gebsrmvn_2xn_kernelILj128ELj3ELj64EfEEvi20rocsparse_direction_NS_24const_host_device_scalarIT2_EEPKiS6_PKS3_S8_S4_PS3_21rocsparse_index_base_b.has_recursion, 0
	.set _ZN9rocsparseL19gebsrmvn_2xn_kernelILj128ELj3ELj64EfEEvi20rocsparse_direction_NS_24const_host_device_scalarIT2_EEPKiS6_PKS3_S8_S4_PS3_21rocsparse_index_base_b.has_indirect_call, 0
	.section	.AMDGPU.csdata,"",@progbits
; Kernel info:
; codeLenInByte = 1556
; TotalNumSgprs: 22
; NumVgprs: 25
; ScratchSize: 0
; MemoryBound: 0
; FloatMode: 240
; IeeeMode: 1
; LDSByteSize: 0 bytes/workgroup (compile time only)
; SGPRBlocks: 0
; VGPRBlocks: 3
; NumSGPRsForWavesPerEU: 22
; NumVGPRsForWavesPerEU: 25
; Occupancy: 16
; WaveLimiterHint : 1
; COMPUTE_PGM_RSRC2:SCRATCH_EN: 0
; COMPUTE_PGM_RSRC2:USER_SGPR: 6
; COMPUTE_PGM_RSRC2:TRAP_HANDLER: 0
; COMPUTE_PGM_RSRC2:TGID_X_EN: 1
; COMPUTE_PGM_RSRC2:TGID_Y_EN: 0
; COMPUTE_PGM_RSRC2:TGID_Z_EN: 0
; COMPUTE_PGM_RSRC2:TIDIG_COMP_CNT: 0
	.section	.text._ZN9rocsparseL19gebsrmvn_2xn_kernelILj128ELj4ELj4EfEEvi20rocsparse_direction_NS_24const_host_device_scalarIT2_EEPKiS6_PKS3_S8_S4_PS3_21rocsparse_index_base_b,"axG",@progbits,_ZN9rocsparseL19gebsrmvn_2xn_kernelILj128ELj4ELj4EfEEvi20rocsparse_direction_NS_24const_host_device_scalarIT2_EEPKiS6_PKS3_S8_S4_PS3_21rocsparse_index_base_b,comdat
	.globl	_ZN9rocsparseL19gebsrmvn_2xn_kernelILj128ELj4ELj4EfEEvi20rocsparse_direction_NS_24const_host_device_scalarIT2_EEPKiS6_PKS3_S8_S4_PS3_21rocsparse_index_base_b ; -- Begin function _ZN9rocsparseL19gebsrmvn_2xn_kernelILj128ELj4ELj4EfEEvi20rocsparse_direction_NS_24const_host_device_scalarIT2_EEPKiS6_PKS3_S8_S4_PS3_21rocsparse_index_base_b
	.p2align	8
	.type	_ZN9rocsparseL19gebsrmvn_2xn_kernelILj128ELj4ELj4EfEEvi20rocsparse_direction_NS_24const_host_device_scalarIT2_EEPKiS6_PKS3_S8_S4_PS3_21rocsparse_index_base_b,@function
_ZN9rocsparseL19gebsrmvn_2xn_kernelILj128ELj4ELj4EfEEvi20rocsparse_direction_NS_24const_host_device_scalarIT2_EEPKiS6_PKS3_S8_S4_PS3_21rocsparse_index_base_b: ; @_ZN9rocsparseL19gebsrmvn_2xn_kernelILj128ELj4ELj4EfEEvi20rocsparse_direction_NS_24const_host_device_scalarIT2_EEPKiS6_PKS3_S8_S4_PS3_21rocsparse_index_base_b
; %bb.0:
	s_clause 0x2
	s_load_dwordx2 s[18:19], s[4:5], 0x40
	s_load_dwordx2 s[16:17], s[4:5], 0x8
	;; [unrolled: 1-line block ×3, first 2 shown]
	s_waitcnt lgkmcnt(0)
	s_bitcmp1_b32 s19, 0
	s_cselect_b32 s0, -1, 0
	s_and_b32 vcc_lo, exec_lo, s0
	s_xor_b32 s0, s0, -1
	s_cbranch_vccnz .LBB10_2
; %bb.1:
	s_load_dword s16, s[16:17], 0x0
.LBB10_2:
	s_andn2_b32 vcc_lo, exec_lo, s0
	s_cbranch_vccnz .LBB10_4
; %bb.3:
	s_load_dword s2, s[2:3], 0x0
.LBB10_4:
	s_waitcnt lgkmcnt(0)
	v_cmp_eq_f32_e64 s0, s16, 0
	v_cmp_eq_f32_e64 s1, s2, 1.0
	s_and_b32 s0, s0, s1
	s_and_b32 vcc_lo, exec_lo, s0
	s_cbranch_vccnz .LBB10_23
; %bb.5:
	s_load_dwordx2 s[0:1], s[4:5], 0x0
	v_lshrrev_b32_e32 v1, 2, v0
	v_lshl_or_b32 v1, s6, 5, v1
	s_waitcnt lgkmcnt(0)
	v_cmp_gt_i32_e32 vcc_lo, s0, v1
	s_and_saveexec_b32 s0, vcc_lo
	s_cbranch_execz .LBB10_23
; %bb.6:
	s_load_dwordx8 s[8:15], s[4:5], 0x10
	v_ashrrev_i32_e32 v2, 31, v1
	v_and_b32_e32 v0, 3, v0
	s_cmp_lg_u32 s1, 0
	v_lshlrev_b64 v[2:3], 2, v[1:2]
	s_waitcnt lgkmcnt(0)
	v_add_co_u32 v2, vcc_lo, s8, v2
	v_add_co_ci_u32_e64 v3, null, s9, v3, vcc_lo
	global_load_dwordx2 v[2:3], v[2:3], off
	s_waitcnt vmcnt(0)
	v_subrev_nc_u32_e32 v2, s18, v2
	v_subrev_nc_u32_e32 v9, s18, v3
	v_add_nc_u32_e32 v2, v2, v0
	v_cmp_lt_i32_e64 s0, v2, v9
	s_cbranch_scc0 .LBB10_12
; %bb.7:
	v_mov_b32_e32 v7, 0
	v_mov_b32_e32 v8, 0
	s_and_saveexec_b32 s1, s0
	s_cbranch_execz .LBB10_11
; %bb.8:
	v_mov_b32_e32 v4, 0
	v_lshlrev_b32_e32 v3, 3, v2
	v_mov_b32_e32 v5, v2
	s_mov_b32 s3, 0
	v_mov_b32_e32 v7, v4
	v_mov_b32_e32 v8, v4
	s_inst_prefetch 0x1
	.p2align	6
.LBB10_9:                               ; =>This Inner Loop Header: Depth=1
	v_ashrrev_i32_e32 v6, 31, v5
	v_mov_b32_e32 v13, v4
	v_lshlrev_b64 v[10:11], 2, v[5:6]
	v_add_nc_u32_e32 v5, 4, v5
	v_add_co_u32 v10, vcc_lo, s10, v10
	v_add_co_ci_u32_e64 v11, null, s11, v11, vcc_lo
	global_load_dword v6, v[10:11], off
	v_lshlrev_b64 v[10:11], 2, v[3:4]
	v_add_nc_u32_e32 v3, 32, v3
	v_add_co_u32 v14, vcc_lo, s12, v10
	v_add_co_ci_u32_e64 v15, null, s13, v11, vcc_lo
	s_waitcnt vmcnt(0)
	v_subrev_nc_u32_e32 v6, s18, v6
	v_lshlrev_b32_e32 v12, 2, v6
	v_lshlrev_b64 v[12:13], 2, v[12:13]
	v_add_co_u32 v18, vcc_lo, s14, v12
	v_add_co_ci_u32_e64 v19, null, s15, v13, vcc_lo
	v_cmp_ge_i32_e32 vcc_lo, v5, v9
	s_clause 0x1
	global_load_dwordx4 v[10:13], v[14:15], off offset:16
	global_load_dwordx4 v[14:17], v[14:15], off
	global_load_dwordx4 v[18:21], v[18:19], off
	s_or_b32 s3, vcc_lo, s3
	s_waitcnt vmcnt(0)
	v_fmac_f32_e32 v7, v14, v18
	v_fmac_f32_e32 v8, v15, v18
	;; [unrolled: 1-line block ×8, first 2 shown]
	s_andn2_b32 exec_lo, exec_lo, s3
	s_cbranch_execnz .LBB10_9
; %bb.10:
	s_inst_prefetch 0x2
	s_or_b32 exec_lo, exec_lo, s3
.LBB10_11:
	s_or_b32 exec_lo, exec_lo, s1
	s_cbranch_execz .LBB10_13
	s_branch .LBB10_18
.LBB10_12:
                                        ; implicit-def: $vgpr7
                                        ; implicit-def: $vgpr8
.LBB10_13:
	v_mov_b32_e32 v7, 0
	v_mov_b32_e32 v8, 0
	s_and_saveexec_b32 s1, s0
	s_cbranch_execz .LBB10_17
; %bb.14:
	v_mov_b32_e32 v5, 0
	v_lshlrev_b32_e32 v4, 3, v2
	s_mov_b32 s0, 0
	v_mov_b32_e32 v7, v5
	v_mov_b32_e32 v8, v5
	s_inst_prefetch 0x1
	.p2align	6
.LBB10_15:                              ; =>This Inner Loop Header: Depth=1
	v_ashrrev_i32_e32 v3, 31, v2
	v_mov_b32_e32 v13, v5
	v_lshlrev_b64 v[10:11], 2, v[2:3]
	v_add_nc_u32_e32 v2, 4, v2
	v_add_co_u32 v10, vcc_lo, s10, v10
	v_add_co_ci_u32_e64 v11, null, s11, v11, vcc_lo
	global_load_dword v3, v[10:11], off
	v_lshlrev_b64 v[10:11], 2, v[4:5]
	v_add_nc_u32_e32 v4, 32, v4
	v_add_co_u32 v14, vcc_lo, s12, v10
	v_add_co_ci_u32_e64 v15, null, s13, v11, vcc_lo
	s_waitcnt vmcnt(0)
	v_subrev_nc_u32_e32 v3, s18, v3
	v_lshlrev_b32_e32 v12, 2, v3
	v_lshlrev_b64 v[12:13], 2, v[12:13]
	v_add_co_u32 v18, vcc_lo, s14, v12
	v_add_co_ci_u32_e64 v19, null, s15, v13, vcc_lo
	v_cmp_ge_i32_e32 vcc_lo, v2, v9
	s_clause 0x1
	global_load_dwordx4 v[10:13], v[14:15], off offset:16
	global_load_dwordx4 v[14:17], v[14:15], off
	global_load_dwordx4 v[18:21], v[18:19], off
	s_or_b32 s0, vcc_lo, s0
	s_waitcnt vmcnt(0)
	v_fmac_f32_e32 v7, v14, v18
	v_fmac_f32_e32 v8, v10, v18
	;; [unrolled: 1-line block ×8, first 2 shown]
	s_andn2_b32 exec_lo, exec_lo, s0
	s_cbranch_execnz .LBB10_15
; %bb.16:
	s_inst_prefetch 0x2
	s_or_b32 exec_lo, exec_lo, s0
.LBB10_17:
	s_or_b32 exec_lo, exec_lo, s1
.LBB10_18:
	v_mbcnt_lo_u32_b32 v2, -1, 0
	s_mov_b32 s3, -1
	v_xor_b32_e32 v3, 2, v2
	v_xor_b32_e32 v5, 1, v2
	v_cmp_gt_i32_e32 vcc_lo, 32, v3
	v_cndmask_b32_e32 v3, v2, v3, vcc_lo
	v_cmp_gt_i32_e32 vcc_lo, 32, v5
	v_lshlrev_b32_e32 v3, 2, v3
	v_cndmask_b32_e32 v2, v2, v5, vcc_lo
	v_cmp_eq_u32_e32 vcc_lo, 3, v0
	ds_bpermute_b32 v4, v3, v7
	ds_bpermute_b32 v3, v3, v8
	v_lshlrev_b32_e32 v5, 2, v2
	s_waitcnt lgkmcnt(1)
	v_add_f32_e32 v2, v7, v4
	s_waitcnt lgkmcnt(0)
	v_add_f32_e32 v3, v8, v3
	ds_bpermute_b32 v4, v5, v2
	ds_bpermute_b32 v5, v5, v3
	s_and_b32 exec_lo, exec_lo, vcc_lo
	s_cbranch_execz .LBB10_23
; %bb.19:
	s_load_dwordx2 s[0:1], s[4:5], 0x38
	s_waitcnt lgkmcnt(0)
	v_add_f32_e32 v0, v2, v4
	v_add_f32_e32 v3, v3, v5
	v_cmp_eq_f32_e64 s4, s2, 0
	v_mul_f32_e32 v2, s16, v0
	v_mul_f32_e32 v3, s16, v3
	v_lshlrev_b32_e32 v0, 1, v1
	s_and_b32 vcc_lo, exec_lo, s4
	s_cbranch_vccz .LBB10_21
; %bb.20:
	v_ashrrev_i32_e32 v1, 31, v0
	s_mov_b32 s3, 0
	v_lshlrev_b64 v[4:5], 2, v[0:1]
	v_add_co_u32 v4, vcc_lo, s0, v4
	v_add_co_ci_u32_e64 v5, null, s1, v5, vcc_lo
	global_store_dwordx2 v[4:5], v[2:3], off
.LBB10_21:
	s_andn2_b32 vcc_lo, exec_lo, s3
	s_cbranch_vccnz .LBB10_23
; %bb.22:
	v_ashrrev_i32_e32 v1, 31, v0
	v_lshlrev_b64 v[0:1], 2, v[0:1]
	v_add_co_u32 v0, vcc_lo, s0, v0
	v_add_co_ci_u32_e64 v1, null, s1, v1, vcc_lo
	global_load_dwordx2 v[4:5], v[0:1], off
	s_waitcnt vmcnt(0)
	v_fmac_f32_e32 v2, s2, v4
	v_fmac_f32_e32 v3, s2, v5
	global_store_dwordx2 v[0:1], v[2:3], off
.LBB10_23:
	s_endpgm
	.section	.rodata,"a",@progbits
	.p2align	6, 0x0
	.amdhsa_kernel _ZN9rocsparseL19gebsrmvn_2xn_kernelILj128ELj4ELj4EfEEvi20rocsparse_direction_NS_24const_host_device_scalarIT2_EEPKiS6_PKS3_S8_S4_PS3_21rocsparse_index_base_b
		.amdhsa_group_segment_fixed_size 0
		.amdhsa_private_segment_fixed_size 0
		.amdhsa_kernarg_size 72
		.amdhsa_user_sgpr_count 6
		.amdhsa_user_sgpr_private_segment_buffer 1
		.amdhsa_user_sgpr_dispatch_ptr 0
		.amdhsa_user_sgpr_queue_ptr 0
		.amdhsa_user_sgpr_kernarg_segment_ptr 1
		.amdhsa_user_sgpr_dispatch_id 0
		.amdhsa_user_sgpr_flat_scratch_init 0
		.amdhsa_user_sgpr_private_segment_size 0
		.amdhsa_wavefront_size32 1
		.amdhsa_uses_dynamic_stack 0
		.amdhsa_system_sgpr_private_segment_wavefront_offset 0
		.amdhsa_system_sgpr_workgroup_id_x 1
		.amdhsa_system_sgpr_workgroup_id_y 0
		.amdhsa_system_sgpr_workgroup_id_z 0
		.amdhsa_system_sgpr_workgroup_info 0
		.amdhsa_system_vgpr_workitem_id 0
		.amdhsa_next_free_vgpr 22
		.amdhsa_next_free_sgpr 20
		.amdhsa_reserve_vcc 1
		.amdhsa_reserve_flat_scratch 0
		.amdhsa_float_round_mode_32 0
		.amdhsa_float_round_mode_16_64 0
		.amdhsa_float_denorm_mode_32 3
		.amdhsa_float_denorm_mode_16_64 3
		.amdhsa_dx10_clamp 1
		.amdhsa_ieee_mode 1
		.amdhsa_fp16_overflow 0
		.amdhsa_workgroup_processor_mode 1
		.amdhsa_memory_ordered 1
		.amdhsa_forward_progress 1
		.amdhsa_shared_vgpr_count 0
		.amdhsa_exception_fp_ieee_invalid_op 0
		.amdhsa_exception_fp_denorm_src 0
		.amdhsa_exception_fp_ieee_div_zero 0
		.amdhsa_exception_fp_ieee_overflow 0
		.amdhsa_exception_fp_ieee_underflow 0
		.amdhsa_exception_fp_ieee_inexact 0
		.amdhsa_exception_int_div_zero 0
	.end_amdhsa_kernel
	.section	.text._ZN9rocsparseL19gebsrmvn_2xn_kernelILj128ELj4ELj4EfEEvi20rocsparse_direction_NS_24const_host_device_scalarIT2_EEPKiS6_PKS3_S8_S4_PS3_21rocsparse_index_base_b,"axG",@progbits,_ZN9rocsparseL19gebsrmvn_2xn_kernelILj128ELj4ELj4EfEEvi20rocsparse_direction_NS_24const_host_device_scalarIT2_EEPKiS6_PKS3_S8_S4_PS3_21rocsparse_index_base_b,comdat
.Lfunc_end10:
	.size	_ZN9rocsparseL19gebsrmvn_2xn_kernelILj128ELj4ELj4EfEEvi20rocsparse_direction_NS_24const_host_device_scalarIT2_EEPKiS6_PKS3_S8_S4_PS3_21rocsparse_index_base_b, .Lfunc_end10-_ZN9rocsparseL19gebsrmvn_2xn_kernelILj128ELj4ELj4EfEEvi20rocsparse_direction_NS_24const_host_device_scalarIT2_EEPKiS6_PKS3_S8_S4_PS3_21rocsparse_index_base_b
                                        ; -- End function
	.set _ZN9rocsparseL19gebsrmvn_2xn_kernelILj128ELj4ELj4EfEEvi20rocsparse_direction_NS_24const_host_device_scalarIT2_EEPKiS6_PKS3_S8_S4_PS3_21rocsparse_index_base_b.num_vgpr, 22
	.set _ZN9rocsparseL19gebsrmvn_2xn_kernelILj128ELj4ELj4EfEEvi20rocsparse_direction_NS_24const_host_device_scalarIT2_EEPKiS6_PKS3_S8_S4_PS3_21rocsparse_index_base_b.num_agpr, 0
	.set _ZN9rocsparseL19gebsrmvn_2xn_kernelILj128ELj4ELj4EfEEvi20rocsparse_direction_NS_24const_host_device_scalarIT2_EEPKiS6_PKS3_S8_S4_PS3_21rocsparse_index_base_b.numbered_sgpr, 20
	.set _ZN9rocsparseL19gebsrmvn_2xn_kernelILj128ELj4ELj4EfEEvi20rocsparse_direction_NS_24const_host_device_scalarIT2_EEPKiS6_PKS3_S8_S4_PS3_21rocsparse_index_base_b.num_named_barrier, 0
	.set _ZN9rocsparseL19gebsrmvn_2xn_kernelILj128ELj4ELj4EfEEvi20rocsparse_direction_NS_24const_host_device_scalarIT2_EEPKiS6_PKS3_S8_S4_PS3_21rocsparse_index_base_b.private_seg_size, 0
	.set _ZN9rocsparseL19gebsrmvn_2xn_kernelILj128ELj4ELj4EfEEvi20rocsparse_direction_NS_24const_host_device_scalarIT2_EEPKiS6_PKS3_S8_S4_PS3_21rocsparse_index_base_b.uses_vcc, 1
	.set _ZN9rocsparseL19gebsrmvn_2xn_kernelILj128ELj4ELj4EfEEvi20rocsparse_direction_NS_24const_host_device_scalarIT2_EEPKiS6_PKS3_S8_S4_PS3_21rocsparse_index_base_b.uses_flat_scratch, 0
	.set _ZN9rocsparseL19gebsrmvn_2xn_kernelILj128ELj4ELj4EfEEvi20rocsparse_direction_NS_24const_host_device_scalarIT2_EEPKiS6_PKS3_S8_S4_PS3_21rocsparse_index_base_b.has_dyn_sized_stack, 0
	.set _ZN9rocsparseL19gebsrmvn_2xn_kernelILj128ELj4ELj4EfEEvi20rocsparse_direction_NS_24const_host_device_scalarIT2_EEPKiS6_PKS3_S8_S4_PS3_21rocsparse_index_base_b.has_recursion, 0
	.set _ZN9rocsparseL19gebsrmvn_2xn_kernelILj128ELj4ELj4EfEEvi20rocsparse_direction_NS_24const_host_device_scalarIT2_EEPKiS6_PKS3_S8_S4_PS3_21rocsparse_index_base_b.has_indirect_call, 0
	.section	.AMDGPU.csdata,"",@progbits
; Kernel info:
; codeLenInByte = 1036
; TotalNumSgprs: 22
; NumVgprs: 22
; ScratchSize: 0
; MemoryBound: 0
; FloatMode: 240
; IeeeMode: 1
; LDSByteSize: 0 bytes/workgroup (compile time only)
; SGPRBlocks: 0
; VGPRBlocks: 2
; NumSGPRsForWavesPerEU: 22
; NumVGPRsForWavesPerEU: 22
; Occupancy: 16
; WaveLimiterHint : 1
; COMPUTE_PGM_RSRC2:SCRATCH_EN: 0
; COMPUTE_PGM_RSRC2:USER_SGPR: 6
; COMPUTE_PGM_RSRC2:TRAP_HANDLER: 0
; COMPUTE_PGM_RSRC2:TGID_X_EN: 1
; COMPUTE_PGM_RSRC2:TGID_Y_EN: 0
; COMPUTE_PGM_RSRC2:TGID_Z_EN: 0
; COMPUTE_PGM_RSRC2:TIDIG_COMP_CNT: 0
	.section	.text._ZN9rocsparseL19gebsrmvn_2xn_kernelILj128ELj4ELj8EfEEvi20rocsparse_direction_NS_24const_host_device_scalarIT2_EEPKiS6_PKS3_S8_S4_PS3_21rocsparse_index_base_b,"axG",@progbits,_ZN9rocsparseL19gebsrmvn_2xn_kernelILj128ELj4ELj8EfEEvi20rocsparse_direction_NS_24const_host_device_scalarIT2_EEPKiS6_PKS3_S8_S4_PS3_21rocsparse_index_base_b,comdat
	.globl	_ZN9rocsparseL19gebsrmvn_2xn_kernelILj128ELj4ELj8EfEEvi20rocsparse_direction_NS_24const_host_device_scalarIT2_EEPKiS6_PKS3_S8_S4_PS3_21rocsparse_index_base_b ; -- Begin function _ZN9rocsparseL19gebsrmvn_2xn_kernelILj128ELj4ELj8EfEEvi20rocsparse_direction_NS_24const_host_device_scalarIT2_EEPKiS6_PKS3_S8_S4_PS3_21rocsparse_index_base_b
	.p2align	8
	.type	_ZN9rocsparseL19gebsrmvn_2xn_kernelILj128ELj4ELj8EfEEvi20rocsparse_direction_NS_24const_host_device_scalarIT2_EEPKiS6_PKS3_S8_S4_PS3_21rocsparse_index_base_b,@function
_ZN9rocsparseL19gebsrmvn_2xn_kernelILj128ELj4ELj8EfEEvi20rocsparse_direction_NS_24const_host_device_scalarIT2_EEPKiS6_PKS3_S8_S4_PS3_21rocsparse_index_base_b: ; @_ZN9rocsparseL19gebsrmvn_2xn_kernelILj128ELj4ELj8EfEEvi20rocsparse_direction_NS_24const_host_device_scalarIT2_EEPKiS6_PKS3_S8_S4_PS3_21rocsparse_index_base_b
; %bb.0:
	s_clause 0x2
	s_load_dwordx2 s[18:19], s[4:5], 0x40
	s_load_dwordx2 s[16:17], s[4:5], 0x8
	;; [unrolled: 1-line block ×3, first 2 shown]
	s_waitcnt lgkmcnt(0)
	s_bitcmp1_b32 s19, 0
	s_cselect_b32 s0, -1, 0
	s_and_b32 vcc_lo, exec_lo, s0
	s_xor_b32 s0, s0, -1
	s_cbranch_vccnz .LBB11_2
; %bb.1:
	s_load_dword s16, s[16:17], 0x0
.LBB11_2:
	s_andn2_b32 vcc_lo, exec_lo, s0
	s_cbranch_vccnz .LBB11_4
; %bb.3:
	s_load_dword s2, s[2:3], 0x0
.LBB11_4:
	s_waitcnt lgkmcnt(0)
	v_cmp_eq_f32_e64 s0, s16, 0
	v_cmp_eq_f32_e64 s1, s2, 1.0
	s_and_b32 s0, s0, s1
	s_and_b32 vcc_lo, exec_lo, s0
	s_cbranch_vccnz .LBB11_23
; %bb.5:
	s_load_dwordx2 s[0:1], s[4:5], 0x0
	v_lshrrev_b32_e32 v1, 3, v0
	v_lshl_or_b32 v1, s6, 4, v1
	s_waitcnt lgkmcnt(0)
	v_cmp_gt_i32_e32 vcc_lo, s0, v1
	s_and_saveexec_b32 s0, vcc_lo
	s_cbranch_execz .LBB11_23
; %bb.6:
	s_load_dwordx8 s[8:15], s[4:5], 0x10
	v_ashrrev_i32_e32 v2, 31, v1
	v_and_b32_e32 v0, 7, v0
	s_cmp_lg_u32 s1, 0
	v_lshlrev_b64 v[2:3], 2, v[1:2]
	s_waitcnt lgkmcnt(0)
	v_add_co_u32 v2, vcc_lo, s8, v2
	v_add_co_ci_u32_e64 v3, null, s9, v3, vcc_lo
	global_load_dwordx2 v[2:3], v[2:3], off
	s_waitcnt vmcnt(0)
	v_subrev_nc_u32_e32 v2, s18, v2
	v_subrev_nc_u32_e32 v9, s18, v3
	v_add_nc_u32_e32 v2, v2, v0
	v_cmp_lt_i32_e64 s0, v2, v9
	s_cbranch_scc0 .LBB11_12
; %bb.7:
	v_mov_b32_e32 v7, 0
	v_mov_b32_e32 v8, 0
	s_and_saveexec_b32 s1, s0
	s_cbranch_execz .LBB11_11
; %bb.8:
	v_mov_b32_e32 v4, 0
	v_lshlrev_b32_e32 v3, 3, v2
	v_mov_b32_e32 v5, v2
	s_mov_b32 s3, 0
	v_mov_b32_e32 v7, v4
	v_mov_b32_e32 v8, v4
	s_inst_prefetch 0x1
	.p2align	6
.LBB11_9:                               ; =>This Inner Loop Header: Depth=1
	v_ashrrev_i32_e32 v6, 31, v5
	v_mov_b32_e32 v13, v4
	v_lshlrev_b64 v[10:11], 2, v[5:6]
	v_add_nc_u32_e32 v5, 8, v5
	v_add_co_u32 v10, vcc_lo, s10, v10
	v_add_co_ci_u32_e64 v11, null, s11, v11, vcc_lo
	global_load_dword v6, v[10:11], off
	v_lshlrev_b64 v[10:11], 2, v[3:4]
	v_add_nc_u32_e32 v3, 64, v3
	v_add_co_u32 v14, vcc_lo, s12, v10
	v_add_co_ci_u32_e64 v15, null, s13, v11, vcc_lo
	s_waitcnt vmcnt(0)
	v_subrev_nc_u32_e32 v6, s18, v6
	v_lshlrev_b32_e32 v12, 2, v6
	v_lshlrev_b64 v[12:13], 2, v[12:13]
	v_add_co_u32 v18, vcc_lo, s14, v12
	v_add_co_ci_u32_e64 v19, null, s15, v13, vcc_lo
	v_cmp_ge_i32_e32 vcc_lo, v5, v9
	s_clause 0x1
	global_load_dwordx4 v[10:13], v[14:15], off offset:16
	global_load_dwordx4 v[14:17], v[14:15], off
	global_load_dwordx4 v[18:21], v[18:19], off
	s_or_b32 s3, vcc_lo, s3
	s_waitcnt vmcnt(0)
	v_fmac_f32_e32 v7, v14, v18
	v_fmac_f32_e32 v8, v15, v18
	;; [unrolled: 1-line block ×8, first 2 shown]
	s_andn2_b32 exec_lo, exec_lo, s3
	s_cbranch_execnz .LBB11_9
; %bb.10:
	s_inst_prefetch 0x2
	s_or_b32 exec_lo, exec_lo, s3
.LBB11_11:
	s_or_b32 exec_lo, exec_lo, s1
	s_cbranch_execz .LBB11_13
	s_branch .LBB11_18
.LBB11_12:
                                        ; implicit-def: $vgpr7
                                        ; implicit-def: $vgpr8
.LBB11_13:
	v_mov_b32_e32 v7, 0
	v_mov_b32_e32 v8, 0
	s_and_saveexec_b32 s1, s0
	s_cbranch_execz .LBB11_17
; %bb.14:
	v_mov_b32_e32 v5, 0
	v_lshlrev_b32_e32 v4, 3, v2
	s_mov_b32 s0, 0
	v_mov_b32_e32 v7, v5
	v_mov_b32_e32 v8, v5
	s_inst_prefetch 0x1
	.p2align	6
.LBB11_15:                              ; =>This Inner Loop Header: Depth=1
	v_ashrrev_i32_e32 v3, 31, v2
	v_mov_b32_e32 v13, v5
	v_lshlrev_b64 v[10:11], 2, v[2:3]
	v_add_nc_u32_e32 v2, 8, v2
	v_add_co_u32 v10, vcc_lo, s10, v10
	v_add_co_ci_u32_e64 v11, null, s11, v11, vcc_lo
	global_load_dword v3, v[10:11], off
	v_lshlrev_b64 v[10:11], 2, v[4:5]
	v_add_nc_u32_e32 v4, 64, v4
	v_add_co_u32 v14, vcc_lo, s12, v10
	v_add_co_ci_u32_e64 v15, null, s13, v11, vcc_lo
	s_waitcnt vmcnt(0)
	v_subrev_nc_u32_e32 v3, s18, v3
	v_lshlrev_b32_e32 v12, 2, v3
	v_lshlrev_b64 v[12:13], 2, v[12:13]
	v_add_co_u32 v18, vcc_lo, s14, v12
	v_add_co_ci_u32_e64 v19, null, s15, v13, vcc_lo
	v_cmp_ge_i32_e32 vcc_lo, v2, v9
	s_clause 0x1
	global_load_dwordx4 v[10:13], v[14:15], off offset:16
	global_load_dwordx4 v[14:17], v[14:15], off
	global_load_dwordx4 v[18:21], v[18:19], off
	s_or_b32 s0, vcc_lo, s0
	s_waitcnt vmcnt(0)
	v_fmac_f32_e32 v7, v14, v18
	v_fmac_f32_e32 v8, v10, v18
	;; [unrolled: 1-line block ×8, first 2 shown]
	s_andn2_b32 exec_lo, exec_lo, s0
	s_cbranch_execnz .LBB11_15
; %bb.16:
	s_inst_prefetch 0x2
	s_or_b32 exec_lo, exec_lo, s0
.LBB11_17:
	s_or_b32 exec_lo, exec_lo, s1
.LBB11_18:
	v_mbcnt_lo_u32_b32 v2, -1, 0
	s_mov_b32 s3, -1
	v_xor_b32_e32 v3, 4, v2
	v_xor_b32_e32 v5, 2, v2
	v_cmp_gt_i32_e32 vcc_lo, 32, v3
	v_cndmask_b32_e32 v3, v2, v3, vcc_lo
	v_cmp_gt_i32_e32 vcc_lo, 32, v5
	v_lshlrev_b32_e32 v3, 2, v3
	v_cndmask_b32_e32 v5, v2, v5, vcc_lo
	ds_bpermute_b32 v4, v3, v7
	ds_bpermute_b32 v3, v3, v8
	v_lshlrev_b32_e32 v5, 2, v5
	s_waitcnt lgkmcnt(1)
	v_add_f32_e32 v4, v7, v4
	s_waitcnt lgkmcnt(0)
	v_add_f32_e32 v3, v8, v3
	v_xor_b32_e32 v7, 1, v2
	ds_bpermute_b32 v6, v5, v4
	ds_bpermute_b32 v5, v5, v3
	v_cmp_gt_i32_e32 vcc_lo, 32, v7
	v_cndmask_b32_e32 v2, v2, v7, vcc_lo
	v_cmp_eq_u32_e32 vcc_lo, 7, v0
	v_lshlrev_b32_e32 v7, 2, v2
	s_waitcnt lgkmcnt(1)
	v_add_f32_e32 v2, v4, v6
	s_waitcnt lgkmcnt(0)
	v_add_f32_e32 v3, v3, v5
	ds_bpermute_b32 v4, v7, v2
	ds_bpermute_b32 v5, v7, v3
	s_and_b32 exec_lo, exec_lo, vcc_lo
	s_cbranch_execz .LBB11_23
; %bb.19:
	s_load_dwordx2 s[0:1], s[4:5], 0x38
	s_waitcnt lgkmcnt(0)
	v_add_f32_e32 v0, v2, v4
	v_add_f32_e32 v3, v3, v5
	v_cmp_eq_f32_e64 s4, s2, 0
	v_mul_f32_e32 v2, s16, v0
	v_mul_f32_e32 v3, s16, v3
	v_lshlrev_b32_e32 v0, 1, v1
	s_and_b32 vcc_lo, exec_lo, s4
	s_cbranch_vccz .LBB11_21
; %bb.20:
	v_ashrrev_i32_e32 v1, 31, v0
	s_mov_b32 s3, 0
	v_lshlrev_b64 v[4:5], 2, v[0:1]
	v_add_co_u32 v4, vcc_lo, s0, v4
	v_add_co_ci_u32_e64 v5, null, s1, v5, vcc_lo
	global_store_dwordx2 v[4:5], v[2:3], off
.LBB11_21:
	s_andn2_b32 vcc_lo, exec_lo, s3
	s_cbranch_vccnz .LBB11_23
; %bb.22:
	v_ashrrev_i32_e32 v1, 31, v0
	v_lshlrev_b64 v[0:1], 2, v[0:1]
	v_add_co_u32 v0, vcc_lo, s0, v0
	v_add_co_ci_u32_e64 v1, null, s1, v1, vcc_lo
	global_load_dwordx2 v[4:5], v[0:1], off
	s_waitcnt vmcnt(0)
	v_fmac_f32_e32 v2, s2, v4
	v_fmac_f32_e32 v3, s2, v5
	global_store_dwordx2 v[0:1], v[2:3], off
.LBB11_23:
	s_endpgm
	.section	.rodata,"a",@progbits
	.p2align	6, 0x0
	.amdhsa_kernel _ZN9rocsparseL19gebsrmvn_2xn_kernelILj128ELj4ELj8EfEEvi20rocsparse_direction_NS_24const_host_device_scalarIT2_EEPKiS6_PKS3_S8_S4_PS3_21rocsparse_index_base_b
		.amdhsa_group_segment_fixed_size 0
		.amdhsa_private_segment_fixed_size 0
		.amdhsa_kernarg_size 72
		.amdhsa_user_sgpr_count 6
		.amdhsa_user_sgpr_private_segment_buffer 1
		.amdhsa_user_sgpr_dispatch_ptr 0
		.amdhsa_user_sgpr_queue_ptr 0
		.amdhsa_user_sgpr_kernarg_segment_ptr 1
		.amdhsa_user_sgpr_dispatch_id 0
		.amdhsa_user_sgpr_flat_scratch_init 0
		.amdhsa_user_sgpr_private_segment_size 0
		.amdhsa_wavefront_size32 1
		.amdhsa_uses_dynamic_stack 0
		.amdhsa_system_sgpr_private_segment_wavefront_offset 0
		.amdhsa_system_sgpr_workgroup_id_x 1
		.amdhsa_system_sgpr_workgroup_id_y 0
		.amdhsa_system_sgpr_workgroup_id_z 0
		.amdhsa_system_sgpr_workgroup_info 0
		.amdhsa_system_vgpr_workitem_id 0
		.amdhsa_next_free_vgpr 22
		.amdhsa_next_free_sgpr 20
		.amdhsa_reserve_vcc 1
		.amdhsa_reserve_flat_scratch 0
		.amdhsa_float_round_mode_32 0
		.amdhsa_float_round_mode_16_64 0
		.amdhsa_float_denorm_mode_32 3
		.amdhsa_float_denorm_mode_16_64 3
		.amdhsa_dx10_clamp 1
		.amdhsa_ieee_mode 1
		.amdhsa_fp16_overflow 0
		.amdhsa_workgroup_processor_mode 1
		.amdhsa_memory_ordered 1
		.amdhsa_forward_progress 1
		.amdhsa_shared_vgpr_count 0
		.amdhsa_exception_fp_ieee_invalid_op 0
		.amdhsa_exception_fp_denorm_src 0
		.amdhsa_exception_fp_ieee_div_zero 0
		.amdhsa_exception_fp_ieee_overflow 0
		.amdhsa_exception_fp_ieee_underflow 0
		.amdhsa_exception_fp_ieee_inexact 0
		.amdhsa_exception_int_div_zero 0
	.end_amdhsa_kernel
	.section	.text._ZN9rocsparseL19gebsrmvn_2xn_kernelILj128ELj4ELj8EfEEvi20rocsparse_direction_NS_24const_host_device_scalarIT2_EEPKiS6_PKS3_S8_S4_PS3_21rocsparse_index_base_b,"axG",@progbits,_ZN9rocsparseL19gebsrmvn_2xn_kernelILj128ELj4ELj8EfEEvi20rocsparse_direction_NS_24const_host_device_scalarIT2_EEPKiS6_PKS3_S8_S4_PS3_21rocsparse_index_base_b,comdat
.Lfunc_end11:
	.size	_ZN9rocsparseL19gebsrmvn_2xn_kernelILj128ELj4ELj8EfEEvi20rocsparse_direction_NS_24const_host_device_scalarIT2_EEPKiS6_PKS3_S8_S4_PS3_21rocsparse_index_base_b, .Lfunc_end11-_ZN9rocsparseL19gebsrmvn_2xn_kernelILj128ELj4ELj8EfEEvi20rocsparse_direction_NS_24const_host_device_scalarIT2_EEPKiS6_PKS3_S8_S4_PS3_21rocsparse_index_base_b
                                        ; -- End function
	.set _ZN9rocsparseL19gebsrmvn_2xn_kernelILj128ELj4ELj8EfEEvi20rocsparse_direction_NS_24const_host_device_scalarIT2_EEPKiS6_PKS3_S8_S4_PS3_21rocsparse_index_base_b.num_vgpr, 22
	.set _ZN9rocsparseL19gebsrmvn_2xn_kernelILj128ELj4ELj8EfEEvi20rocsparse_direction_NS_24const_host_device_scalarIT2_EEPKiS6_PKS3_S8_S4_PS3_21rocsparse_index_base_b.num_agpr, 0
	.set _ZN9rocsparseL19gebsrmvn_2xn_kernelILj128ELj4ELj8EfEEvi20rocsparse_direction_NS_24const_host_device_scalarIT2_EEPKiS6_PKS3_S8_S4_PS3_21rocsparse_index_base_b.numbered_sgpr, 20
	.set _ZN9rocsparseL19gebsrmvn_2xn_kernelILj128ELj4ELj8EfEEvi20rocsparse_direction_NS_24const_host_device_scalarIT2_EEPKiS6_PKS3_S8_S4_PS3_21rocsparse_index_base_b.num_named_barrier, 0
	.set _ZN9rocsparseL19gebsrmvn_2xn_kernelILj128ELj4ELj8EfEEvi20rocsparse_direction_NS_24const_host_device_scalarIT2_EEPKiS6_PKS3_S8_S4_PS3_21rocsparse_index_base_b.private_seg_size, 0
	.set _ZN9rocsparseL19gebsrmvn_2xn_kernelILj128ELj4ELj8EfEEvi20rocsparse_direction_NS_24const_host_device_scalarIT2_EEPKiS6_PKS3_S8_S4_PS3_21rocsparse_index_base_b.uses_vcc, 1
	.set _ZN9rocsparseL19gebsrmvn_2xn_kernelILj128ELj4ELj8EfEEvi20rocsparse_direction_NS_24const_host_device_scalarIT2_EEPKiS6_PKS3_S8_S4_PS3_21rocsparse_index_base_b.uses_flat_scratch, 0
	.set _ZN9rocsparseL19gebsrmvn_2xn_kernelILj128ELj4ELj8EfEEvi20rocsparse_direction_NS_24const_host_device_scalarIT2_EEPKiS6_PKS3_S8_S4_PS3_21rocsparse_index_base_b.has_dyn_sized_stack, 0
	.set _ZN9rocsparseL19gebsrmvn_2xn_kernelILj128ELj4ELj8EfEEvi20rocsparse_direction_NS_24const_host_device_scalarIT2_EEPKiS6_PKS3_S8_S4_PS3_21rocsparse_index_base_b.has_recursion, 0
	.set _ZN9rocsparseL19gebsrmvn_2xn_kernelILj128ELj4ELj8EfEEvi20rocsparse_direction_NS_24const_host_device_scalarIT2_EEPKiS6_PKS3_S8_S4_PS3_21rocsparse_index_base_b.has_indirect_call, 0
	.section	.AMDGPU.csdata,"",@progbits
; Kernel info:
; codeLenInByte = 1084
; TotalNumSgprs: 22
; NumVgprs: 22
; ScratchSize: 0
; MemoryBound: 0
; FloatMode: 240
; IeeeMode: 1
; LDSByteSize: 0 bytes/workgroup (compile time only)
; SGPRBlocks: 0
; VGPRBlocks: 2
; NumSGPRsForWavesPerEU: 22
; NumVGPRsForWavesPerEU: 22
; Occupancy: 16
; WaveLimiterHint : 1
; COMPUTE_PGM_RSRC2:SCRATCH_EN: 0
; COMPUTE_PGM_RSRC2:USER_SGPR: 6
; COMPUTE_PGM_RSRC2:TRAP_HANDLER: 0
; COMPUTE_PGM_RSRC2:TGID_X_EN: 1
; COMPUTE_PGM_RSRC2:TGID_Y_EN: 0
; COMPUTE_PGM_RSRC2:TGID_Z_EN: 0
; COMPUTE_PGM_RSRC2:TIDIG_COMP_CNT: 0
	.section	.text._ZN9rocsparseL19gebsrmvn_2xn_kernelILj128ELj4ELj16EfEEvi20rocsparse_direction_NS_24const_host_device_scalarIT2_EEPKiS6_PKS3_S8_S4_PS3_21rocsparse_index_base_b,"axG",@progbits,_ZN9rocsparseL19gebsrmvn_2xn_kernelILj128ELj4ELj16EfEEvi20rocsparse_direction_NS_24const_host_device_scalarIT2_EEPKiS6_PKS3_S8_S4_PS3_21rocsparse_index_base_b,comdat
	.globl	_ZN9rocsparseL19gebsrmvn_2xn_kernelILj128ELj4ELj16EfEEvi20rocsparse_direction_NS_24const_host_device_scalarIT2_EEPKiS6_PKS3_S8_S4_PS3_21rocsparse_index_base_b ; -- Begin function _ZN9rocsparseL19gebsrmvn_2xn_kernelILj128ELj4ELj16EfEEvi20rocsparse_direction_NS_24const_host_device_scalarIT2_EEPKiS6_PKS3_S8_S4_PS3_21rocsparse_index_base_b
	.p2align	8
	.type	_ZN9rocsparseL19gebsrmvn_2xn_kernelILj128ELj4ELj16EfEEvi20rocsparse_direction_NS_24const_host_device_scalarIT2_EEPKiS6_PKS3_S8_S4_PS3_21rocsparse_index_base_b,@function
_ZN9rocsparseL19gebsrmvn_2xn_kernelILj128ELj4ELj16EfEEvi20rocsparse_direction_NS_24const_host_device_scalarIT2_EEPKiS6_PKS3_S8_S4_PS3_21rocsparse_index_base_b: ; @_ZN9rocsparseL19gebsrmvn_2xn_kernelILj128ELj4ELj16EfEEvi20rocsparse_direction_NS_24const_host_device_scalarIT2_EEPKiS6_PKS3_S8_S4_PS3_21rocsparse_index_base_b
; %bb.0:
	s_clause 0x2
	s_load_dwordx2 s[18:19], s[4:5], 0x40
	s_load_dwordx2 s[16:17], s[4:5], 0x8
	;; [unrolled: 1-line block ×3, first 2 shown]
	s_waitcnt lgkmcnt(0)
	s_bitcmp1_b32 s19, 0
	s_cselect_b32 s0, -1, 0
	s_and_b32 vcc_lo, exec_lo, s0
	s_xor_b32 s0, s0, -1
	s_cbranch_vccnz .LBB12_2
; %bb.1:
	s_load_dword s16, s[16:17], 0x0
.LBB12_2:
	s_andn2_b32 vcc_lo, exec_lo, s0
	s_cbranch_vccnz .LBB12_4
; %bb.3:
	s_load_dword s2, s[2:3], 0x0
.LBB12_4:
	s_waitcnt lgkmcnt(0)
	v_cmp_eq_f32_e64 s0, s16, 0
	v_cmp_eq_f32_e64 s1, s2, 1.0
	s_and_b32 s0, s0, s1
	s_and_b32 vcc_lo, exec_lo, s0
	s_cbranch_vccnz .LBB12_23
; %bb.5:
	s_load_dwordx2 s[0:1], s[4:5], 0x0
	v_lshrrev_b32_e32 v1, 4, v0
	v_lshl_or_b32 v1, s6, 3, v1
	s_waitcnt lgkmcnt(0)
	v_cmp_gt_i32_e32 vcc_lo, s0, v1
	s_and_saveexec_b32 s0, vcc_lo
	s_cbranch_execz .LBB12_23
; %bb.6:
	s_load_dwordx8 s[8:15], s[4:5], 0x10
	v_ashrrev_i32_e32 v2, 31, v1
	v_and_b32_e32 v0, 15, v0
	s_cmp_lg_u32 s1, 0
	v_lshlrev_b64 v[2:3], 2, v[1:2]
	s_waitcnt lgkmcnt(0)
	v_add_co_u32 v2, vcc_lo, s8, v2
	v_add_co_ci_u32_e64 v3, null, s9, v3, vcc_lo
	global_load_dwordx2 v[2:3], v[2:3], off
	s_waitcnt vmcnt(0)
	v_subrev_nc_u32_e32 v2, s18, v2
	v_subrev_nc_u32_e32 v9, s18, v3
	v_add_nc_u32_e32 v2, v2, v0
	v_cmp_lt_i32_e64 s0, v2, v9
	s_cbranch_scc0 .LBB12_12
; %bb.7:
	v_mov_b32_e32 v7, 0
	v_mov_b32_e32 v8, 0
	s_and_saveexec_b32 s1, s0
	s_cbranch_execz .LBB12_11
; %bb.8:
	v_mov_b32_e32 v4, 0
	v_lshlrev_b32_e32 v3, 3, v2
	v_mov_b32_e32 v5, v2
	s_mov_b32 s3, 0
	v_mov_b32_e32 v7, v4
	v_mov_b32_e32 v8, v4
	s_inst_prefetch 0x1
	.p2align	6
.LBB12_9:                               ; =>This Inner Loop Header: Depth=1
	v_ashrrev_i32_e32 v6, 31, v5
	v_mov_b32_e32 v13, v4
	v_lshlrev_b64 v[10:11], 2, v[5:6]
	v_add_nc_u32_e32 v5, 16, v5
	v_add_co_u32 v10, vcc_lo, s10, v10
	v_add_co_ci_u32_e64 v11, null, s11, v11, vcc_lo
	global_load_dword v6, v[10:11], off
	v_lshlrev_b64 v[10:11], 2, v[3:4]
	v_add_nc_u32_e32 v3, 0x80, v3
	v_add_co_u32 v14, vcc_lo, s12, v10
	v_add_co_ci_u32_e64 v15, null, s13, v11, vcc_lo
	s_waitcnt vmcnt(0)
	v_subrev_nc_u32_e32 v6, s18, v6
	v_lshlrev_b32_e32 v12, 2, v6
	v_lshlrev_b64 v[12:13], 2, v[12:13]
	v_add_co_u32 v18, vcc_lo, s14, v12
	v_add_co_ci_u32_e64 v19, null, s15, v13, vcc_lo
	v_cmp_ge_i32_e32 vcc_lo, v5, v9
	s_clause 0x1
	global_load_dwordx4 v[10:13], v[14:15], off offset:16
	global_load_dwordx4 v[14:17], v[14:15], off
	global_load_dwordx4 v[18:21], v[18:19], off
	s_or_b32 s3, vcc_lo, s3
	s_waitcnt vmcnt(0)
	v_fmac_f32_e32 v7, v14, v18
	v_fmac_f32_e32 v8, v15, v18
	;; [unrolled: 1-line block ×8, first 2 shown]
	s_andn2_b32 exec_lo, exec_lo, s3
	s_cbranch_execnz .LBB12_9
; %bb.10:
	s_inst_prefetch 0x2
	s_or_b32 exec_lo, exec_lo, s3
.LBB12_11:
	s_or_b32 exec_lo, exec_lo, s1
	s_cbranch_execz .LBB12_13
	s_branch .LBB12_18
.LBB12_12:
                                        ; implicit-def: $vgpr7
                                        ; implicit-def: $vgpr8
.LBB12_13:
	v_mov_b32_e32 v7, 0
	v_mov_b32_e32 v8, 0
	s_and_saveexec_b32 s1, s0
	s_cbranch_execz .LBB12_17
; %bb.14:
	v_mov_b32_e32 v5, 0
	v_lshlrev_b32_e32 v4, 3, v2
	s_mov_b32 s0, 0
	v_mov_b32_e32 v7, v5
	v_mov_b32_e32 v8, v5
	s_inst_prefetch 0x1
	.p2align	6
.LBB12_15:                              ; =>This Inner Loop Header: Depth=1
	v_ashrrev_i32_e32 v3, 31, v2
	v_mov_b32_e32 v13, v5
	v_lshlrev_b64 v[10:11], 2, v[2:3]
	v_add_nc_u32_e32 v2, 16, v2
	v_add_co_u32 v10, vcc_lo, s10, v10
	v_add_co_ci_u32_e64 v11, null, s11, v11, vcc_lo
	global_load_dword v3, v[10:11], off
	v_lshlrev_b64 v[10:11], 2, v[4:5]
	v_add_nc_u32_e32 v4, 0x80, v4
	v_add_co_u32 v14, vcc_lo, s12, v10
	v_add_co_ci_u32_e64 v15, null, s13, v11, vcc_lo
	s_waitcnt vmcnt(0)
	v_subrev_nc_u32_e32 v3, s18, v3
	v_lshlrev_b32_e32 v12, 2, v3
	v_lshlrev_b64 v[12:13], 2, v[12:13]
	v_add_co_u32 v18, vcc_lo, s14, v12
	v_add_co_ci_u32_e64 v19, null, s15, v13, vcc_lo
	v_cmp_ge_i32_e32 vcc_lo, v2, v9
	s_clause 0x1
	global_load_dwordx4 v[10:13], v[14:15], off offset:16
	global_load_dwordx4 v[14:17], v[14:15], off
	global_load_dwordx4 v[18:21], v[18:19], off
	s_or_b32 s0, vcc_lo, s0
	s_waitcnt vmcnt(0)
	v_fmac_f32_e32 v7, v14, v18
	v_fmac_f32_e32 v8, v10, v18
	v_fmac_f32_e32 v7, v15, v19
	v_fmac_f32_e32 v8, v11, v19
	v_fmac_f32_e32 v7, v16, v20
	v_fmac_f32_e32 v8, v12, v20
	v_fmac_f32_e32 v7, v17, v21
	v_fmac_f32_e32 v8, v13, v21
	s_andn2_b32 exec_lo, exec_lo, s0
	s_cbranch_execnz .LBB12_15
; %bb.16:
	s_inst_prefetch 0x2
	s_or_b32 exec_lo, exec_lo, s0
.LBB12_17:
	s_or_b32 exec_lo, exec_lo, s1
.LBB12_18:
	v_mbcnt_lo_u32_b32 v2, -1, 0
	s_mov_b32 s3, -1
	v_xor_b32_e32 v3, 8, v2
	v_xor_b32_e32 v5, 4, v2
	v_cmp_gt_i32_e32 vcc_lo, 32, v3
	v_cndmask_b32_e32 v3, v2, v3, vcc_lo
	v_cmp_gt_i32_e32 vcc_lo, 32, v5
	v_lshlrev_b32_e32 v3, 2, v3
	v_cndmask_b32_e32 v5, v2, v5, vcc_lo
	ds_bpermute_b32 v4, v3, v7
	ds_bpermute_b32 v3, v3, v8
	v_lshlrev_b32_e32 v5, 2, v5
	s_waitcnt lgkmcnt(1)
	v_add_f32_e32 v4, v7, v4
	s_waitcnt lgkmcnt(0)
	v_add_f32_e32 v3, v8, v3
	v_xor_b32_e32 v7, 2, v2
	ds_bpermute_b32 v6, v5, v4
	ds_bpermute_b32 v5, v5, v3
	v_cmp_gt_i32_e32 vcc_lo, 32, v7
	v_cndmask_b32_e32 v7, v2, v7, vcc_lo
	v_lshlrev_b32_e32 v7, 2, v7
	s_waitcnt lgkmcnt(1)
	v_add_f32_e32 v4, v4, v6
	s_waitcnt lgkmcnt(0)
	v_add_f32_e32 v3, v3, v5
	ds_bpermute_b32 v5, v7, v4
	ds_bpermute_b32 v6, v7, v3
	v_xor_b32_e32 v7, 1, v2
	v_cmp_gt_i32_e32 vcc_lo, 32, v7
	v_cndmask_b32_e32 v2, v2, v7, vcc_lo
	v_cmp_eq_u32_e32 vcc_lo, 15, v0
	v_lshlrev_b32_e32 v7, 2, v2
	s_waitcnt lgkmcnt(1)
	v_add_f32_e32 v2, v4, v5
	s_waitcnt lgkmcnt(0)
	v_add_f32_e32 v3, v3, v6
	ds_bpermute_b32 v4, v7, v2
	ds_bpermute_b32 v5, v7, v3
	s_and_b32 exec_lo, exec_lo, vcc_lo
	s_cbranch_execz .LBB12_23
; %bb.19:
	s_load_dwordx2 s[0:1], s[4:5], 0x38
	s_waitcnt lgkmcnt(0)
	v_add_f32_e32 v0, v2, v4
	v_add_f32_e32 v3, v3, v5
	v_cmp_eq_f32_e64 s4, s2, 0
	v_mul_f32_e32 v2, s16, v0
	v_mul_f32_e32 v3, s16, v3
	v_lshlrev_b32_e32 v0, 1, v1
	s_and_b32 vcc_lo, exec_lo, s4
	s_cbranch_vccz .LBB12_21
; %bb.20:
	v_ashrrev_i32_e32 v1, 31, v0
	s_mov_b32 s3, 0
	v_lshlrev_b64 v[4:5], 2, v[0:1]
	v_add_co_u32 v4, vcc_lo, s0, v4
	v_add_co_ci_u32_e64 v5, null, s1, v5, vcc_lo
	global_store_dwordx2 v[4:5], v[2:3], off
.LBB12_21:
	s_andn2_b32 vcc_lo, exec_lo, s3
	s_cbranch_vccnz .LBB12_23
; %bb.22:
	v_ashrrev_i32_e32 v1, 31, v0
	v_lshlrev_b64 v[0:1], 2, v[0:1]
	v_add_co_u32 v0, vcc_lo, s0, v0
	v_add_co_ci_u32_e64 v1, null, s1, v1, vcc_lo
	global_load_dwordx2 v[4:5], v[0:1], off
	s_waitcnt vmcnt(0)
	v_fmac_f32_e32 v2, s2, v4
	v_fmac_f32_e32 v3, s2, v5
	global_store_dwordx2 v[0:1], v[2:3], off
.LBB12_23:
	s_endpgm
	.section	.rodata,"a",@progbits
	.p2align	6, 0x0
	.amdhsa_kernel _ZN9rocsparseL19gebsrmvn_2xn_kernelILj128ELj4ELj16EfEEvi20rocsparse_direction_NS_24const_host_device_scalarIT2_EEPKiS6_PKS3_S8_S4_PS3_21rocsparse_index_base_b
		.amdhsa_group_segment_fixed_size 0
		.amdhsa_private_segment_fixed_size 0
		.amdhsa_kernarg_size 72
		.amdhsa_user_sgpr_count 6
		.amdhsa_user_sgpr_private_segment_buffer 1
		.amdhsa_user_sgpr_dispatch_ptr 0
		.amdhsa_user_sgpr_queue_ptr 0
		.amdhsa_user_sgpr_kernarg_segment_ptr 1
		.amdhsa_user_sgpr_dispatch_id 0
		.amdhsa_user_sgpr_flat_scratch_init 0
		.amdhsa_user_sgpr_private_segment_size 0
		.amdhsa_wavefront_size32 1
		.amdhsa_uses_dynamic_stack 0
		.amdhsa_system_sgpr_private_segment_wavefront_offset 0
		.amdhsa_system_sgpr_workgroup_id_x 1
		.amdhsa_system_sgpr_workgroup_id_y 0
		.amdhsa_system_sgpr_workgroup_id_z 0
		.amdhsa_system_sgpr_workgroup_info 0
		.amdhsa_system_vgpr_workitem_id 0
		.amdhsa_next_free_vgpr 22
		.amdhsa_next_free_sgpr 20
		.amdhsa_reserve_vcc 1
		.amdhsa_reserve_flat_scratch 0
		.amdhsa_float_round_mode_32 0
		.amdhsa_float_round_mode_16_64 0
		.amdhsa_float_denorm_mode_32 3
		.amdhsa_float_denorm_mode_16_64 3
		.amdhsa_dx10_clamp 1
		.amdhsa_ieee_mode 1
		.amdhsa_fp16_overflow 0
		.amdhsa_workgroup_processor_mode 1
		.amdhsa_memory_ordered 1
		.amdhsa_forward_progress 1
		.amdhsa_shared_vgpr_count 0
		.amdhsa_exception_fp_ieee_invalid_op 0
		.amdhsa_exception_fp_denorm_src 0
		.amdhsa_exception_fp_ieee_div_zero 0
		.amdhsa_exception_fp_ieee_overflow 0
		.amdhsa_exception_fp_ieee_underflow 0
		.amdhsa_exception_fp_ieee_inexact 0
		.amdhsa_exception_int_div_zero 0
	.end_amdhsa_kernel
	.section	.text._ZN9rocsparseL19gebsrmvn_2xn_kernelILj128ELj4ELj16EfEEvi20rocsparse_direction_NS_24const_host_device_scalarIT2_EEPKiS6_PKS3_S8_S4_PS3_21rocsparse_index_base_b,"axG",@progbits,_ZN9rocsparseL19gebsrmvn_2xn_kernelILj128ELj4ELj16EfEEvi20rocsparse_direction_NS_24const_host_device_scalarIT2_EEPKiS6_PKS3_S8_S4_PS3_21rocsparse_index_base_b,comdat
.Lfunc_end12:
	.size	_ZN9rocsparseL19gebsrmvn_2xn_kernelILj128ELj4ELj16EfEEvi20rocsparse_direction_NS_24const_host_device_scalarIT2_EEPKiS6_PKS3_S8_S4_PS3_21rocsparse_index_base_b, .Lfunc_end12-_ZN9rocsparseL19gebsrmvn_2xn_kernelILj128ELj4ELj16EfEEvi20rocsparse_direction_NS_24const_host_device_scalarIT2_EEPKiS6_PKS3_S8_S4_PS3_21rocsparse_index_base_b
                                        ; -- End function
	.set _ZN9rocsparseL19gebsrmvn_2xn_kernelILj128ELj4ELj16EfEEvi20rocsparse_direction_NS_24const_host_device_scalarIT2_EEPKiS6_PKS3_S8_S4_PS3_21rocsparse_index_base_b.num_vgpr, 22
	.set _ZN9rocsparseL19gebsrmvn_2xn_kernelILj128ELj4ELj16EfEEvi20rocsparse_direction_NS_24const_host_device_scalarIT2_EEPKiS6_PKS3_S8_S4_PS3_21rocsparse_index_base_b.num_agpr, 0
	.set _ZN9rocsparseL19gebsrmvn_2xn_kernelILj128ELj4ELj16EfEEvi20rocsparse_direction_NS_24const_host_device_scalarIT2_EEPKiS6_PKS3_S8_S4_PS3_21rocsparse_index_base_b.numbered_sgpr, 20
	.set _ZN9rocsparseL19gebsrmvn_2xn_kernelILj128ELj4ELj16EfEEvi20rocsparse_direction_NS_24const_host_device_scalarIT2_EEPKiS6_PKS3_S8_S4_PS3_21rocsparse_index_base_b.num_named_barrier, 0
	.set _ZN9rocsparseL19gebsrmvn_2xn_kernelILj128ELj4ELj16EfEEvi20rocsparse_direction_NS_24const_host_device_scalarIT2_EEPKiS6_PKS3_S8_S4_PS3_21rocsparse_index_base_b.private_seg_size, 0
	.set _ZN9rocsparseL19gebsrmvn_2xn_kernelILj128ELj4ELj16EfEEvi20rocsparse_direction_NS_24const_host_device_scalarIT2_EEPKiS6_PKS3_S8_S4_PS3_21rocsparse_index_base_b.uses_vcc, 1
	.set _ZN9rocsparseL19gebsrmvn_2xn_kernelILj128ELj4ELj16EfEEvi20rocsparse_direction_NS_24const_host_device_scalarIT2_EEPKiS6_PKS3_S8_S4_PS3_21rocsparse_index_base_b.uses_flat_scratch, 0
	.set _ZN9rocsparseL19gebsrmvn_2xn_kernelILj128ELj4ELj16EfEEvi20rocsparse_direction_NS_24const_host_device_scalarIT2_EEPKiS6_PKS3_S8_S4_PS3_21rocsparse_index_base_b.has_dyn_sized_stack, 0
	.set _ZN9rocsparseL19gebsrmvn_2xn_kernelILj128ELj4ELj16EfEEvi20rocsparse_direction_NS_24const_host_device_scalarIT2_EEPKiS6_PKS3_S8_S4_PS3_21rocsparse_index_base_b.has_recursion, 0
	.set _ZN9rocsparseL19gebsrmvn_2xn_kernelILj128ELj4ELj16EfEEvi20rocsparse_direction_NS_24const_host_device_scalarIT2_EEPKiS6_PKS3_S8_S4_PS3_21rocsparse_index_base_b.has_indirect_call, 0
	.section	.AMDGPU.csdata,"",@progbits
; Kernel info:
; codeLenInByte = 1136
; TotalNumSgprs: 22
; NumVgprs: 22
; ScratchSize: 0
; MemoryBound: 0
; FloatMode: 240
; IeeeMode: 1
; LDSByteSize: 0 bytes/workgroup (compile time only)
; SGPRBlocks: 0
; VGPRBlocks: 2
; NumSGPRsForWavesPerEU: 22
; NumVGPRsForWavesPerEU: 22
; Occupancy: 16
; WaveLimiterHint : 1
; COMPUTE_PGM_RSRC2:SCRATCH_EN: 0
; COMPUTE_PGM_RSRC2:USER_SGPR: 6
; COMPUTE_PGM_RSRC2:TRAP_HANDLER: 0
; COMPUTE_PGM_RSRC2:TGID_X_EN: 1
; COMPUTE_PGM_RSRC2:TGID_Y_EN: 0
; COMPUTE_PGM_RSRC2:TGID_Z_EN: 0
; COMPUTE_PGM_RSRC2:TIDIG_COMP_CNT: 0
	.section	.text._ZN9rocsparseL19gebsrmvn_2xn_kernelILj128ELj4ELj32EfEEvi20rocsparse_direction_NS_24const_host_device_scalarIT2_EEPKiS6_PKS3_S8_S4_PS3_21rocsparse_index_base_b,"axG",@progbits,_ZN9rocsparseL19gebsrmvn_2xn_kernelILj128ELj4ELj32EfEEvi20rocsparse_direction_NS_24const_host_device_scalarIT2_EEPKiS6_PKS3_S8_S4_PS3_21rocsparse_index_base_b,comdat
	.globl	_ZN9rocsparseL19gebsrmvn_2xn_kernelILj128ELj4ELj32EfEEvi20rocsparse_direction_NS_24const_host_device_scalarIT2_EEPKiS6_PKS3_S8_S4_PS3_21rocsparse_index_base_b ; -- Begin function _ZN9rocsparseL19gebsrmvn_2xn_kernelILj128ELj4ELj32EfEEvi20rocsparse_direction_NS_24const_host_device_scalarIT2_EEPKiS6_PKS3_S8_S4_PS3_21rocsparse_index_base_b
	.p2align	8
	.type	_ZN9rocsparseL19gebsrmvn_2xn_kernelILj128ELj4ELj32EfEEvi20rocsparse_direction_NS_24const_host_device_scalarIT2_EEPKiS6_PKS3_S8_S4_PS3_21rocsparse_index_base_b,@function
_ZN9rocsparseL19gebsrmvn_2xn_kernelILj128ELj4ELj32EfEEvi20rocsparse_direction_NS_24const_host_device_scalarIT2_EEPKiS6_PKS3_S8_S4_PS3_21rocsparse_index_base_b: ; @_ZN9rocsparseL19gebsrmvn_2xn_kernelILj128ELj4ELj32EfEEvi20rocsparse_direction_NS_24const_host_device_scalarIT2_EEPKiS6_PKS3_S8_S4_PS3_21rocsparse_index_base_b
; %bb.0:
	s_clause 0x2
	s_load_dwordx2 s[18:19], s[4:5], 0x40
	s_load_dwordx2 s[16:17], s[4:5], 0x8
	;; [unrolled: 1-line block ×3, first 2 shown]
	s_waitcnt lgkmcnt(0)
	s_bitcmp1_b32 s19, 0
	s_cselect_b32 s0, -1, 0
	s_and_b32 vcc_lo, exec_lo, s0
	s_xor_b32 s0, s0, -1
	s_cbranch_vccnz .LBB13_2
; %bb.1:
	s_load_dword s16, s[16:17], 0x0
.LBB13_2:
	s_andn2_b32 vcc_lo, exec_lo, s0
	s_cbranch_vccnz .LBB13_4
; %bb.3:
	s_load_dword s2, s[2:3], 0x0
.LBB13_4:
	s_waitcnt lgkmcnt(0)
	v_cmp_eq_f32_e64 s0, s16, 0
	v_cmp_eq_f32_e64 s1, s2, 1.0
	s_and_b32 s0, s0, s1
	s_and_b32 vcc_lo, exec_lo, s0
	s_cbranch_vccnz .LBB13_23
; %bb.5:
	s_load_dwordx2 s[0:1], s[4:5], 0x0
	v_lshrrev_b32_e32 v1, 5, v0
	v_lshl_or_b32 v1, s6, 2, v1
	s_waitcnt lgkmcnt(0)
	v_cmp_gt_i32_e32 vcc_lo, s0, v1
	s_and_saveexec_b32 s0, vcc_lo
	s_cbranch_execz .LBB13_23
; %bb.6:
	s_load_dwordx8 s[8:15], s[4:5], 0x10
	v_ashrrev_i32_e32 v2, 31, v1
	v_and_b32_e32 v0, 31, v0
	s_cmp_lg_u32 s1, 0
	v_lshlrev_b64 v[2:3], 2, v[1:2]
	s_waitcnt lgkmcnt(0)
	v_add_co_u32 v2, vcc_lo, s8, v2
	v_add_co_ci_u32_e64 v3, null, s9, v3, vcc_lo
	global_load_dwordx2 v[2:3], v[2:3], off
	s_waitcnt vmcnt(0)
	v_subrev_nc_u32_e32 v2, s18, v2
	v_subrev_nc_u32_e32 v9, s18, v3
	v_add_nc_u32_e32 v2, v2, v0
	v_cmp_lt_i32_e64 s0, v2, v9
	s_cbranch_scc0 .LBB13_12
; %bb.7:
	v_mov_b32_e32 v7, 0
	v_mov_b32_e32 v8, 0
	s_and_saveexec_b32 s1, s0
	s_cbranch_execz .LBB13_11
; %bb.8:
	v_mov_b32_e32 v4, 0
	v_lshlrev_b32_e32 v3, 3, v2
	v_mov_b32_e32 v5, v2
	s_mov_b32 s3, 0
	v_mov_b32_e32 v7, v4
	v_mov_b32_e32 v8, v4
	s_inst_prefetch 0x1
	.p2align	6
.LBB13_9:                               ; =>This Inner Loop Header: Depth=1
	v_ashrrev_i32_e32 v6, 31, v5
	v_mov_b32_e32 v13, v4
	v_lshlrev_b64 v[10:11], 2, v[5:6]
	v_add_nc_u32_e32 v5, 32, v5
	v_add_co_u32 v10, vcc_lo, s10, v10
	v_add_co_ci_u32_e64 v11, null, s11, v11, vcc_lo
	global_load_dword v6, v[10:11], off
	v_lshlrev_b64 v[10:11], 2, v[3:4]
	v_add_nc_u32_e32 v3, 0x100, v3
	v_add_co_u32 v14, vcc_lo, s12, v10
	v_add_co_ci_u32_e64 v15, null, s13, v11, vcc_lo
	s_waitcnt vmcnt(0)
	v_subrev_nc_u32_e32 v6, s18, v6
	v_lshlrev_b32_e32 v12, 2, v6
	v_lshlrev_b64 v[12:13], 2, v[12:13]
	v_add_co_u32 v18, vcc_lo, s14, v12
	v_add_co_ci_u32_e64 v19, null, s15, v13, vcc_lo
	v_cmp_ge_i32_e32 vcc_lo, v5, v9
	s_clause 0x1
	global_load_dwordx4 v[10:13], v[14:15], off offset:16
	global_load_dwordx4 v[14:17], v[14:15], off
	global_load_dwordx4 v[18:21], v[18:19], off
	s_or_b32 s3, vcc_lo, s3
	s_waitcnt vmcnt(0)
	v_fmac_f32_e32 v7, v14, v18
	v_fmac_f32_e32 v8, v15, v18
	;; [unrolled: 1-line block ×8, first 2 shown]
	s_andn2_b32 exec_lo, exec_lo, s3
	s_cbranch_execnz .LBB13_9
; %bb.10:
	s_inst_prefetch 0x2
	s_or_b32 exec_lo, exec_lo, s3
.LBB13_11:
	s_or_b32 exec_lo, exec_lo, s1
	s_cbranch_execz .LBB13_13
	s_branch .LBB13_18
.LBB13_12:
                                        ; implicit-def: $vgpr7
                                        ; implicit-def: $vgpr8
.LBB13_13:
	v_mov_b32_e32 v7, 0
	v_mov_b32_e32 v8, 0
	s_and_saveexec_b32 s1, s0
	s_cbranch_execz .LBB13_17
; %bb.14:
	v_mov_b32_e32 v5, 0
	v_lshlrev_b32_e32 v4, 3, v2
	s_mov_b32 s0, 0
	v_mov_b32_e32 v7, v5
	v_mov_b32_e32 v8, v5
	s_inst_prefetch 0x1
	.p2align	6
.LBB13_15:                              ; =>This Inner Loop Header: Depth=1
	v_ashrrev_i32_e32 v3, 31, v2
	v_mov_b32_e32 v13, v5
	v_lshlrev_b64 v[10:11], 2, v[2:3]
	v_add_nc_u32_e32 v2, 32, v2
	v_add_co_u32 v10, vcc_lo, s10, v10
	v_add_co_ci_u32_e64 v11, null, s11, v11, vcc_lo
	global_load_dword v3, v[10:11], off
	v_lshlrev_b64 v[10:11], 2, v[4:5]
	v_add_nc_u32_e32 v4, 0x100, v4
	v_add_co_u32 v14, vcc_lo, s12, v10
	v_add_co_ci_u32_e64 v15, null, s13, v11, vcc_lo
	s_waitcnt vmcnt(0)
	v_subrev_nc_u32_e32 v3, s18, v3
	v_lshlrev_b32_e32 v12, 2, v3
	v_lshlrev_b64 v[12:13], 2, v[12:13]
	v_add_co_u32 v18, vcc_lo, s14, v12
	v_add_co_ci_u32_e64 v19, null, s15, v13, vcc_lo
	v_cmp_ge_i32_e32 vcc_lo, v2, v9
	s_clause 0x1
	global_load_dwordx4 v[10:13], v[14:15], off offset:16
	global_load_dwordx4 v[14:17], v[14:15], off
	global_load_dwordx4 v[18:21], v[18:19], off
	s_or_b32 s0, vcc_lo, s0
	s_waitcnt vmcnt(0)
	v_fmac_f32_e32 v7, v14, v18
	v_fmac_f32_e32 v8, v10, v18
	;; [unrolled: 1-line block ×8, first 2 shown]
	s_andn2_b32 exec_lo, exec_lo, s0
	s_cbranch_execnz .LBB13_15
; %bb.16:
	s_inst_prefetch 0x2
	s_or_b32 exec_lo, exec_lo, s0
.LBB13_17:
	s_or_b32 exec_lo, exec_lo, s1
.LBB13_18:
	v_mbcnt_lo_u32_b32 v2, -1, 0
	s_mov_b32 s3, -1
	v_xor_b32_e32 v3, 16, v2
	v_xor_b32_e32 v5, 8, v2
	v_cmp_gt_i32_e32 vcc_lo, 32, v3
	v_cndmask_b32_e32 v3, v2, v3, vcc_lo
	v_cmp_gt_i32_e32 vcc_lo, 32, v5
	v_lshlrev_b32_e32 v3, 2, v3
	v_cndmask_b32_e32 v5, v2, v5, vcc_lo
	ds_bpermute_b32 v4, v3, v7
	ds_bpermute_b32 v3, v3, v8
	v_lshlrev_b32_e32 v5, 2, v5
	s_waitcnt lgkmcnt(1)
	v_add_f32_e32 v4, v7, v4
	s_waitcnt lgkmcnt(0)
	v_add_f32_e32 v3, v8, v3
	v_xor_b32_e32 v7, 4, v2
	ds_bpermute_b32 v6, v5, v4
	ds_bpermute_b32 v5, v5, v3
	v_cmp_gt_i32_e32 vcc_lo, 32, v7
	v_cndmask_b32_e32 v7, v2, v7, vcc_lo
	v_lshlrev_b32_e32 v7, 2, v7
	s_waitcnt lgkmcnt(1)
	v_add_f32_e32 v4, v4, v6
	s_waitcnt lgkmcnt(0)
	v_add_f32_e32 v3, v3, v5
	ds_bpermute_b32 v5, v7, v4
	ds_bpermute_b32 v6, v7, v3
	v_xor_b32_e32 v7, 2, v2
	v_cmp_gt_i32_e32 vcc_lo, 32, v7
	v_cndmask_b32_e32 v7, v2, v7, vcc_lo
	v_lshlrev_b32_e32 v7, 2, v7
	s_waitcnt lgkmcnt(1)
	v_add_f32_e32 v4, v4, v5
	s_waitcnt lgkmcnt(0)
	v_add_f32_e32 v3, v3, v6
	ds_bpermute_b32 v5, v7, v4
	ds_bpermute_b32 v6, v7, v3
	v_xor_b32_e32 v7, 1, v2
	v_cmp_gt_i32_e32 vcc_lo, 32, v7
	v_cndmask_b32_e32 v2, v2, v7, vcc_lo
	v_cmp_eq_u32_e32 vcc_lo, 31, v0
	v_lshlrev_b32_e32 v7, 2, v2
	s_waitcnt lgkmcnt(1)
	v_add_f32_e32 v2, v4, v5
	s_waitcnt lgkmcnt(0)
	v_add_f32_e32 v3, v3, v6
	ds_bpermute_b32 v4, v7, v2
	ds_bpermute_b32 v5, v7, v3
	s_and_b32 exec_lo, exec_lo, vcc_lo
	s_cbranch_execz .LBB13_23
; %bb.19:
	s_load_dwordx2 s[0:1], s[4:5], 0x38
	s_waitcnt lgkmcnt(0)
	v_add_f32_e32 v0, v2, v4
	v_add_f32_e32 v3, v3, v5
	v_cmp_eq_f32_e64 s4, s2, 0
	v_mul_f32_e32 v2, s16, v0
	v_mul_f32_e32 v3, s16, v3
	v_lshlrev_b32_e32 v0, 1, v1
	s_and_b32 vcc_lo, exec_lo, s4
	s_cbranch_vccz .LBB13_21
; %bb.20:
	v_ashrrev_i32_e32 v1, 31, v0
	s_mov_b32 s3, 0
	v_lshlrev_b64 v[4:5], 2, v[0:1]
	v_add_co_u32 v4, vcc_lo, s0, v4
	v_add_co_ci_u32_e64 v5, null, s1, v5, vcc_lo
	global_store_dwordx2 v[4:5], v[2:3], off
.LBB13_21:
	s_andn2_b32 vcc_lo, exec_lo, s3
	s_cbranch_vccnz .LBB13_23
; %bb.22:
	v_ashrrev_i32_e32 v1, 31, v0
	v_lshlrev_b64 v[0:1], 2, v[0:1]
	v_add_co_u32 v0, vcc_lo, s0, v0
	v_add_co_ci_u32_e64 v1, null, s1, v1, vcc_lo
	global_load_dwordx2 v[4:5], v[0:1], off
	s_waitcnt vmcnt(0)
	v_fmac_f32_e32 v2, s2, v4
	v_fmac_f32_e32 v3, s2, v5
	global_store_dwordx2 v[0:1], v[2:3], off
.LBB13_23:
	s_endpgm
	.section	.rodata,"a",@progbits
	.p2align	6, 0x0
	.amdhsa_kernel _ZN9rocsparseL19gebsrmvn_2xn_kernelILj128ELj4ELj32EfEEvi20rocsparse_direction_NS_24const_host_device_scalarIT2_EEPKiS6_PKS3_S8_S4_PS3_21rocsparse_index_base_b
		.amdhsa_group_segment_fixed_size 0
		.amdhsa_private_segment_fixed_size 0
		.amdhsa_kernarg_size 72
		.amdhsa_user_sgpr_count 6
		.amdhsa_user_sgpr_private_segment_buffer 1
		.amdhsa_user_sgpr_dispatch_ptr 0
		.amdhsa_user_sgpr_queue_ptr 0
		.amdhsa_user_sgpr_kernarg_segment_ptr 1
		.amdhsa_user_sgpr_dispatch_id 0
		.amdhsa_user_sgpr_flat_scratch_init 0
		.amdhsa_user_sgpr_private_segment_size 0
		.amdhsa_wavefront_size32 1
		.amdhsa_uses_dynamic_stack 0
		.amdhsa_system_sgpr_private_segment_wavefront_offset 0
		.amdhsa_system_sgpr_workgroup_id_x 1
		.amdhsa_system_sgpr_workgroup_id_y 0
		.amdhsa_system_sgpr_workgroup_id_z 0
		.amdhsa_system_sgpr_workgroup_info 0
		.amdhsa_system_vgpr_workitem_id 0
		.amdhsa_next_free_vgpr 22
		.amdhsa_next_free_sgpr 20
		.amdhsa_reserve_vcc 1
		.amdhsa_reserve_flat_scratch 0
		.amdhsa_float_round_mode_32 0
		.amdhsa_float_round_mode_16_64 0
		.amdhsa_float_denorm_mode_32 3
		.amdhsa_float_denorm_mode_16_64 3
		.amdhsa_dx10_clamp 1
		.amdhsa_ieee_mode 1
		.amdhsa_fp16_overflow 0
		.amdhsa_workgroup_processor_mode 1
		.amdhsa_memory_ordered 1
		.amdhsa_forward_progress 1
		.amdhsa_shared_vgpr_count 0
		.amdhsa_exception_fp_ieee_invalid_op 0
		.amdhsa_exception_fp_denorm_src 0
		.amdhsa_exception_fp_ieee_div_zero 0
		.amdhsa_exception_fp_ieee_overflow 0
		.amdhsa_exception_fp_ieee_underflow 0
		.amdhsa_exception_fp_ieee_inexact 0
		.amdhsa_exception_int_div_zero 0
	.end_amdhsa_kernel
	.section	.text._ZN9rocsparseL19gebsrmvn_2xn_kernelILj128ELj4ELj32EfEEvi20rocsparse_direction_NS_24const_host_device_scalarIT2_EEPKiS6_PKS3_S8_S4_PS3_21rocsparse_index_base_b,"axG",@progbits,_ZN9rocsparseL19gebsrmvn_2xn_kernelILj128ELj4ELj32EfEEvi20rocsparse_direction_NS_24const_host_device_scalarIT2_EEPKiS6_PKS3_S8_S4_PS3_21rocsparse_index_base_b,comdat
.Lfunc_end13:
	.size	_ZN9rocsparseL19gebsrmvn_2xn_kernelILj128ELj4ELj32EfEEvi20rocsparse_direction_NS_24const_host_device_scalarIT2_EEPKiS6_PKS3_S8_S4_PS3_21rocsparse_index_base_b, .Lfunc_end13-_ZN9rocsparseL19gebsrmvn_2xn_kernelILj128ELj4ELj32EfEEvi20rocsparse_direction_NS_24const_host_device_scalarIT2_EEPKiS6_PKS3_S8_S4_PS3_21rocsparse_index_base_b
                                        ; -- End function
	.set _ZN9rocsparseL19gebsrmvn_2xn_kernelILj128ELj4ELj32EfEEvi20rocsparse_direction_NS_24const_host_device_scalarIT2_EEPKiS6_PKS3_S8_S4_PS3_21rocsparse_index_base_b.num_vgpr, 22
	.set _ZN9rocsparseL19gebsrmvn_2xn_kernelILj128ELj4ELj32EfEEvi20rocsparse_direction_NS_24const_host_device_scalarIT2_EEPKiS6_PKS3_S8_S4_PS3_21rocsparse_index_base_b.num_agpr, 0
	.set _ZN9rocsparseL19gebsrmvn_2xn_kernelILj128ELj4ELj32EfEEvi20rocsparse_direction_NS_24const_host_device_scalarIT2_EEPKiS6_PKS3_S8_S4_PS3_21rocsparse_index_base_b.numbered_sgpr, 20
	.set _ZN9rocsparseL19gebsrmvn_2xn_kernelILj128ELj4ELj32EfEEvi20rocsparse_direction_NS_24const_host_device_scalarIT2_EEPKiS6_PKS3_S8_S4_PS3_21rocsparse_index_base_b.num_named_barrier, 0
	.set _ZN9rocsparseL19gebsrmvn_2xn_kernelILj128ELj4ELj32EfEEvi20rocsparse_direction_NS_24const_host_device_scalarIT2_EEPKiS6_PKS3_S8_S4_PS3_21rocsparse_index_base_b.private_seg_size, 0
	.set _ZN9rocsparseL19gebsrmvn_2xn_kernelILj128ELj4ELj32EfEEvi20rocsparse_direction_NS_24const_host_device_scalarIT2_EEPKiS6_PKS3_S8_S4_PS3_21rocsparse_index_base_b.uses_vcc, 1
	.set _ZN9rocsparseL19gebsrmvn_2xn_kernelILj128ELj4ELj32EfEEvi20rocsparse_direction_NS_24const_host_device_scalarIT2_EEPKiS6_PKS3_S8_S4_PS3_21rocsparse_index_base_b.uses_flat_scratch, 0
	.set _ZN9rocsparseL19gebsrmvn_2xn_kernelILj128ELj4ELj32EfEEvi20rocsparse_direction_NS_24const_host_device_scalarIT2_EEPKiS6_PKS3_S8_S4_PS3_21rocsparse_index_base_b.has_dyn_sized_stack, 0
	.set _ZN9rocsparseL19gebsrmvn_2xn_kernelILj128ELj4ELj32EfEEvi20rocsparse_direction_NS_24const_host_device_scalarIT2_EEPKiS6_PKS3_S8_S4_PS3_21rocsparse_index_base_b.has_recursion, 0
	.set _ZN9rocsparseL19gebsrmvn_2xn_kernelILj128ELj4ELj32EfEEvi20rocsparse_direction_NS_24const_host_device_scalarIT2_EEPKiS6_PKS3_S8_S4_PS3_21rocsparse_index_base_b.has_indirect_call, 0
	.section	.AMDGPU.csdata,"",@progbits
; Kernel info:
; codeLenInByte = 1184
; TotalNumSgprs: 22
; NumVgprs: 22
; ScratchSize: 0
; MemoryBound: 0
; FloatMode: 240
; IeeeMode: 1
; LDSByteSize: 0 bytes/workgroup (compile time only)
; SGPRBlocks: 0
; VGPRBlocks: 2
; NumSGPRsForWavesPerEU: 22
; NumVGPRsForWavesPerEU: 22
; Occupancy: 16
; WaveLimiterHint : 1
; COMPUTE_PGM_RSRC2:SCRATCH_EN: 0
; COMPUTE_PGM_RSRC2:USER_SGPR: 6
; COMPUTE_PGM_RSRC2:TRAP_HANDLER: 0
; COMPUTE_PGM_RSRC2:TGID_X_EN: 1
; COMPUTE_PGM_RSRC2:TGID_Y_EN: 0
; COMPUTE_PGM_RSRC2:TGID_Z_EN: 0
; COMPUTE_PGM_RSRC2:TIDIG_COMP_CNT: 0
	.section	.text._ZN9rocsparseL19gebsrmvn_2xn_kernelILj128ELj4ELj64EfEEvi20rocsparse_direction_NS_24const_host_device_scalarIT2_EEPKiS6_PKS3_S8_S4_PS3_21rocsparse_index_base_b,"axG",@progbits,_ZN9rocsparseL19gebsrmvn_2xn_kernelILj128ELj4ELj64EfEEvi20rocsparse_direction_NS_24const_host_device_scalarIT2_EEPKiS6_PKS3_S8_S4_PS3_21rocsparse_index_base_b,comdat
	.globl	_ZN9rocsparseL19gebsrmvn_2xn_kernelILj128ELj4ELj64EfEEvi20rocsparse_direction_NS_24const_host_device_scalarIT2_EEPKiS6_PKS3_S8_S4_PS3_21rocsparse_index_base_b ; -- Begin function _ZN9rocsparseL19gebsrmvn_2xn_kernelILj128ELj4ELj64EfEEvi20rocsparse_direction_NS_24const_host_device_scalarIT2_EEPKiS6_PKS3_S8_S4_PS3_21rocsparse_index_base_b
	.p2align	8
	.type	_ZN9rocsparseL19gebsrmvn_2xn_kernelILj128ELj4ELj64EfEEvi20rocsparse_direction_NS_24const_host_device_scalarIT2_EEPKiS6_PKS3_S8_S4_PS3_21rocsparse_index_base_b,@function
_ZN9rocsparseL19gebsrmvn_2xn_kernelILj128ELj4ELj64EfEEvi20rocsparse_direction_NS_24const_host_device_scalarIT2_EEPKiS6_PKS3_S8_S4_PS3_21rocsparse_index_base_b: ; @_ZN9rocsparseL19gebsrmvn_2xn_kernelILj128ELj4ELj64EfEEvi20rocsparse_direction_NS_24const_host_device_scalarIT2_EEPKiS6_PKS3_S8_S4_PS3_21rocsparse_index_base_b
; %bb.0:
	s_clause 0x2
	s_load_dwordx2 s[18:19], s[4:5], 0x40
	s_load_dwordx2 s[16:17], s[4:5], 0x8
	;; [unrolled: 1-line block ×3, first 2 shown]
	s_waitcnt lgkmcnt(0)
	s_bitcmp1_b32 s19, 0
	s_cselect_b32 s0, -1, 0
	s_and_b32 vcc_lo, exec_lo, s0
	s_xor_b32 s0, s0, -1
	s_cbranch_vccnz .LBB14_2
; %bb.1:
	s_load_dword s16, s[16:17], 0x0
.LBB14_2:
	s_andn2_b32 vcc_lo, exec_lo, s0
	s_cbranch_vccnz .LBB14_4
; %bb.3:
	s_load_dword s2, s[2:3], 0x0
.LBB14_4:
	s_waitcnt lgkmcnt(0)
	v_cmp_eq_f32_e64 s0, s16, 0
	v_cmp_eq_f32_e64 s1, s2, 1.0
	s_and_b32 s0, s0, s1
	s_and_b32 vcc_lo, exec_lo, s0
	s_cbranch_vccnz .LBB14_23
; %bb.5:
	s_load_dwordx2 s[0:1], s[4:5], 0x0
	v_lshrrev_b32_e32 v1, 6, v0
	v_lshl_or_b32 v1, s6, 1, v1
	s_waitcnt lgkmcnt(0)
	v_cmp_gt_i32_e32 vcc_lo, s0, v1
	s_and_saveexec_b32 s0, vcc_lo
	s_cbranch_execz .LBB14_23
; %bb.6:
	s_load_dwordx8 s[8:15], s[4:5], 0x10
	v_ashrrev_i32_e32 v2, 31, v1
	v_and_b32_e32 v0, 63, v0
	s_cmp_lg_u32 s1, 0
	v_lshlrev_b64 v[2:3], 2, v[1:2]
	s_waitcnt lgkmcnt(0)
	v_add_co_u32 v2, vcc_lo, s8, v2
	v_add_co_ci_u32_e64 v3, null, s9, v3, vcc_lo
	global_load_dwordx2 v[2:3], v[2:3], off
	s_waitcnt vmcnt(0)
	v_subrev_nc_u32_e32 v2, s18, v2
	v_subrev_nc_u32_e32 v9, s18, v3
	v_add_nc_u32_e32 v2, v2, v0
	v_cmp_lt_i32_e64 s0, v2, v9
	s_cbranch_scc0 .LBB14_12
; %bb.7:
	v_mov_b32_e32 v7, 0
	v_mov_b32_e32 v8, 0
	s_and_saveexec_b32 s1, s0
	s_cbranch_execz .LBB14_11
; %bb.8:
	v_mov_b32_e32 v4, 0
	v_lshlrev_b32_e32 v3, 3, v2
	v_mov_b32_e32 v5, v2
	s_mov_b32 s3, 0
	v_mov_b32_e32 v7, v4
	v_mov_b32_e32 v8, v4
	s_inst_prefetch 0x1
	.p2align	6
.LBB14_9:                               ; =>This Inner Loop Header: Depth=1
	v_ashrrev_i32_e32 v6, 31, v5
	v_mov_b32_e32 v13, v4
	v_lshlrev_b64 v[10:11], 2, v[5:6]
	v_add_nc_u32_e32 v5, 64, v5
	v_add_co_u32 v10, vcc_lo, s10, v10
	v_add_co_ci_u32_e64 v11, null, s11, v11, vcc_lo
	global_load_dword v6, v[10:11], off
	v_lshlrev_b64 v[10:11], 2, v[3:4]
	v_add_nc_u32_e32 v3, 0x200, v3
	v_add_co_u32 v14, vcc_lo, s12, v10
	v_add_co_ci_u32_e64 v15, null, s13, v11, vcc_lo
	s_waitcnt vmcnt(0)
	v_subrev_nc_u32_e32 v6, s18, v6
	v_lshlrev_b32_e32 v12, 2, v6
	v_lshlrev_b64 v[12:13], 2, v[12:13]
	v_add_co_u32 v18, vcc_lo, s14, v12
	v_add_co_ci_u32_e64 v19, null, s15, v13, vcc_lo
	v_cmp_ge_i32_e32 vcc_lo, v5, v9
	s_clause 0x1
	global_load_dwordx4 v[10:13], v[14:15], off offset:16
	global_load_dwordx4 v[14:17], v[14:15], off
	global_load_dwordx4 v[18:21], v[18:19], off
	s_or_b32 s3, vcc_lo, s3
	s_waitcnt vmcnt(0)
	v_fmac_f32_e32 v7, v14, v18
	v_fmac_f32_e32 v8, v15, v18
	v_fmac_f32_e32 v7, v16, v19
	v_fmac_f32_e32 v8, v17, v19
	v_fmac_f32_e32 v7, v10, v20
	v_fmac_f32_e32 v8, v11, v20
	v_fmac_f32_e32 v7, v12, v21
	v_fmac_f32_e32 v8, v13, v21
	s_andn2_b32 exec_lo, exec_lo, s3
	s_cbranch_execnz .LBB14_9
; %bb.10:
	s_inst_prefetch 0x2
	s_or_b32 exec_lo, exec_lo, s3
.LBB14_11:
	s_or_b32 exec_lo, exec_lo, s1
	s_cbranch_execz .LBB14_13
	s_branch .LBB14_18
.LBB14_12:
                                        ; implicit-def: $vgpr7
                                        ; implicit-def: $vgpr8
.LBB14_13:
	v_mov_b32_e32 v7, 0
	v_mov_b32_e32 v8, 0
	s_and_saveexec_b32 s1, s0
	s_cbranch_execz .LBB14_17
; %bb.14:
	v_mov_b32_e32 v5, 0
	v_lshlrev_b32_e32 v4, 3, v2
	s_mov_b32 s0, 0
	v_mov_b32_e32 v7, v5
	v_mov_b32_e32 v8, v5
	s_inst_prefetch 0x1
	.p2align	6
.LBB14_15:                              ; =>This Inner Loop Header: Depth=1
	v_ashrrev_i32_e32 v3, 31, v2
	v_mov_b32_e32 v13, v5
	v_lshlrev_b64 v[10:11], 2, v[2:3]
	v_add_nc_u32_e32 v2, 64, v2
	v_add_co_u32 v10, vcc_lo, s10, v10
	v_add_co_ci_u32_e64 v11, null, s11, v11, vcc_lo
	global_load_dword v3, v[10:11], off
	v_lshlrev_b64 v[10:11], 2, v[4:5]
	v_add_nc_u32_e32 v4, 0x200, v4
	v_add_co_u32 v14, vcc_lo, s12, v10
	v_add_co_ci_u32_e64 v15, null, s13, v11, vcc_lo
	s_waitcnt vmcnt(0)
	v_subrev_nc_u32_e32 v3, s18, v3
	v_lshlrev_b32_e32 v12, 2, v3
	v_lshlrev_b64 v[12:13], 2, v[12:13]
	v_add_co_u32 v18, vcc_lo, s14, v12
	v_add_co_ci_u32_e64 v19, null, s15, v13, vcc_lo
	v_cmp_ge_i32_e32 vcc_lo, v2, v9
	s_clause 0x1
	global_load_dwordx4 v[10:13], v[14:15], off offset:16
	global_load_dwordx4 v[14:17], v[14:15], off
	global_load_dwordx4 v[18:21], v[18:19], off
	s_or_b32 s0, vcc_lo, s0
	s_waitcnt vmcnt(0)
	v_fmac_f32_e32 v7, v14, v18
	v_fmac_f32_e32 v8, v10, v18
	;; [unrolled: 1-line block ×8, first 2 shown]
	s_andn2_b32 exec_lo, exec_lo, s0
	s_cbranch_execnz .LBB14_15
; %bb.16:
	s_inst_prefetch 0x2
	s_or_b32 exec_lo, exec_lo, s0
.LBB14_17:
	s_or_b32 exec_lo, exec_lo, s1
.LBB14_18:
	v_mbcnt_lo_u32_b32 v2, -1, 0
	s_mov_b32 s3, -1
	v_or_b32_e32 v3, 32, v2
	v_xor_b32_e32 v5, 16, v2
	v_cmp_gt_i32_e32 vcc_lo, 32, v3
	v_cndmask_b32_e32 v3, v2, v3, vcc_lo
	v_cmp_gt_i32_e32 vcc_lo, 32, v5
	v_lshlrev_b32_e32 v3, 2, v3
	v_cndmask_b32_e32 v5, v2, v5, vcc_lo
	ds_bpermute_b32 v4, v3, v7
	ds_bpermute_b32 v3, v3, v8
	v_lshlrev_b32_e32 v5, 2, v5
	s_waitcnt lgkmcnt(1)
	v_add_f32_e32 v4, v7, v4
	s_waitcnt lgkmcnt(0)
	v_add_f32_e32 v3, v8, v3
	v_xor_b32_e32 v7, 8, v2
	ds_bpermute_b32 v6, v5, v4
	ds_bpermute_b32 v5, v5, v3
	v_cmp_gt_i32_e32 vcc_lo, 32, v7
	v_cndmask_b32_e32 v7, v2, v7, vcc_lo
	v_lshlrev_b32_e32 v7, 2, v7
	s_waitcnt lgkmcnt(1)
	v_add_f32_e32 v4, v4, v6
	s_waitcnt lgkmcnt(0)
	v_add_f32_e32 v3, v3, v5
	ds_bpermute_b32 v5, v7, v4
	ds_bpermute_b32 v6, v7, v3
	v_xor_b32_e32 v7, 4, v2
	v_cmp_gt_i32_e32 vcc_lo, 32, v7
	v_cndmask_b32_e32 v7, v2, v7, vcc_lo
	v_lshlrev_b32_e32 v7, 2, v7
	s_waitcnt lgkmcnt(1)
	v_add_f32_e32 v4, v4, v5
	s_waitcnt lgkmcnt(0)
	v_add_f32_e32 v3, v3, v6
	ds_bpermute_b32 v5, v7, v4
	ds_bpermute_b32 v6, v7, v3
	v_xor_b32_e32 v7, 2, v2
	;; [unrolled: 10-line block ×3, first 2 shown]
	v_cmp_gt_i32_e32 vcc_lo, 32, v7
	v_cndmask_b32_e32 v2, v2, v7, vcc_lo
	v_cmp_eq_u32_e32 vcc_lo, 63, v0
	v_lshlrev_b32_e32 v7, 2, v2
	s_waitcnt lgkmcnt(1)
	v_add_f32_e32 v2, v4, v5
	s_waitcnt lgkmcnt(0)
	v_add_f32_e32 v3, v3, v6
	ds_bpermute_b32 v4, v7, v2
	ds_bpermute_b32 v5, v7, v3
	s_and_b32 exec_lo, exec_lo, vcc_lo
	s_cbranch_execz .LBB14_23
; %bb.19:
	s_load_dwordx2 s[0:1], s[4:5], 0x38
	s_waitcnt lgkmcnt(0)
	v_add_f32_e32 v0, v2, v4
	v_add_f32_e32 v3, v3, v5
	v_cmp_eq_f32_e64 s4, s2, 0
	v_mul_f32_e32 v2, s16, v0
	v_mul_f32_e32 v3, s16, v3
	v_lshlrev_b32_e32 v0, 1, v1
	s_and_b32 vcc_lo, exec_lo, s4
	s_cbranch_vccz .LBB14_21
; %bb.20:
	v_ashrrev_i32_e32 v1, 31, v0
	s_mov_b32 s3, 0
	v_lshlrev_b64 v[4:5], 2, v[0:1]
	v_add_co_u32 v4, vcc_lo, s0, v4
	v_add_co_ci_u32_e64 v5, null, s1, v5, vcc_lo
	global_store_dwordx2 v[4:5], v[2:3], off
.LBB14_21:
	s_andn2_b32 vcc_lo, exec_lo, s3
	s_cbranch_vccnz .LBB14_23
; %bb.22:
	v_ashrrev_i32_e32 v1, 31, v0
	v_lshlrev_b64 v[0:1], 2, v[0:1]
	v_add_co_u32 v0, vcc_lo, s0, v0
	v_add_co_ci_u32_e64 v1, null, s1, v1, vcc_lo
	global_load_dwordx2 v[4:5], v[0:1], off
	s_waitcnt vmcnt(0)
	v_fmac_f32_e32 v2, s2, v4
	v_fmac_f32_e32 v3, s2, v5
	global_store_dwordx2 v[0:1], v[2:3], off
.LBB14_23:
	s_endpgm
	.section	.rodata,"a",@progbits
	.p2align	6, 0x0
	.amdhsa_kernel _ZN9rocsparseL19gebsrmvn_2xn_kernelILj128ELj4ELj64EfEEvi20rocsparse_direction_NS_24const_host_device_scalarIT2_EEPKiS6_PKS3_S8_S4_PS3_21rocsparse_index_base_b
		.amdhsa_group_segment_fixed_size 0
		.amdhsa_private_segment_fixed_size 0
		.amdhsa_kernarg_size 72
		.amdhsa_user_sgpr_count 6
		.amdhsa_user_sgpr_private_segment_buffer 1
		.amdhsa_user_sgpr_dispatch_ptr 0
		.amdhsa_user_sgpr_queue_ptr 0
		.amdhsa_user_sgpr_kernarg_segment_ptr 1
		.amdhsa_user_sgpr_dispatch_id 0
		.amdhsa_user_sgpr_flat_scratch_init 0
		.amdhsa_user_sgpr_private_segment_size 0
		.amdhsa_wavefront_size32 1
		.amdhsa_uses_dynamic_stack 0
		.amdhsa_system_sgpr_private_segment_wavefront_offset 0
		.amdhsa_system_sgpr_workgroup_id_x 1
		.amdhsa_system_sgpr_workgroup_id_y 0
		.amdhsa_system_sgpr_workgroup_id_z 0
		.amdhsa_system_sgpr_workgroup_info 0
		.amdhsa_system_vgpr_workitem_id 0
		.amdhsa_next_free_vgpr 22
		.amdhsa_next_free_sgpr 20
		.amdhsa_reserve_vcc 1
		.amdhsa_reserve_flat_scratch 0
		.amdhsa_float_round_mode_32 0
		.amdhsa_float_round_mode_16_64 0
		.amdhsa_float_denorm_mode_32 3
		.amdhsa_float_denorm_mode_16_64 3
		.amdhsa_dx10_clamp 1
		.amdhsa_ieee_mode 1
		.amdhsa_fp16_overflow 0
		.amdhsa_workgroup_processor_mode 1
		.amdhsa_memory_ordered 1
		.amdhsa_forward_progress 1
		.amdhsa_shared_vgpr_count 0
		.amdhsa_exception_fp_ieee_invalid_op 0
		.amdhsa_exception_fp_denorm_src 0
		.amdhsa_exception_fp_ieee_div_zero 0
		.amdhsa_exception_fp_ieee_overflow 0
		.amdhsa_exception_fp_ieee_underflow 0
		.amdhsa_exception_fp_ieee_inexact 0
		.amdhsa_exception_int_div_zero 0
	.end_amdhsa_kernel
	.section	.text._ZN9rocsparseL19gebsrmvn_2xn_kernelILj128ELj4ELj64EfEEvi20rocsparse_direction_NS_24const_host_device_scalarIT2_EEPKiS6_PKS3_S8_S4_PS3_21rocsparse_index_base_b,"axG",@progbits,_ZN9rocsparseL19gebsrmvn_2xn_kernelILj128ELj4ELj64EfEEvi20rocsparse_direction_NS_24const_host_device_scalarIT2_EEPKiS6_PKS3_S8_S4_PS3_21rocsparse_index_base_b,comdat
.Lfunc_end14:
	.size	_ZN9rocsparseL19gebsrmvn_2xn_kernelILj128ELj4ELj64EfEEvi20rocsparse_direction_NS_24const_host_device_scalarIT2_EEPKiS6_PKS3_S8_S4_PS3_21rocsparse_index_base_b, .Lfunc_end14-_ZN9rocsparseL19gebsrmvn_2xn_kernelILj128ELj4ELj64EfEEvi20rocsparse_direction_NS_24const_host_device_scalarIT2_EEPKiS6_PKS3_S8_S4_PS3_21rocsparse_index_base_b
                                        ; -- End function
	.set _ZN9rocsparseL19gebsrmvn_2xn_kernelILj128ELj4ELj64EfEEvi20rocsparse_direction_NS_24const_host_device_scalarIT2_EEPKiS6_PKS3_S8_S4_PS3_21rocsparse_index_base_b.num_vgpr, 22
	.set _ZN9rocsparseL19gebsrmvn_2xn_kernelILj128ELj4ELj64EfEEvi20rocsparse_direction_NS_24const_host_device_scalarIT2_EEPKiS6_PKS3_S8_S4_PS3_21rocsparse_index_base_b.num_agpr, 0
	.set _ZN9rocsparseL19gebsrmvn_2xn_kernelILj128ELj4ELj64EfEEvi20rocsparse_direction_NS_24const_host_device_scalarIT2_EEPKiS6_PKS3_S8_S4_PS3_21rocsparse_index_base_b.numbered_sgpr, 20
	.set _ZN9rocsparseL19gebsrmvn_2xn_kernelILj128ELj4ELj64EfEEvi20rocsparse_direction_NS_24const_host_device_scalarIT2_EEPKiS6_PKS3_S8_S4_PS3_21rocsparse_index_base_b.num_named_barrier, 0
	.set _ZN9rocsparseL19gebsrmvn_2xn_kernelILj128ELj4ELj64EfEEvi20rocsparse_direction_NS_24const_host_device_scalarIT2_EEPKiS6_PKS3_S8_S4_PS3_21rocsparse_index_base_b.private_seg_size, 0
	.set _ZN9rocsparseL19gebsrmvn_2xn_kernelILj128ELj4ELj64EfEEvi20rocsparse_direction_NS_24const_host_device_scalarIT2_EEPKiS6_PKS3_S8_S4_PS3_21rocsparse_index_base_b.uses_vcc, 1
	.set _ZN9rocsparseL19gebsrmvn_2xn_kernelILj128ELj4ELj64EfEEvi20rocsparse_direction_NS_24const_host_device_scalarIT2_EEPKiS6_PKS3_S8_S4_PS3_21rocsparse_index_base_b.uses_flat_scratch, 0
	.set _ZN9rocsparseL19gebsrmvn_2xn_kernelILj128ELj4ELj64EfEEvi20rocsparse_direction_NS_24const_host_device_scalarIT2_EEPKiS6_PKS3_S8_S4_PS3_21rocsparse_index_base_b.has_dyn_sized_stack, 0
	.set _ZN9rocsparseL19gebsrmvn_2xn_kernelILj128ELj4ELj64EfEEvi20rocsparse_direction_NS_24const_host_device_scalarIT2_EEPKiS6_PKS3_S8_S4_PS3_21rocsparse_index_base_b.has_recursion, 0
	.set _ZN9rocsparseL19gebsrmvn_2xn_kernelILj128ELj4ELj64EfEEvi20rocsparse_direction_NS_24const_host_device_scalarIT2_EEPKiS6_PKS3_S8_S4_PS3_21rocsparse_index_base_b.has_indirect_call, 0
	.section	.AMDGPU.csdata,"",@progbits
; Kernel info:
; codeLenInByte = 1232
; TotalNumSgprs: 22
; NumVgprs: 22
; ScratchSize: 0
; MemoryBound: 0
; FloatMode: 240
; IeeeMode: 1
; LDSByteSize: 0 bytes/workgroup (compile time only)
; SGPRBlocks: 0
; VGPRBlocks: 2
; NumSGPRsForWavesPerEU: 22
; NumVGPRsForWavesPerEU: 22
; Occupancy: 16
; WaveLimiterHint : 1
; COMPUTE_PGM_RSRC2:SCRATCH_EN: 0
; COMPUTE_PGM_RSRC2:USER_SGPR: 6
; COMPUTE_PGM_RSRC2:TRAP_HANDLER: 0
; COMPUTE_PGM_RSRC2:TGID_X_EN: 1
; COMPUTE_PGM_RSRC2:TGID_Y_EN: 0
; COMPUTE_PGM_RSRC2:TGID_Z_EN: 0
; COMPUTE_PGM_RSRC2:TIDIG_COMP_CNT: 0
	.section	.text._ZN9rocsparseL19gebsrmvn_2xn_kernelILj128ELj5ELj4EfEEvi20rocsparse_direction_NS_24const_host_device_scalarIT2_EEPKiS6_PKS3_S8_S4_PS3_21rocsparse_index_base_b,"axG",@progbits,_ZN9rocsparseL19gebsrmvn_2xn_kernelILj128ELj5ELj4EfEEvi20rocsparse_direction_NS_24const_host_device_scalarIT2_EEPKiS6_PKS3_S8_S4_PS3_21rocsparse_index_base_b,comdat
	.globl	_ZN9rocsparseL19gebsrmvn_2xn_kernelILj128ELj5ELj4EfEEvi20rocsparse_direction_NS_24const_host_device_scalarIT2_EEPKiS6_PKS3_S8_S4_PS3_21rocsparse_index_base_b ; -- Begin function _ZN9rocsparseL19gebsrmvn_2xn_kernelILj128ELj5ELj4EfEEvi20rocsparse_direction_NS_24const_host_device_scalarIT2_EEPKiS6_PKS3_S8_S4_PS3_21rocsparse_index_base_b
	.p2align	8
	.type	_ZN9rocsparseL19gebsrmvn_2xn_kernelILj128ELj5ELj4EfEEvi20rocsparse_direction_NS_24const_host_device_scalarIT2_EEPKiS6_PKS3_S8_S4_PS3_21rocsparse_index_base_b,@function
_ZN9rocsparseL19gebsrmvn_2xn_kernelILj128ELj5ELj4EfEEvi20rocsparse_direction_NS_24const_host_device_scalarIT2_EEPKiS6_PKS3_S8_S4_PS3_21rocsparse_index_base_b: ; @_ZN9rocsparseL19gebsrmvn_2xn_kernelILj128ELj5ELj4EfEEvi20rocsparse_direction_NS_24const_host_device_scalarIT2_EEPKiS6_PKS3_S8_S4_PS3_21rocsparse_index_base_b
; %bb.0:
	s_clause 0x2
	s_load_dwordx2 s[18:19], s[4:5], 0x40
	s_load_dwordx2 s[16:17], s[4:5], 0x8
	;; [unrolled: 1-line block ×3, first 2 shown]
	s_waitcnt lgkmcnt(0)
	s_bitcmp1_b32 s19, 0
	s_cselect_b32 s0, -1, 0
	s_and_b32 vcc_lo, exec_lo, s0
	s_xor_b32 s0, s0, -1
	s_cbranch_vccnz .LBB15_2
; %bb.1:
	s_load_dword s16, s[16:17], 0x0
.LBB15_2:
	s_andn2_b32 vcc_lo, exec_lo, s0
	s_cbranch_vccnz .LBB15_4
; %bb.3:
	s_load_dword s2, s[2:3], 0x0
.LBB15_4:
	s_waitcnt lgkmcnt(0)
	v_cmp_eq_f32_e64 s0, s16, 0
	v_cmp_eq_f32_e64 s1, s2, 1.0
	s_and_b32 s0, s0, s1
	s_and_b32 vcc_lo, exec_lo, s0
	s_cbranch_vccnz .LBB15_23
; %bb.5:
	s_load_dwordx2 s[0:1], s[4:5], 0x0
	v_lshrrev_b32_e32 v1, 2, v0
	v_lshl_or_b32 v1, s6, 5, v1
	s_waitcnt lgkmcnt(0)
	v_cmp_gt_i32_e32 vcc_lo, s0, v1
	s_and_saveexec_b32 s0, vcc_lo
	s_cbranch_execz .LBB15_23
; %bb.6:
	s_load_dwordx8 s[8:15], s[4:5], 0x10
	v_ashrrev_i32_e32 v2, 31, v1
	v_and_b32_e32 v0, 3, v0
	s_cmp_lg_u32 s1, 0
	v_lshlrev_b64 v[2:3], 2, v[1:2]
	s_waitcnt lgkmcnt(0)
	v_add_co_u32 v2, vcc_lo, s8, v2
	v_add_co_ci_u32_e64 v3, null, s9, v3, vcc_lo
	global_load_dwordx2 v[2:3], v[2:3], off
	s_waitcnt vmcnt(0)
	v_subrev_nc_u32_e32 v2, s18, v2
	v_subrev_nc_u32_e32 v11, s18, v3
	v_add_nc_u32_e32 v2, v2, v0
	v_cmp_lt_i32_e64 s0, v2, v11
	s_cbranch_scc0 .LBB15_12
; %bb.7:
	v_mov_b32_e32 v9, 0
	v_mov_b32_e32 v10, 0
	s_and_saveexec_b32 s1, s0
	s_cbranch_execz .LBB15_11
; %bb.8:
	v_mad_u64_u32 v[3:4], null, v2, 10, 8
	v_mov_b32_e32 v6, 0
	v_mov_b32_e32 v7, v2
	;; [unrolled: 1-line block ×4, first 2 shown]
	s_mov_b32 s3, 0
.LBB15_9:                               ; =>This Inner Loop Header: Depth=1
	v_ashrrev_i32_e32 v8, 31, v7
	v_mov_b32_e32 v13, v6
	v_lshlrev_b64 v[4:5], 2, v[7:8]
	v_add_nc_u32_e32 v7, 4, v7
	v_add_co_u32 v4, vcc_lo, s10, v4
	v_add_co_ci_u32_e64 v5, null, s11, v5, vcc_lo
	global_load_dword v8, v[4:5], off
	v_add_nc_u32_e32 v5, -8, v3
	v_mov_b32_e32 v4, v6
	v_lshlrev_b64 v[14:15], 2, v[5:6]
	v_add_nc_u32_e32 v5, -6, v3
	v_lshlrev_b64 v[16:17], 2, v[3:4]
	v_lshlrev_b64 v[4:5], 2, v[5:6]
	v_add_co_u32 v14, vcc_lo, s12, v14
	v_add_co_ci_u32_e64 v15, null, s13, v15, vcc_lo
	v_add_co_u32 v16, vcc_lo, s12, v16
	v_add_co_ci_u32_e64 v17, null, s13, v17, vcc_lo
	;; [unrolled: 2-line block ×3, first 2 shown]
	s_clause 0x1
	global_load_dwordx2 v[14:15], v[14:15], off
	global_load_dwordx2 v[18:19], v[4:5], off
	s_waitcnt vmcnt(2)
	v_subrev_nc_u32_e32 v4, s18, v8
	v_lshl_add_u32 v12, v4, 2, v4
	v_add_nc_u32_e32 v5, 1, v12
	v_lshlrev_b64 v[20:21], 2, v[12:13]
	v_lshlrev_b64 v[22:23], 2, v[5:6]
	v_add_nc_u32_e32 v5, -4, v3
	v_add_co_u32 v20, vcc_lo, s14, v20
	v_add_co_ci_u32_e64 v21, null, s15, v21, vcc_lo
	v_add_co_u32 v22, vcc_lo, s14, v22
	v_lshlrev_b64 v[24:25], 2, v[5:6]
	v_add_nc_u32_e32 v5, 2, v12
	v_add_co_ci_u32_e64 v23, null, s15, v23, vcc_lo
	s_clause 0x1
	global_load_dword v8, v[20:21], off
	global_load_dword v28, v[22:23], off
	v_lshlrev_b64 v[20:21], 2, v[5:6]
	v_add_nc_u32_e32 v5, -2, v3
	v_add_co_u32 v22, vcc_lo, s12, v24
	v_add_co_ci_u32_e64 v23, null, s13, v25, vcc_lo
	v_lshlrev_b64 v[24:25], 2, v[5:6]
	v_add_nc_u32_e32 v5, 3, v12
	v_add_co_u32 v20, vcc_lo, s14, v20
	v_add_co_ci_u32_e64 v21, null, s15, v21, vcc_lo
	v_lshlrev_b64 v[26:27], 2, v[5:6]
	v_add_nc_u32_e32 v5, 4, v12
	v_add_co_u32 v12, vcc_lo, s12, v24
	global_load_dword v29, v[20:21], off
	v_add_co_ci_u32_e64 v13, null, s13, v25, vcc_lo
	v_lshlrev_b64 v[4:5], 2, v[5:6]
	v_add_co_u32 v20, vcc_lo, s14, v26
	global_load_dwordx2 v[22:23], v[22:23], off
	v_add_co_ci_u32_e64 v21, null, s15, v27, vcc_lo
	v_add_co_u32 v4, vcc_lo, s14, v4
	global_load_dwordx2 v[12:13], v[12:13], off
	global_load_dword v20, v[20:21], off
	v_add_co_ci_u32_e64 v5, null, s15, v5, vcc_lo
	global_load_dwordx2 v[16:17], v[16:17], off
	global_load_dword v4, v[4:5], off
	v_cmp_ge_i32_e32 vcc_lo, v7, v11
	v_add_nc_u32_e32 v3, 40, v3
	s_or_b32 s3, vcc_lo, s3
	s_waitcnt vmcnt(7)
	v_fmac_f32_e32 v9, v14, v8
	v_fmac_f32_e32 v10, v15, v8
	s_waitcnt vmcnt(6)
	v_fmac_f32_e32 v9, v18, v28
	v_fmac_f32_e32 v10, v19, v28
	;; [unrolled: 3-line block ×5, first 2 shown]
	s_andn2_b32 exec_lo, exec_lo, s3
	s_cbranch_execnz .LBB15_9
; %bb.10:
	s_or_b32 exec_lo, exec_lo, s3
.LBB15_11:
	s_or_b32 exec_lo, exec_lo, s1
	s_cbranch_execz .LBB15_13
	s_branch .LBB15_18
.LBB15_12:
                                        ; implicit-def: $vgpr9
                                        ; implicit-def: $vgpr10
.LBB15_13:
	v_mov_b32_e32 v9, 0
	v_mov_b32_e32 v10, 0
	s_and_saveexec_b32 s1, s0
	s_cbranch_execz .LBB15_17
; %bb.14:
	v_mad_u64_u32 v[4:5], null, v2, 10, 9
	v_mov_b32_e32 v7, 0
	v_mov_b32_e32 v9, 0
	;; [unrolled: 1-line block ×3, first 2 shown]
	s_mov_b32 s0, 0
.LBB15_15:                              ; =>This Inner Loop Header: Depth=1
	v_ashrrev_i32_e32 v3, 31, v2
	v_add_nc_u32_e32 v12, -4, v4
	v_mov_b32_e32 v13, v7
	v_mov_b32_e32 v14, v7
	v_lshlrev_b64 v[5:6], 2, v[2:3]
	v_add_nc_u32_e32 v2, 4, v2
	v_lshlrev_b64 v[12:13], 2, v[12:13]
	v_add_co_u32 v5, vcc_lo, s10, v5
	v_add_co_ci_u32_e64 v6, null, s11, v6, vcc_lo
	global_load_dword v3, v[5:6], off
	v_add_nc_u32_e32 v6, -9, v4
	v_mov_b32_e32 v5, v7
	v_lshlrev_b64 v[15:16], 2, v[6:7]
	v_lshlrev_b64 v[5:6], 2, v[4:5]
	v_add_co_u32 v15, vcc_lo, s12, v15
	v_add_co_ci_u32_e64 v16, null, s13, v16, vcc_lo
	v_add_co_u32 v12, vcc_lo, s12, v12
	v_add_co_ci_u32_e64 v13, null, s13, v13, vcc_lo
	s_clause 0x1
	global_load_dwordx2 v[15:16], v[15:16], off
	global_load_dword v8, v[12:13], off
	v_add_co_u32 v17, vcc_lo, s12, v5
	v_add_co_ci_u32_e64 v18, null, s13, v6, vcc_lo
	s_waitcnt vmcnt(2)
	v_subrev_nc_u32_e32 v3, s18, v3
	v_lshl_add_u32 v13, v3, 2, v3
	v_add_nc_u32_e32 v6, 1, v13
	v_lshlrev_b64 v[19:20], 2, v[13:14]
	v_lshlrev_b64 v[21:22], 2, v[6:7]
	v_add_nc_u32_e32 v6, -3, v4
	v_add_co_u32 v19, vcc_lo, s14, v19
	v_add_co_ci_u32_e64 v20, null, s15, v20, vcc_lo
	v_lshlrev_b64 v[23:24], 2, v[6:7]
	v_add_nc_u32_e32 v6, -7, v4
	global_load_dword v3, v[19:20], off
	v_add_co_u32 v19, vcc_lo, s14, v21
	v_add_co_ci_u32_e64 v20, null, s15, v22, vcc_lo
	v_lshlrev_b64 v[21:22], 2, v[6:7]
	v_add_nc_u32_e32 v6, 2, v13
	v_add_co_u32 v23, vcc_lo, s12, v23
	v_add_co_ci_u32_e64 v24, null, s13, v24, vcc_lo
	global_load_dword v14, v[19:20], off
	v_lshlrev_b64 v[19:20], 2, v[6:7]
	v_add_co_u32 v21, vcc_lo, s12, v21
	v_add_nc_u32_e32 v6, -2, v4
	v_add_co_ci_u32_e64 v22, null, s13, v22, vcc_lo
	v_add_co_u32 v19, vcc_lo, s14, v19
	s_clause 0x1
	global_load_dword v25, v[23:24], off
	global_load_dword v26, v[21:22], off
	v_lshlrev_b64 v[23:24], 2, v[6:7]
	v_add_co_ci_u32_e64 v20, null, s15, v20, vcc_lo
	v_add_nc_u32_e32 v6, -6, v4
	global_load_dword v27, v[19:20], off
	v_add_co_u32 v19, vcc_lo, s12, v23
	v_add_co_ci_u32_e64 v20, null, s13, v24, vcc_lo
	global_load_dword v28, v[19:20], off
	v_lshlrev_b64 v[21:22], 2, v[6:7]
	v_add_nc_u32_e32 v6, 3, v13
	v_lshlrev_b64 v[23:24], 2, v[6:7]
	v_add_nc_u32_e32 v6, -1, v4
	v_add_co_u32 v21, vcc_lo, s12, v21
	v_add_co_ci_u32_e64 v22, null, s13, v22, vcc_lo
	v_lshlrev_b64 v[19:20], 2, v[6:7]
	v_add_nc_u32_e32 v6, -5, v4
	v_add_nc_u32_e32 v4, 40, v4
	global_load_dword v29, v[21:22], off
	v_add_co_u32 v21, vcc_lo, s14, v23
	v_add_co_ci_u32_e64 v22, null, s15, v24, vcc_lo
	v_lshlrev_b64 v[23:24], 2, v[6:7]
	v_add_nc_u32_e32 v6, 4, v13
	v_add_co_u32 v12, vcc_lo, s12, v19
	v_add_co_ci_u32_e64 v13, null, s13, v20, vcc_lo
	v_lshlrev_b64 v[5:6], 2, v[6:7]
	global_load_dword v19, v[21:22], off
	global_load_dword v20, v[12:13], off
	v_add_co_u32 v12, vcc_lo, s12, v23
	v_add_co_ci_u32_e64 v13, null, s13, v24, vcc_lo
	v_add_co_u32 v5, vcc_lo, s14, v5
	v_add_co_ci_u32_e64 v6, null, s15, v6, vcc_lo
	s_clause 0x1
	global_load_dword v17, v[17:18], off
	global_load_dword v12, v[12:13], off
	;; [unrolled: 1-line block ×3, first 2 shown]
	v_cmp_ge_i32_e32 vcc_lo, v2, v11
	s_or_b32 s0, vcc_lo, s0
	s_waitcnt vmcnt(11)
	v_fmac_f32_e32 v9, v15, v3
	v_fmac_f32_e32 v10, v8, v3
	s_waitcnt vmcnt(10)
	v_fmac_f32_e32 v9, v16, v14
	s_waitcnt vmcnt(9)
	v_fmac_f32_e32 v10, v25, v14
	s_waitcnt vmcnt(7)
	v_fmac_f32_e32 v9, v26, v27
	s_waitcnt vmcnt(6)
	v_fmac_f32_e32 v10, v28, v27
	s_waitcnt vmcnt(4)
	v_fmac_f32_e32 v9, v29, v19
	s_waitcnt vmcnt(3)
	v_fmac_f32_e32 v10, v20, v19
	s_waitcnt vmcnt(0)
	v_fmac_f32_e32 v9, v12, v5
	v_fmac_f32_e32 v10, v17, v5
	s_andn2_b32 exec_lo, exec_lo, s0
	s_cbranch_execnz .LBB15_15
; %bb.16:
	s_or_b32 exec_lo, exec_lo, s0
.LBB15_17:
	s_or_b32 exec_lo, exec_lo, s1
.LBB15_18:
	v_mbcnt_lo_u32_b32 v2, -1, 0
	s_mov_b32 s3, -1
	v_xor_b32_e32 v3, 2, v2
	v_xor_b32_e32 v5, 1, v2
	v_cmp_gt_i32_e32 vcc_lo, 32, v3
	v_cndmask_b32_e32 v3, v2, v3, vcc_lo
	v_cmp_gt_i32_e32 vcc_lo, 32, v5
	v_lshlrev_b32_e32 v3, 2, v3
	v_cndmask_b32_e32 v2, v2, v5, vcc_lo
	v_cmp_eq_u32_e32 vcc_lo, 3, v0
	ds_bpermute_b32 v4, v3, v9
	ds_bpermute_b32 v3, v3, v10
	v_lshlrev_b32_e32 v5, 2, v2
	s_waitcnt lgkmcnt(1)
	v_add_f32_e32 v2, v9, v4
	s_waitcnt lgkmcnt(0)
	v_add_f32_e32 v3, v10, v3
	ds_bpermute_b32 v4, v5, v2
	ds_bpermute_b32 v5, v5, v3
	s_and_b32 exec_lo, exec_lo, vcc_lo
	s_cbranch_execz .LBB15_23
; %bb.19:
	s_load_dwordx2 s[0:1], s[4:5], 0x38
	s_waitcnt lgkmcnt(0)
	v_add_f32_e32 v0, v2, v4
	v_add_f32_e32 v3, v3, v5
	v_cmp_eq_f32_e64 s4, s2, 0
	v_mul_f32_e32 v2, s16, v0
	v_mul_f32_e32 v3, s16, v3
	v_lshlrev_b32_e32 v0, 1, v1
	s_and_b32 vcc_lo, exec_lo, s4
	s_cbranch_vccz .LBB15_21
; %bb.20:
	v_ashrrev_i32_e32 v1, 31, v0
	s_mov_b32 s3, 0
	v_lshlrev_b64 v[4:5], 2, v[0:1]
	v_add_co_u32 v4, vcc_lo, s0, v4
	v_add_co_ci_u32_e64 v5, null, s1, v5, vcc_lo
	global_store_dwordx2 v[4:5], v[2:3], off
.LBB15_21:
	s_andn2_b32 vcc_lo, exec_lo, s3
	s_cbranch_vccnz .LBB15_23
; %bb.22:
	v_ashrrev_i32_e32 v1, 31, v0
	v_lshlrev_b64 v[0:1], 2, v[0:1]
	v_add_co_u32 v0, vcc_lo, s0, v0
	v_add_co_ci_u32_e64 v1, null, s1, v1, vcc_lo
	global_load_dwordx2 v[4:5], v[0:1], off
	s_waitcnt vmcnt(0)
	v_fmac_f32_e32 v2, s2, v4
	v_fmac_f32_e32 v3, s2, v5
	global_store_dwordx2 v[0:1], v[2:3], off
.LBB15_23:
	s_endpgm
	.section	.rodata,"a",@progbits
	.p2align	6, 0x0
	.amdhsa_kernel _ZN9rocsparseL19gebsrmvn_2xn_kernelILj128ELj5ELj4EfEEvi20rocsparse_direction_NS_24const_host_device_scalarIT2_EEPKiS6_PKS3_S8_S4_PS3_21rocsparse_index_base_b
		.amdhsa_group_segment_fixed_size 0
		.amdhsa_private_segment_fixed_size 0
		.amdhsa_kernarg_size 72
		.amdhsa_user_sgpr_count 6
		.amdhsa_user_sgpr_private_segment_buffer 1
		.amdhsa_user_sgpr_dispatch_ptr 0
		.amdhsa_user_sgpr_queue_ptr 0
		.amdhsa_user_sgpr_kernarg_segment_ptr 1
		.amdhsa_user_sgpr_dispatch_id 0
		.amdhsa_user_sgpr_flat_scratch_init 0
		.amdhsa_user_sgpr_private_segment_size 0
		.amdhsa_wavefront_size32 1
		.amdhsa_uses_dynamic_stack 0
		.amdhsa_system_sgpr_private_segment_wavefront_offset 0
		.amdhsa_system_sgpr_workgroup_id_x 1
		.amdhsa_system_sgpr_workgroup_id_y 0
		.amdhsa_system_sgpr_workgroup_id_z 0
		.amdhsa_system_sgpr_workgroup_info 0
		.amdhsa_system_vgpr_workitem_id 0
		.amdhsa_next_free_vgpr 30
		.amdhsa_next_free_sgpr 20
		.amdhsa_reserve_vcc 1
		.amdhsa_reserve_flat_scratch 0
		.amdhsa_float_round_mode_32 0
		.amdhsa_float_round_mode_16_64 0
		.amdhsa_float_denorm_mode_32 3
		.amdhsa_float_denorm_mode_16_64 3
		.amdhsa_dx10_clamp 1
		.amdhsa_ieee_mode 1
		.amdhsa_fp16_overflow 0
		.amdhsa_workgroup_processor_mode 1
		.amdhsa_memory_ordered 1
		.amdhsa_forward_progress 1
		.amdhsa_shared_vgpr_count 0
		.amdhsa_exception_fp_ieee_invalid_op 0
		.amdhsa_exception_fp_denorm_src 0
		.amdhsa_exception_fp_ieee_div_zero 0
		.amdhsa_exception_fp_ieee_overflow 0
		.amdhsa_exception_fp_ieee_underflow 0
		.amdhsa_exception_fp_ieee_inexact 0
		.amdhsa_exception_int_div_zero 0
	.end_amdhsa_kernel
	.section	.text._ZN9rocsparseL19gebsrmvn_2xn_kernelILj128ELj5ELj4EfEEvi20rocsparse_direction_NS_24const_host_device_scalarIT2_EEPKiS6_PKS3_S8_S4_PS3_21rocsparse_index_base_b,"axG",@progbits,_ZN9rocsparseL19gebsrmvn_2xn_kernelILj128ELj5ELj4EfEEvi20rocsparse_direction_NS_24const_host_device_scalarIT2_EEPKiS6_PKS3_S8_S4_PS3_21rocsparse_index_base_b,comdat
.Lfunc_end15:
	.size	_ZN9rocsparseL19gebsrmvn_2xn_kernelILj128ELj5ELj4EfEEvi20rocsparse_direction_NS_24const_host_device_scalarIT2_EEPKiS6_PKS3_S8_S4_PS3_21rocsparse_index_base_b, .Lfunc_end15-_ZN9rocsparseL19gebsrmvn_2xn_kernelILj128ELj5ELj4EfEEvi20rocsparse_direction_NS_24const_host_device_scalarIT2_EEPKiS6_PKS3_S8_S4_PS3_21rocsparse_index_base_b
                                        ; -- End function
	.set _ZN9rocsparseL19gebsrmvn_2xn_kernelILj128ELj5ELj4EfEEvi20rocsparse_direction_NS_24const_host_device_scalarIT2_EEPKiS6_PKS3_S8_S4_PS3_21rocsparse_index_base_b.num_vgpr, 30
	.set _ZN9rocsparseL19gebsrmvn_2xn_kernelILj128ELj5ELj4EfEEvi20rocsparse_direction_NS_24const_host_device_scalarIT2_EEPKiS6_PKS3_S8_S4_PS3_21rocsparse_index_base_b.num_agpr, 0
	.set _ZN9rocsparseL19gebsrmvn_2xn_kernelILj128ELj5ELj4EfEEvi20rocsparse_direction_NS_24const_host_device_scalarIT2_EEPKiS6_PKS3_S8_S4_PS3_21rocsparse_index_base_b.numbered_sgpr, 20
	.set _ZN9rocsparseL19gebsrmvn_2xn_kernelILj128ELj5ELj4EfEEvi20rocsparse_direction_NS_24const_host_device_scalarIT2_EEPKiS6_PKS3_S8_S4_PS3_21rocsparse_index_base_b.num_named_barrier, 0
	.set _ZN9rocsparseL19gebsrmvn_2xn_kernelILj128ELj5ELj4EfEEvi20rocsparse_direction_NS_24const_host_device_scalarIT2_EEPKiS6_PKS3_S8_S4_PS3_21rocsparse_index_base_b.private_seg_size, 0
	.set _ZN9rocsparseL19gebsrmvn_2xn_kernelILj128ELj5ELj4EfEEvi20rocsparse_direction_NS_24const_host_device_scalarIT2_EEPKiS6_PKS3_S8_S4_PS3_21rocsparse_index_base_b.uses_vcc, 1
	.set _ZN9rocsparseL19gebsrmvn_2xn_kernelILj128ELj5ELj4EfEEvi20rocsparse_direction_NS_24const_host_device_scalarIT2_EEPKiS6_PKS3_S8_S4_PS3_21rocsparse_index_base_b.uses_flat_scratch, 0
	.set _ZN9rocsparseL19gebsrmvn_2xn_kernelILj128ELj5ELj4EfEEvi20rocsparse_direction_NS_24const_host_device_scalarIT2_EEPKiS6_PKS3_S8_S4_PS3_21rocsparse_index_base_b.has_dyn_sized_stack, 0
	.set _ZN9rocsparseL19gebsrmvn_2xn_kernelILj128ELj5ELj4EfEEvi20rocsparse_direction_NS_24const_host_device_scalarIT2_EEPKiS6_PKS3_S8_S4_PS3_21rocsparse_index_base_b.has_recursion, 0
	.set _ZN9rocsparseL19gebsrmvn_2xn_kernelILj128ELj5ELj4EfEEvi20rocsparse_direction_NS_24const_host_device_scalarIT2_EEPKiS6_PKS3_S8_S4_PS3_21rocsparse_index_base_b.has_indirect_call, 0
	.section	.AMDGPU.csdata,"",@progbits
; Kernel info:
; codeLenInByte = 1768
; TotalNumSgprs: 22
; NumVgprs: 30
; ScratchSize: 0
; MemoryBound: 0
; FloatMode: 240
; IeeeMode: 1
; LDSByteSize: 0 bytes/workgroup (compile time only)
; SGPRBlocks: 0
; VGPRBlocks: 3
; NumSGPRsForWavesPerEU: 22
; NumVGPRsForWavesPerEU: 30
; Occupancy: 16
; WaveLimiterHint : 1
; COMPUTE_PGM_RSRC2:SCRATCH_EN: 0
; COMPUTE_PGM_RSRC2:USER_SGPR: 6
; COMPUTE_PGM_RSRC2:TRAP_HANDLER: 0
; COMPUTE_PGM_RSRC2:TGID_X_EN: 1
; COMPUTE_PGM_RSRC2:TGID_Y_EN: 0
; COMPUTE_PGM_RSRC2:TGID_Z_EN: 0
; COMPUTE_PGM_RSRC2:TIDIG_COMP_CNT: 0
	.section	.text._ZN9rocsparseL19gebsrmvn_2xn_kernelILj128ELj5ELj8EfEEvi20rocsparse_direction_NS_24const_host_device_scalarIT2_EEPKiS6_PKS3_S8_S4_PS3_21rocsparse_index_base_b,"axG",@progbits,_ZN9rocsparseL19gebsrmvn_2xn_kernelILj128ELj5ELj8EfEEvi20rocsparse_direction_NS_24const_host_device_scalarIT2_EEPKiS6_PKS3_S8_S4_PS3_21rocsparse_index_base_b,comdat
	.globl	_ZN9rocsparseL19gebsrmvn_2xn_kernelILj128ELj5ELj8EfEEvi20rocsparse_direction_NS_24const_host_device_scalarIT2_EEPKiS6_PKS3_S8_S4_PS3_21rocsparse_index_base_b ; -- Begin function _ZN9rocsparseL19gebsrmvn_2xn_kernelILj128ELj5ELj8EfEEvi20rocsparse_direction_NS_24const_host_device_scalarIT2_EEPKiS6_PKS3_S8_S4_PS3_21rocsparse_index_base_b
	.p2align	8
	.type	_ZN9rocsparseL19gebsrmvn_2xn_kernelILj128ELj5ELj8EfEEvi20rocsparse_direction_NS_24const_host_device_scalarIT2_EEPKiS6_PKS3_S8_S4_PS3_21rocsparse_index_base_b,@function
_ZN9rocsparseL19gebsrmvn_2xn_kernelILj128ELj5ELj8EfEEvi20rocsparse_direction_NS_24const_host_device_scalarIT2_EEPKiS6_PKS3_S8_S4_PS3_21rocsparse_index_base_b: ; @_ZN9rocsparseL19gebsrmvn_2xn_kernelILj128ELj5ELj8EfEEvi20rocsparse_direction_NS_24const_host_device_scalarIT2_EEPKiS6_PKS3_S8_S4_PS3_21rocsparse_index_base_b
; %bb.0:
	s_clause 0x2
	s_load_dwordx2 s[18:19], s[4:5], 0x40
	s_load_dwordx2 s[16:17], s[4:5], 0x8
	;; [unrolled: 1-line block ×3, first 2 shown]
	s_waitcnt lgkmcnt(0)
	s_bitcmp1_b32 s19, 0
	s_cselect_b32 s0, -1, 0
	s_and_b32 vcc_lo, exec_lo, s0
	s_xor_b32 s0, s0, -1
	s_cbranch_vccnz .LBB16_2
; %bb.1:
	s_load_dword s16, s[16:17], 0x0
.LBB16_2:
	s_andn2_b32 vcc_lo, exec_lo, s0
	s_cbranch_vccnz .LBB16_4
; %bb.3:
	s_load_dword s2, s[2:3], 0x0
.LBB16_4:
	s_waitcnt lgkmcnt(0)
	v_cmp_eq_f32_e64 s0, s16, 0
	v_cmp_eq_f32_e64 s1, s2, 1.0
	s_and_b32 s0, s0, s1
	s_and_b32 vcc_lo, exec_lo, s0
	s_cbranch_vccnz .LBB16_23
; %bb.5:
	s_load_dwordx2 s[0:1], s[4:5], 0x0
	v_lshrrev_b32_e32 v1, 3, v0
	v_lshl_or_b32 v1, s6, 4, v1
	s_waitcnt lgkmcnt(0)
	v_cmp_gt_i32_e32 vcc_lo, s0, v1
	s_and_saveexec_b32 s0, vcc_lo
	s_cbranch_execz .LBB16_23
; %bb.6:
	s_load_dwordx8 s[8:15], s[4:5], 0x10
	v_ashrrev_i32_e32 v2, 31, v1
	v_and_b32_e32 v0, 7, v0
	s_cmp_lg_u32 s1, 0
	v_lshlrev_b64 v[2:3], 2, v[1:2]
	s_waitcnt lgkmcnt(0)
	v_add_co_u32 v2, vcc_lo, s8, v2
	v_add_co_ci_u32_e64 v3, null, s9, v3, vcc_lo
	global_load_dwordx2 v[2:3], v[2:3], off
	s_waitcnt vmcnt(0)
	v_subrev_nc_u32_e32 v2, s18, v2
	v_subrev_nc_u32_e32 v11, s18, v3
	v_add_nc_u32_e32 v2, v2, v0
	v_cmp_lt_i32_e64 s0, v2, v11
	s_cbranch_scc0 .LBB16_12
; %bb.7:
	v_mov_b32_e32 v9, 0
	v_mov_b32_e32 v10, 0
	s_and_saveexec_b32 s1, s0
	s_cbranch_execz .LBB16_11
; %bb.8:
	v_mad_u64_u32 v[3:4], null, v2, 10, 8
	v_mov_b32_e32 v6, 0
	v_mov_b32_e32 v7, v2
	;; [unrolled: 1-line block ×4, first 2 shown]
	s_mov_b32 s3, 0
.LBB16_9:                               ; =>This Inner Loop Header: Depth=1
	v_ashrrev_i32_e32 v8, 31, v7
	v_mov_b32_e32 v13, v6
	v_lshlrev_b64 v[4:5], 2, v[7:8]
	v_add_nc_u32_e32 v7, 8, v7
	v_add_co_u32 v4, vcc_lo, s10, v4
	v_add_co_ci_u32_e64 v5, null, s11, v5, vcc_lo
	global_load_dword v8, v[4:5], off
	v_add_nc_u32_e32 v5, -8, v3
	v_mov_b32_e32 v4, v6
	v_lshlrev_b64 v[14:15], 2, v[5:6]
	v_add_nc_u32_e32 v5, -6, v3
	v_lshlrev_b64 v[16:17], 2, v[3:4]
	v_lshlrev_b64 v[4:5], 2, v[5:6]
	v_add_co_u32 v14, vcc_lo, s12, v14
	v_add_co_ci_u32_e64 v15, null, s13, v15, vcc_lo
	v_add_co_u32 v16, vcc_lo, s12, v16
	v_add_co_ci_u32_e64 v17, null, s13, v17, vcc_lo
	v_add_co_u32 v4, vcc_lo, s12, v4
	v_add_co_ci_u32_e64 v5, null, s13, v5, vcc_lo
	s_clause 0x1
	global_load_dwordx2 v[14:15], v[14:15], off
	global_load_dwordx2 v[18:19], v[4:5], off
	s_waitcnt vmcnt(2)
	v_subrev_nc_u32_e32 v4, s18, v8
	v_lshl_add_u32 v12, v4, 2, v4
	v_add_nc_u32_e32 v5, 1, v12
	v_lshlrev_b64 v[20:21], 2, v[12:13]
	v_lshlrev_b64 v[22:23], 2, v[5:6]
	v_add_nc_u32_e32 v5, -4, v3
	v_add_co_u32 v20, vcc_lo, s14, v20
	v_add_co_ci_u32_e64 v21, null, s15, v21, vcc_lo
	v_add_co_u32 v22, vcc_lo, s14, v22
	v_lshlrev_b64 v[24:25], 2, v[5:6]
	v_add_nc_u32_e32 v5, 2, v12
	v_add_co_ci_u32_e64 v23, null, s15, v23, vcc_lo
	s_clause 0x1
	global_load_dword v8, v[20:21], off
	global_load_dword v28, v[22:23], off
	v_lshlrev_b64 v[20:21], 2, v[5:6]
	v_add_nc_u32_e32 v5, -2, v3
	v_add_co_u32 v22, vcc_lo, s12, v24
	v_add_co_ci_u32_e64 v23, null, s13, v25, vcc_lo
	v_lshlrev_b64 v[24:25], 2, v[5:6]
	v_add_nc_u32_e32 v5, 3, v12
	v_add_co_u32 v20, vcc_lo, s14, v20
	v_add_co_ci_u32_e64 v21, null, s15, v21, vcc_lo
	v_lshlrev_b64 v[26:27], 2, v[5:6]
	v_add_nc_u32_e32 v5, 4, v12
	v_add_co_u32 v12, vcc_lo, s12, v24
	global_load_dword v29, v[20:21], off
	v_add_co_ci_u32_e64 v13, null, s13, v25, vcc_lo
	v_lshlrev_b64 v[4:5], 2, v[5:6]
	v_add_co_u32 v20, vcc_lo, s14, v26
	global_load_dwordx2 v[22:23], v[22:23], off
	v_add_co_ci_u32_e64 v21, null, s15, v27, vcc_lo
	v_add_co_u32 v4, vcc_lo, s14, v4
	global_load_dwordx2 v[12:13], v[12:13], off
	global_load_dword v20, v[20:21], off
	v_add_co_ci_u32_e64 v5, null, s15, v5, vcc_lo
	global_load_dwordx2 v[16:17], v[16:17], off
	global_load_dword v4, v[4:5], off
	v_cmp_ge_i32_e32 vcc_lo, v7, v11
	v_add_nc_u32_e32 v3, 0x50, v3
	s_or_b32 s3, vcc_lo, s3
	s_waitcnt vmcnt(7)
	v_fmac_f32_e32 v9, v14, v8
	v_fmac_f32_e32 v10, v15, v8
	s_waitcnt vmcnt(6)
	v_fmac_f32_e32 v9, v18, v28
	v_fmac_f32_e32 v10, v19, v28
	;; [unrolled: 3-line block ×5, first 2 shown]
	s_andn2_b32 exec_lo, exec_lo, s3
	s_cbranch_execnz .LBB16_9
; %bb.10:
	s_or_b32 exec_lo, exec_lo, s3
.LBB16_11:
	s_or_b32 exec_lo, exec_lo, s1
	s_cbranch_execz .LBB16_13
	s_branch .LBB16_18
.LBB16_12:
                                        ; implicit-def: $vgpr9
                                        ; implicit-def: $vgpr10
.LBB16_13:
	v_mov_b32_e32 v9, 0
	v_mov_b32_e32 v10, 0
	s_and_saveexec_b32 s1, s0
	s_cbranch_execz .LBB16_17
; %bb.14:
	v_mad_u64_u32 v[4:5], null, v2, 10, 9
	v_mov_b32_e32 v7, 0
	v_mov_b32_e32 v9, 0
	;; [unrolled: 1-line block ×3, first 2 shown]
	s_mov_b32 s0, 0
.LBB16_15:                              ; =>This Inner Loop Header: Depth=1
	v_ashrrev_i32_e32 v3, 31, v2
	v_add_nc_u32_e32 v12, -4, v4
	v_mov_b32_e32 v13, v7
	v_mov_b32_e32 v14, v7
	v_lshlrev_b64 v[5:6], 2, v[2:3]
	v_add_nc_u32_e32 v2, 8, v2
	v_lshlrev_b64 v[12:13], 2, v[12:13]
	v_add_co_u32 v5, vcc_lo, s10, v5
	v_add_co_ci_u32_e64 v6, null, s11, v6, vcc_lo
	global_load_dword v3, v[5:6], off
	v_add_nc_u32_e32 v6, -9, v4
	v_mov_b32_e32 v5, v7
	v_lshlrev_b64 v[15:16], 2, v[6:7]
	v_lshlrev_b64 v[5:6], 2, v[4:5]
	v_add_co_u32 v15, vcc_lo, s12, v15
	v_add_co_ci_u32_e64 v16, null, s13, v16, vcc_lo
	v_add_co_u32 v12, vcc_lo, s12, v12
	v_add_co_ci_u32_e64 v13, null, s13, v13, vcc_lo
	s_clause 0x1
	global_load_dwordx2 v[15:16], v[15:16], off
	global_load_dword v8, v[12:13], off
	v_add_co_u32 v17, vcc_lo, s12, v5
	v_add_co_ci_u32_e64 v18, null, s13, v6, vcc_lo
	s_waitcnt vmcnt(2)
	v_subrev_nc_u32_e32 v3, s18, v3
	v_lshl_add_u32 v13, v3, 2, v3
	v_add_nc_u32_e32 v6, 1, v13
	v_lshlrev_b64 v[19:20], 2, v[13:14]
	v_lshlrev_b64 v[21:22], 2, v[6:7]
	v_add_nc_u32_e32 v6, -3, v4
	v_add_co_u32 v19, vcc_lo, s14, v19
	v_add_co_ci_u32_e64 v20, null, s15, v20, vcc_lo
	v_lshlrev_b64 v[23:24], 2, v[6:7]
	v_add_nc_u32_e32 v6, -7, v4
	global_load_dword v3, v[19:20], off
	v_add_co_u32 v19, vcc_lo, s14, v21
	v_add_co_ci_u32_e64 v20, null, s15, v22, vcc_lo
	v_lshlrev_b64 v[21:22], 2, v[6:7]
	v_add_nc_u32_e32 v6, 2, v13
	v_add_co_u32 v23, vcc_lo, s12, v23
	v_add_co_ci_u32_e64 v24, null, s13, v24, vcc_lo
	global_load_dword v14, v[19:20], off
	v_lshlrev_b64 v[19:20], 2, v[6:7]
	v_add_co_u32 v21, vcc_lo, s12, v21
	v_add_nc_u32_e32 v6, -2, v4
	v_add_co_ci_u32_e64 v22, null, s13, v22, vcc_lo
	v_add_co_u32 v19, vcc_lo, s14, v19
	s_clause 0x1
	global_load_dword v25, v[23:24], off
	global_load_dword v26, v[21:22], off
	v_lshlrev_b64 v[23:24], 2, v[6:7]
	v_add_co_ci_u32_e64 v20, null, s15, v20, vcc_lo
	v_add_nc_u32_e32 v6, -6, v4
	global_load_dword v27, v[19:20], off
	v_add_co_u32 v19, vcc_lo, s12, v23
	v_add_co_ci_u32_e64 v20, null, s13, v24, vcc_lo
	global_load_dword v28, v[19:20], off
	v_lshlrev_b64 v[21:22], 2, v[6:7]
	v_add_nc_u32_e32 v6, 3, v13
	v_lshlrev_b64 v[23:24], 2, v[6:7]
	v_add_nc_u32_e32 v6, -1, v4
	v_add_co_u32 v21, vcc_lo, s12, v21
	v_add_co_ci_u32_e64 v22, null, s13, v22, vcc_lo
	v_lshlrev_b64 v[19:20], 2, v[6:7]
	v_add_nc_u32_e32 v6, -5, v4
	v_add_nc_u32_e32 v4, 0x50, v4
	global_load_dword v29, v[21:22], off
	v_add_co_u32 v21, vcc_lo, s14, v23
	v_add_co_ci_u32_e64 v22, null, s15, v24, vcc_lo
	v_lshlrev_b64 v[23:24], 2, v[6:7]
	v_add_nc_u32_e32 v6, 4, v13
	v_add_co_u32 v12, vcc_lo, s12, v19
	v_add_co_ci_u32_e64 v13, null, s13, v20, vcc_lo
	v_lshlrev_b64 v[5:6], 2, v[6:7]
	global_load_dword v19, v[21:22], off
	global_load_dword v20, v[12:13], off
	v_add_co_u32 v12, vcc_lo, s12, v23
	v_add_co_ci_u32_e64 v13, null, s13, v24, vcc_lo
	v_add_co_u32 v5, vcc_lo, s14, v5
	v_add_co_ci_u32_e64 v6, null, s15, v6, vcc_lo
	s_clause 0x1
	global_load_dword v17, v[17:18], off
	global_load_dword v12, v[12:13], off
	;; [unrolled: 1-line block ×3, first 2 shown]
	v_cmp_ge_i32_e32 vcc_lo, v2, v11
	s_or_b32 s0, vcc_lo, s0
	s_waitcnt vmcnt(11)
	v_fmac_f32_e32 v9, v15, v3
	v_fmac_f32_e32 v10, v8, v3
	s_waitcnt vmcnt(10)
	v_fmac_f32_e32 v9, v16, v14
	s_waitcnt vmcnt(9)
	v_fmac_f32_e32 v10, v25, v14
	s_waitcnt vmcnt(7)
	v_fmac_f32_e32 v9, v26, v27
	s_waitcnt vmcnt(6)
	v_fmac_f32_e32 v10, v28, v27
	s_waitcnt vmcnt(4)
	v_fmac_f32_e32 v9, v29, v19
	s_waitcnt vmcnt(3)
	v_fmac_f32_e32 v10, v20, v19
	s_waitcnt vmcnt(0)
	v_fmac_f32_e32 v9, v12, v5
	v_fmac_f32_e32 v10, v17, v5
	s_andn2_b32 exec_lo, exec_lo, s0
	s_cbranch_execnz .LBB16_15
; %bb.16:
	s_or_b32 exec_lo, exec_lo, s0
.LBB16_17:
	s_or_b32 exec_lo, exec_lo, s1
.LBB16_18:
	v_mbcnt_lo_u32_b32 v2, -1, 0
	s_mov_b32 s3, -1
	v_xor_b32_e32 v3, 4, v2
	v_xor_b32_e32 v5, 2, v2
	;; [unrolled: 1-line block ×3, first 2 shown]
	v_cmp_gt_i32_e32 vcc_lo, 32, v3
	v_cndmask_b32_e32 v3, v2, v3, vcc_lo
	v_cmp_gt_i32_e32 vcc_lo, 32, v5
	v_lshlrev_b32_e32 v3, 2, v3
	v_cndmask_b32_e32 v5, v2, v5, vcc_lo
	v_cmp_gt_i32_e32 vcc_lo, 32, v7
	ds_bpermute_b32 v4, v3, v9
	ds_bpermute_b32 v3, v3, v10
	v_lshlrev_b32_e32 v5, 2, v5
	v_cndmask_b32_e32 v2, v2, v7, vcc_lo
	v_cmp_eq_u32_e32 vcc_lo, 7, v0
	v_lshlrev_b32_e32 v7, 2, v2
	s_waitcnt lgkmcnt(1)
	v_add_f32_e32 v4, v9, v4
	s_waitcnt lgkmcnt(0)
	v_add_f32_e32 v3, v10, v3
	ds_bpermute_b32 v6, v5, v4
	ds_bpermute_b32 v5, v5, v3
	s_waitcnt lgkmcnt(1)
	v_add_f32_e32 v2, v4, v6
	s_waitcnt lgkmcnt(0)
	v_add_f32_e32 v3, v3, v5
	ds_bpermute_b32 v4, v7, v2
	ds_bpermute_b32 v5, v7, v3
	s_and_b32 exec_lo, exec_lo, vcc_lo
	s_cbranch_execz .LBB16_23
; %bb.19:
	s_load_dwordx2 s[0:1], s[4:5], 0x38
	s_waitcnt lgkmcnt(0)
	v_add_f32_e32 v0, v2, v4
	v_add_f32_e32 v3, v3, v5
	v_cmp_eq_f32_e64 s4, s2, 0
	v_mul_f32_e32 v2, s16, v0
	v_mul_f32_e32 v3, s16, v3
	v_lshlrev_b32_e32 v0, 1, v1
	s_and_b32 vcc_lo, exec_lo, s4
	s_cbranch_vccz .LBB16_21
; %bb.20:
	v_ashrrev_i32_e32 v1, 31, v0
	s_mov_b32 s3, 0
	v_lshlrev_b64 v[4:5], 2, v[0:1]
	v_add_co_u32 v4, vcc_lo, s0, v4
	v_add_co_ci_u32_e64 v5, null, s1, v5, vcc_lo
	global_store_dwordx2 v[4:5], v[2:3], off
.LBB16_21:
	s_andn2_b32 vcc_lo, exec_lo, s3
	s_cbranch_vccnz .LBB16_23
; %bb.22:
	v_ashrrev_i32_e32 v1, 31, v0
	v_lshlrev_b64 v[0:1], 2, v[0:1]
	v_add_co_u32 v0, vcc_lo, s0, v0
	v_add_co_ci_u32_e64 v1, null, s1, v1, vcc_lo
	global_load_dwordx2 v[4:5], v[0:1], off
	s_waitcnt vmcnt(0)
	v_fmac_f32_e32 v2, s2, v4
	v_fmac_f32_e32 v3, s2, v5
	global_store_dwordx2 v[0:1], v[2:3], off
.LBB16_23:
	s_endpgm
	.section	.rodata,"a",@progbits
	.p2align	6, 0x0
	.amdhsa_kernel _ZN9rocsparseL19gebsrmvn_2xn_kernelILj128ELj5ELj8EfEEvi20rocsparse_direction_NS_24const_host_device_scalarIT2_EEPKiS6_PKS3_S8_S4_PS3_21rocsparse_index_base_b
		.amdhsa_group_segment_fixed_size 0
		.amdhsa_private_segment_fixed_size 0
		.amdhsa_kernarg_size 72
		.amdhsa_user_sgpr_count 6
		.amdhsa_user_sgpr_private_segment_buffer 1
		.amdhsa_user_sgpr_dispatch_ptr 0
		.amdhsa_user_sgpr_queue_ptr 0
		.amdhsa_user_sgpr_kernarg_segment_ptr 1
		.amdhsa_user_sgpr_dispatch_id 0
		.amdhsa_user_sgpr_flat_scratch_init 0
		.amdhsa_user_sgpr_private_segment_size 0
		.amdhsa_wavefront_size32 1
		.amdhsa_uses_dynamic_stack 0
		.amdhsa_system_sgpr_private_segment_wavefront_offset 0
		.amdhsa_system_sgpr_workgroup_id_x 1
		.amdhsa_system_sgpr_workgroup_id_y 0
		.amdhsa_system_sgpr_workgroup_id_z 0
		.amdhsa_system_sgpr_workgroup_info 0
		.amdhsa_system_vgpr_workitem_id 0
		.amdhsa_next_free_vgpr 30
		.amdhsa_next_free_sgpr 20
		.amdhsa_reserve_vcc 1
		.amdhsa_reserve_flat_scratch 0
		.amdhsa_float_round_mode_32 0
		.amdhsa_float_round_mode_16_64 0
		.amdhsa_float_denorm_mode_32 3
		.amdhsa_float_denorm_mode_16_64 3
		.amdhsa_dx10_clamp 1
		.amdhsa_ieee_mode 1
		.amdhsa_fp16_overflow 0
		.amdhsa_workgroup_processor_mode 1
		.amdhsa_memory_ordered 1
		.amdhsa_forward_progress 1
		.amdhsa_shared_vgpr_count 0
		.amdhsa_exception_fp_ieee_invalid_op 0
		.amdhsa_exception_fp_denorm_src 0
		.amdhsa_exception_fp_ieee_div_zero 0
		.amdhsa_exception_fp_ieee_overflow 0
		.amdhsa_exception_fp_ieee_underflow 0
		.amdhsa_exception_fp_ieee_inexact 0
		.amdhsa_exception_int_div_zero 0
	.end_amdhsa_kernel
	.section	.text._ZN9rocsparseL19gebsrmvn_2xn_kernelILj128ELj5ELj8EfEEvi20rocsparse_direction_NS_24const_host_device_scalarIT2_EEPKiS6_PKS3_S8_S4_PS3_21rocsparse_index_base_b,"axG",@progbits,_ZN9rocsparseL19gebsrmvn_2xn_kernelILj128ELj5ELj8EfEEvi20rocsparse_direction_NS_24const_host_device_scalarIT2_EEPKiS6_PKS3_S8_S4_PS3_21rocsparse_index_base_b,comdat
.Lfunc_end16:
	.size	_ZN9rocsparseL19gebsrmvn_2xn_kernelILj128ELj5ELj8EfEEvi20rocsparse_direction_NS_24const_host_device_scalarIT2_EEPKiS6_PKS3_S8_S4_PS3_21rocsparse_index_base_b, .Lfunc_end16-_ZN9rocsparseL19gebsrmvn_2xn_kernelILj128ELj5ELj8EfEEvi20rocsparse_direction_NS_24const_host_device_scalarIT2_EEPKiS6_PKS3_S8_S4_PS3_21rocsparse_index_base_b
                                        ; -- End function
	.set _ZN9rocsparseL19gebsrmvn_2xn_kernelILj128ELj5ELj8EfEEvi20rocsparse_direction_NS_24const_host_device_scalarIT2_EEPKiS6_PKS3_S8_S4_PS3_21rocsparse_index_base_b.num_vgpr, 30
	.set _ZN9rocsparseL19gebsrmvn_2xn_kernelILj128ELj5ELj8EfEEvi20rocsparse_direction_NS_24const_host_device_scalarIT2_EEPKiS6_PKS3_S8_S4_PS3_21rocsparse_index_base_b.num_agpr, 0
	.set _ZN9rocsparseL19gebsrmvn_2xn_kernelILj128ELj5ELj8EfEEvi20rocsparse_direction_NS_24const_host_device_scalarIT2_EEPKiS6_PKS3_S8_S4_PS3_21rocsparse_index_base_b.numbered_sgpr, 20
	.set _ZN9rocsparseL19gebsrmvn_2xn_kernelILj128ELj5ELj8EfEEvi20rocsparse_direction_NS_24const_host_device_scalarIT2_EEPKiS6_PKS3_S8_S4_PS3_21rocsparse_index_base_b.num_named_barrier, 0
	.set _ZN9rocsparseL19gebsrmvn_2xn_kernelILj128ELj5ELj8EfEEvi20rocsparse_direction_NS_24const_host_device_scalarIT2_EEPKiS6_PKS3_S8_S4_PS3_21rocsparse_index_base_b.private_seg_size, 0
	.set _ZN9rocsparseL19gebsrmvn_2xn_kernelILj128ELj5ELj8EfEEvi20rocsparse_direction_NS_24const_host_device_scalarIT2_EEPKiS6_PKS3_S8_S4_PS3_21rocsparse_index_base_b.uses_vcc, 1
	.set _ZN9rocsparseL19gebsrmvn_2xn_kernelILj128ELj5ELj8EfEEvi20rocsparse_direction_NS_24const_host_device_scalarIT2_EEPKiS6_PKS3_S8_S4_PS3_21rocsparse_index_base_b.uses_flat_scratch, 0
	.set _ZN9rocsparseL19gebsrmvn_2xn_kernelILj128ELj5ELj8EfEEvi20rocsparse_direction_NS_24const_host_device_scalarIT2_EEPKiS6_PKS3_S8_S4_PS3_21rocsparse_index_base_b.has_dyn_sized_stack, 0
	.set _ZN9rocsparseL19gebsrmvn_2xn_kernelILj128ELj5ELj8EfEEvi20rocsparse_direction_NS_24const_host_device_scalarIT2_EEPKiS6_PKS3_S8_S4_PS3_21rocsparse_index_base_b.has_recursion, 0
	.set _ZN9rocsparseL19gebsrmvn_2xn_kernelILj128ELj5ELj8EfEEvi20rocsparse_direction_NS_24const_host_device_scalarIT2_EEPKiS6_PKS3_S8_S4_PS3_21rocsparse_index_base_b.has_indirect_call, 0
	.section	.AMDGPU.csdata,"",@progbits
; Kernel info:
; codeLenInByte = 1824
; TotalNumSgprs: 22
; NumVgprs: 30
; ScratchSize: 0
; MemoryBound: 0
; FloatMode: 240
; IeeeMode: 1
; LDSByteSize: 0 bytes/workgroup (compile time only)
; SGPRBlocks: 0
; VGPRBlocks: 3
; NumSGPRsForWavesPerEU: 22
; NumVGPRsForWavesPerEU: 30
; Occupancy: 16
; WaveLimiterHint : 1
; COMPUTE_PGM_RSRC2:SCRATCH_EN: 0
; COMPUTE_PGM_RSRC2:USER_SGPR: 6
; COMPUTE_PGM_RSRC2:TRAP_HANDLER: 0
; COMPUTE_PGM_RSRC2:TGID_X_EN: 1
; COMPUTE_PGM_RSRC2:TGID_Y_EN: 0
; COMPUTE_PGM_RSRC2:TGID_Z_EN: 0
; COMPUTE_PGM_RSRC2:TIDIG_COMP_CNT: 0
	.section	.text._ZN9rocsparseL19gebsrmvn_2xn_kernelILj128ELj5ELj16EfEEvi20rocsparse_direction_NS_24const_host_device_scalarIT2_EEPKiS6_PKS3_S8_S4_PS3_21rocsparse_index_base_b,"axG",@progbits,_ZN9rocsparseL19gebsrmvn_2xn_kernelILj128ELj5ELj16EfEEvi20rocsparse_direction_NS_24const_host_device_scalarIT2_EEPKiS6_PKS3_S8_S4_PS3_21rocsparse_index_base_b,comdat
	.globl	_ZN9rocsparseL19gebsrmvn_2xn_kernelILj128ELj5ELj16EfEEvi20rocsparse_direction_NS_24const_host_device_scalarIT2_EEPKiS6_PKS3_S8_S4_PS3_21rocsparse_index_base_b ; -- Begin function _ZN9rocsparseL19gebsrmvn_2xn_kernelILj128ELj5ELj16EfEEvi20rocsparse_direction_NS_24const_host_device_scalarIT2_EEPKiS6_PKS3_S8_S4_PS3_21rocsparse_index_base_b
	.p2align	8
	.type	_ZN9rocsparseL19gebsrmvn_2xn_kernelILj128ELj5ELj16EfEEvi20rocsparse_direction_NS_24const_host_device_scalarIT2_EEPKiS6_PKS3_S8_S4_PS3_21rocsparse_index_base_b,@function
_ZN9rocsparseL19gebsrmvn_2xn_kernelILj128ELj5ELj16EfEEvi20rocsparse_direction_NS_24const_host_device_scalarIT2_EEPKiS6_PKS3_S8_S4_PS3_21rocsparse_index_base_b: ; @_ZN9rocsparseL19gebsrmvn_2xn_kernelILj128ELj5ELj16EfEEvi20rocsparse_direction_NS_24const_host_device_scalarIT2_EEPKiS6_PKS3_S8_S4_PS3_21rocsparse_index_base_b
; %bb.0:
	s_clause 0x2
	s_load_dwordx2 s[18:19], s[4:5], 0x40
	s_load_dwordx2 s[16:17], s[4:5], 0x8
	;; [unrolled: 1-line block ×3, first 2 shown]
	s_waitcnt lgkmcnt(0)
	s_bitcmp1_b32 s19, 0
	s_cselect_b32 s0, -1, 0
	s_and_b32 vcc_lo, exec_lo, s0
	s_xor_b32 s0, s0, -1
	s_cbranch_vccnz .LBB17_2
; %bb.1:
	s_load_dword s16, s[16:17], 0x0
.LBB17_2:
	s_andn2_b32 vcc_lo, exec_lo, s0
	s_cbranch_vccnz .LBB17_4
; %bb.3:
	s_load_dword s2, s[2:3], 0x0
.LBB17_4:
	s_waitcnt lgkmcnt(0)
	v_cmp_eq_f32_e64 s0, s16, 0
	v_cmp_eq_f32_e64 s1, s2, 1.0
	s_and_b32 s0, s0, s1
	s_and_b32 vcc_lo, exec_lo, s0
	s_cbranch_vccnz .LBB17_23
; %bb.5:
	s_load_dwordx2 s[0:1], s[4:5], 0x0
	v_lshrrev_b32_e32 v1, 4, v0
	v_lshl_or_b32 v1, s6, 3, v1
	s_waitcnt lgkmcnt(0)
	v_cmp_gt_i32_e32 vcc_lo, s0, v1
	s_and_saveexec_b32 s0, vcc_lo
	s_cbranch_execz .LBB17_23
; %bb.6:
	s_load_dwordx8 s[8:15], s[4:5], 0x10
	v_ashrrev_i32_e32 v2, 31, v1
	v_and_b32_e32 v0, 15, v0
	s_cmp_lg_u32 s1, 0
	v_lshlrev_b64 v[2:3], 2, v[1:2]
	s_waitcnt lgkmcnt(0)
	v_add_co_u32 v2, vcc_lo, s8, v2
	v_add_co_ci_u32_e64 v3, null, s9, v3, vcc_lo
	global_load_dwordx2 v[2:3], v[2:3], off
	s_waitcnt vmcnt(0)
	v_subrev_nc_u32_e32 v2, s18, v2
	v_subrev_nc_u32_e32 v11, s18, v3
	v_add_nc_u32_e32 v2, v2, v0
	v_cmp_lt_i32_e64 s0, v2, v11
	s_cbranch_scc0 .LBB17_12
; %bb.7:
	v_mov_b32_e32 v9, 0
	v_mov_b32_e32 v10, 0
	s_and_saveexec_b32 s1, s0
	s_cbranch_execz .LBB17_11
; %bb.8:
	v_mad_u64_u32 v[3:4], null, v2, 10, 8
	v_mov_b32_e32 v6, 0
	v_mov_b32_e32 v7, v2
	;; [unrolled: 1-line block ×4, first 2 shown]
	s_mov_b32 s3, 0
.LBB17_9:                               ; =>This Inner Loop Header: Depth=1
	v_ashrrev_i32_e32 v8, 31, v7
	v_mov_b32_e32 v13, v6
	v_lshlrev_b64 v[4:5], 2, v[7:8]
	v_add_nc_u32_e32 v7, 16, v7
	v_add_co_u32 v4, vcc_lo, s10, v4
	v_add_co_ci_u32_e64 v5, null, s11, v5, vcc_lo
	global_load_dword v8, v[4:5], off
	v_add_nc_u32_e32 v5, -8, v3
	v_mov_b32_e32 v4, v6
	v_lshlrev_b64 v[14:15], 2, v[5:6]
	v_add_nc_u32_e32 v5, -6, v3
	v_lshlrev_b64 v[16:17], 2, v[3:4]
	v_lshlrev_b64 v[4:5], 2, v[5:6]
	v_add_co_u32 v14, vcc_lo, s12, v14
	v_add_co_ci_u32_e64 v15, null, s13, v15, vcc_lo
	v_add_co_u32 v16, vcc_lo, s12, v16
	v_add_co_ci_u32_e64 v17, null, s13, v17, vcc_lo
	;; [unrolled: 2-line block ×3, first 2 shown]
	s_clause 0x1
	global_load_dwordx2 v[14:15], v[14:15], off
	global_load_dwordx2 v[18:19], v[4:5], off
	s_waitcnt vmcnt(2)
	v_subrev_nc_u32_e32 v4, s18, v8
	v_lshl_add_u32 v12, v4, 2, v4
	v_add_nc_u32_e32 v5, 1, v12
	v_lshlrev_b64 v[20:21], 2, v[12:13]
	v_lshlrev_b64 v[22:23], 2, v[5:6]
	v_add_nc_u32_e32 v5, -4, v3
	v_add_co_u32 v20, vcc_lo, s14, v20
	v_add_co_ci_u32_e64 v21, null, s15, v21, vcc_lo
	v_add_co_u32 v22, vcc_lo, s14, v22
	v_lshlrev_b64 v[24:25], 2, v[5:6]
	v_add_nc_u32_e32 v5, 2, v12
	v_add_co_ci_u32_e64 v23, null, s15, v23, vcc_lo
	s_clause 0x1
	global_load_dword v8, v[20:21], off
	global_load_dword v28, v[22:23], off
	v_lshlrev_b64 v[20:21], 2, v[5:6]
	v_add_nc_u32_e32 v5, -2, v3
	v_add_co_u32 v22, vcc_lo, s12, v24
	v_add_co_ci_u32_e64 v23, null, s13, v25, vcc_lo
	v_lshlrev_b64 v[24:25], 2, v[5:6]
	v_add_nc_u32_e32 v5, 3, v12
	v_add_co_u32 v20, vcc_lo, s14, v20
	v_add_co_ci_u32_e64 v21, null, s15, v21, vcc_lo
	v_lshlrev_b64 v[26:27], 2, v[5:6]
	v_add_nc_u32_e32 v5, 4, v12
	v_add_co_u32 v12, vcc_lo, s12, v24
	global_load_dword v29, v[20:21], off
	v_add_co_ci_u32_e64 v13, null, s13, v25, vcc_lo
	v_lshlrev_b64 v[4:5], 2, v[5:6]
	v_add_co_u32 v20, vcc_lo, s14, v26
	global_load_dwordx2 v[22:23], v[22:23], off
	v_add_co_ci_u32_e64 v21, null, s15, v27, vcc_lo
	v_add_co_u32 v4, vcc_lo, s14, v4
	global_load_dwordx2 v[12:13], v[12:13], off
	global_load_dword v20, v[20:21], off
	v_add_co_ci_u32_e64 v5, null, s15, v5, vcc_lo
	global_load_dwordx2 v[16:17], v[16:17], off
	global_load_dword v4, v[4:5], off
	v_cmp_ge_i32_e32 vcc_lo, v7, v11
	v_add_nc_u32_e32 v3, 0xa0, v3
	s_or_b32 s3, vcc_lo, s3
	s_waitcnt vmcnt(7)
	v_fmac_f32_e32 v9, v14, v8
	v_fmac_f32_e32 v10, v15, v8
	s_waitcnt vmcnt(6)
	v_fmac_f32_e32 v9, v18, v28
	v_fmac_f32_e32 v10, v19, v28
	;; [unrolled: 3-line block ×5, first 2 shown]
	s_andn2_b32 exec_lo, exec_lo, s3
	s_cbranch_execnz .LBB17_9
; %bb.10:
	s_or_b32 exec_lo, exec_lo, s3
.LBB17_11:
	s_or_b32 exec_lo, exec_lo, s1
	s_cbranch_execz .LBB17_13
	s_branch .LBB17_18
.LBB17_12:
                                        ; implicit-def: $vgpr9
                                        ; implicit-def: $vgpr10
.LBB17_13:
	v_mov_b32_e32 v9, 0
	v_mov_b32_e32 v10, 0
	s_and_saveexec_b32 s1, s0
	s_cbranch_execz .LBB17_17
; %bb.14:
	v_mad_u64_u32 v[4:5], null, v2, 10, 9
	v_mov_b32_e32 v7, 0
	v_mov_b32_e32 v9, 0
	;; [unrolled: 1-line block ×3, first 2 shown]
	s_mov_b32 s0, 0
.LBB17_15:                              ; =>This Inner Loop Header: Depth=1
	v_ashrrev_i32_e32 v3, 31, v2
	v_add_nc_u32_e32 v12, -4, v4
	v_mov_b32_e32 v13, v7
	v_mov_b32_e32 v14, v7
	v_lshlrev_b64 v[5:6], 2, v[2:3]
	v_add_nc_u32_e32 v2, 16, v2
	v_lshlrev_b64 v[12:13], 2, v[12:13]
	v_add_co_u32 v5, vcc_lo, s10, v5
	v_add_co_ci_u32_e64 v6, null, s11, v6, vcc_lo
	global_load_dword v3, v[5:6], off
	v_add_nc_u32_e32 v6, -9, v4
	v_mov_b32_e32 v5, v7
	v_lshlrev_b64 v[15:16], 2, v[6:7]
	v_lshlrev_b64 v[5:6], 2, v[4:5]
	v_add_co_u32 v15, vcc_lo, s12, v15
	v_add_co_ci_u32_e64 v16, null, s13, v16, vcc_lo
	v_add_co_u32 v12, vcc_lo, s12, v12
	v_add_co_ci_u32_e64 v13, null, s13, v13, vcc_lo
	s_clause 0x1
	global_load_dwordx2 v[15:16], v[15:16], off
	global_load_dword v8, v[12:13], off
	v_add_co_u32 v17, vcc_lo, s12, v5
	v_add_co_ci_u32_e64 v18, null, s13, v6, vcc_lo
	s_waitcnt vmcnt(2)
	v_subrev_nc_u32_e32 v3, s18, v3
	v_lshl_add_u32 v13, v3, 2, v3
	v_add_nc_u32_e32 v6, 1, v13
	v_lshlrev_b64 v[19:20], 2, v[13:14]
	v_lshlrev_b64 v[21:22], 2, v[6:7]
	v_add_nc_u32_e32 v6, -3, v4
	v_add_co_u32 v19, vcc_lo, s14, v19
	v_add_co_ci_u32_e64 v20, null, s15, v20, vcc_lo
	v_lshlrev_b64 v[23:24], 2, v[6:7]
	v_add_nc_u32_e32 v6, -7, v4
	global_load_dword v3, v[19:20], off
	v_add_co_u32 v19, vcc_lo, s14, v21
	v_add_co_ci_u32_e64 v20, null, s15, v22, vcc_lo
	v_lshlrev_b64 v[21:22], 2, v[6:7]
	v_add_nc_u32_e32 v6, 2, v13
	v_add_co_u32 v23, vcc_lo, s12, v23
	v_add_co_ci_u32_e64 v24, null, s13, v24, vcc_lo
	global_load_dword v14, v[19:20], off
	v_lshlrev_b64 v[19:20], 2, v[6:7]
	v_add_co_u32 v21, vcc_lo, s12, v21
	v_add_nc_u32_e32 v6, -2, v4
	v_add_co_ci_u32_e64 v22, null, s13, v22, vcc_lo
	v_add_co_u32 v19, vcc_lo, s14, v19
	s_clause 0x1
	global_load_dword v25, v[23:24], off
	global_load_dword v26, v[21:22], off
	v_lshlrev_b64 v[23:24], 2, v[6:7]
	v_add_co_ci_u32_e64 v20, null, s15, v20, vcc_lo
	v_add_nc_u32_e32 v6, -6, v4
	global_load_dword v27, v[19:20], off
	v_add_co_u32 v19, vcc_lo, s12, v23
	v_add_co_ci_u32_e64 v20, null, s13, v24, vcc_lo
	global_load_dword v28, v[19:20], off
	v_lshlrev_b64 v[21:22], 2, v[6:7]
	v_add_nc_u32_e32 v6, 3, v13
	v_lshlrev_b64 v[23:24], 2, v[6:7]
	v_add_nc_u32_e32 v6, -1, v4
	v_add_co_u32 v21, vcc_lo, s12, v21
	v_add_co_ci_u32_e64 v22, null, s13, v22, vcc_lo
	v_lshlrev_b64 v[19:20], 2, v[6:7]
	v_add_nc_u32_e32 v6, -5, v4
	v_add_nc_u32_e32 v4, 0xa0, v4
	global_load_dword v29, v[21:22], off
	v_add_co_u32 v21, vcc_lo, s14, v23
	v_add_co_ci_u32_e64 v22, null, s15, v24, vcc_lo
	v_lshlrev_b64 v[23:24], 2, v[6:7]
	v_add_nc_u32_e32 v6, 4, v13
	v_add_co_u32 v12, vcc_lo, s12, v19
	v_add_co_ci_u32_e64 v13, null, s13, v20, vcc_lo
	v_lshlrev_b64 v[5:6], 2, v[6:7]
	global_load_dword v19, v[21:22], off
	global_load_dword v20, v[12:13], off
	v_add_co_u32 v12, vcc_lo, s12, v23
	v_add_co_ci_u32_e64 v13, null, s13, v24, vcc_lo
	v_add_co_u32 v5, vcc_lo, s14, v5
	v_add_co_ci_u32_e64 v6, null, s15, v6, vcc_lo
	s_clause 0x1
	global_load_dword v17, v[17:18], off
	global_load_dword v12, v[12:13], off
	;; [unrolled: 1-line block ×3, first 2 shown]
	v_cmp_ge_i32_e32 vcc_lo, v2, v11
	s_or_b32 s0, vcc_lo, s0
	s_waitcnt vmcnt(11)
	v_fmac_f32_e32 v9, v15, v3
	v_fmac_f32_e32 v10, v8, v3
	s_waitcnt vmcnt(10)
	v_fmac_f32_e32 v9, v16, v14
	s_waitcnt vmcnt(9)
	;; [unrolled: 2-line block ×7, first 2 shown]
	v_fmac_f32_e32 v9, v12, v5
	v_fmac_f32_e32 v10, v17, v5
	s_andn2_b32 exec_lo, exec_lo, s0
	s_cbranch_execnz .LBB17_15
; %bb.16:
	s_or_b32 exec_lo, exec_lo, s0
.LBB17_17:
	s_or_b32 exec_lo, exec_lo, s1
.LBB17_18:
	v_mbcnt_lo_u32_b32 v2, -1, 0
	s_mov_b32 s3, -1
	v_xor_b32_e32 v3, 8, v2
	v_xor_b32_e32 v5, 4, v2
	;; [unrolled: 1-line block ×3, first 2 shown]
	v_cmp_gt_i32_e32 vcc_lo, 32, v3
	v_cndmask_b32_e32 v3, v2, v3, vcc_lo
	v_cmp_gt_i32_e32 vcc_lo, 32, v5
	v_lshlrev_b32_e32 v3, 2, v3
	v_cndmask_b32_e32 v5, v2, v5, vcc_lo
	v_cmp_gt_i32_e32 vcc_lo, 32, v7
	ds_bpermute_b32 v4, v3, v9
	ds_bpermute_b32 v3, v3, v10
	v_lshlrev_b32_e32 v5, 2, v5
	v_cndmask_b32_e32 v7, v2, v7, vcc_lo
	v_lshlrev_b32_e32 v7, 2, v7
	s_waitcnt lgkmcnt(1)
	v_add_f32_e32 v4, v9, v4
	s_waitcnt lgkmcnt(0)
	v_add_f32_e32 v3, v10, v3
	ds_bpermute_b32 v6, v5, v4
	ds_bpermute_b32 v5, v5, v3
	s_waitcnt lgkmcnt(1)
	v_add_f32_e32 v4, v4, v6
	s_waitcnt lgkmcnt(0)
	v_add_f32_e32 v3, v3, v5
	ds_bpermute_b32 v5, v7, v4
	ds_bpermute_b32 v6, v7, v3
	v_xor_b32_e32 v7, 1, v2
	v_cmp_gt_i32_e32 vcc_lo, 32, v7
	v_cndmask_b32_e32 v2, v2, v7, vcc_lo
	v_cmp_eq_u32_e32 vcc_lo, 15, v0
	v_lshlrev_b32_e32 v7, 2, v2
	s_waitcnt lgkmcnt(1)
	v_add_f32_e32 v2, v4, v5
	s_waitcnt lgkmcnt(0)
	v_add_f32_e32 v3, v3, v6
	ds_bpermute_b32 v4, v7, v2
	ds_bpermute_b32 v5, v7, v3
	s_and_b32 exec_lo, exec_lo, vcc_lo
	s_cbranch_execz .LBB17_23
; %bb.19:
	s_load_dwordx2 s[0:1], s[4:5], 0x38
	s_waitcnt lgkmcnt(0)
	v_add_f32_e32 v0, v2, v4
	v_add_f32_e32 v3, v3, v5
	v_cmp_eq_f32_e64 s4, s2, 0
	v_mul_f32_e32 v2, s16, v0
	v_mul_f32_e32 v3, s16, v3
	v_lshlrev_b32_e32 v0, 1, v1
	s_and_b32 vcc_lo, exec_lo, s4
	s_cbranch_vccz .LBB17_21
; %bb.20:
	v_ashrrev_i32_e32 v1, 31, v0
	s_mov_b32 s3, 0
	v_lshlrev_b64 v[4:5], 2, v[0:1]
	v_add_co_u32 v4, vcc_lo, s0, v4
	v_add_co_ci_u32_e64 v5, null, s1, v5, vcc_lo
	global_store_dwordx2 v[4:5], v[2:3], off
.LBB17_21:
	s_andn2_b32 vcc_lo, exec_lo, s3
	s_cbranch_vccnz .LBB17_23
; %bb.22:
	v_ashrrev_i32_e32 v1, 31, v0
	v_lshlrev_b64 v[0:1], 2, v[0:1]
	v_add_co_u32 v0, vcc_lo, s0, v0
	v_add_co_ci_u32_e64 v1, null, s1, v1, vcc_lo
	global_load_dwordx2 v[4:5], v[0:1], off
	s_waitcnt vmcnt(0)
	v_fmac_f32_e32 v2, s2, v4
	v_fmac_f32_e32 v3, s2, v5
	global_store_dwordx2 v[0:1], v[2:3], off
.LBB17_23:
	s_endpgm
	.section	.rodata,"a",@progbits
	.p2align	6, 0x0
	.amdhsa_kernel _ZN9rocsparseL19gebsrmvn_2xn_kernelILj128ELj5ELj16EfEEvi20rocsparse_direction_NS_24const_host_device_scalarIT2_EEPKiS6_PKS3_S8_S4_PS3_21rocsparse_index_base_b
		.amdhsa_group_segment_fixed_size 0
		.amdhsa_private_segment_fixed_size 0
		.amdhsa_kernarg_size 72
		.amdhsa_user_sgpr_count 6
		.amdhsa_user_sgpr_private_segment_buffer 1
		.amdhsa_user_sgpr_dispatch_ptr 0
		.amdhsa_user_sgpr_queue_ptr 0
		.amdhsa_user_sgpr_kernarg_segment_ptr 1
		.amdhsa_user_sgpr_dispatch_id 0
		.amdhsa_user_sgpr_flat_scratch_init 0
		.amdhsa_user_sgpr_private_segment_size 0
		.amdhsa_wavefront_size32 1
		.amdhsa_uses_dynamic_stack 0
		.amdhsa_system_sgpr_private_segment_wavefront_offset 0
		.amdhsa_system_sgpr_workgroup_id_x 1
		.amdhsa_system_sgpr_workgroup_id_y 0
		.amdhsa_system_sgpr_workgroup_id_z 0
		.amdhsa_system_sgpr_workgroup_info 0
		.amdhsa_system_vgpr_workitem_id 0
		.amdhsa_next_free_vgpr 30
		.amdhsa_next_free_sgpr 20
		.amdhsa_reserve_vcc 1
		.amdhsa_reserve_flat_scratch 0
		.amdhsa_float_round_mode_32 0
		.amdhsa_float_round_mode_16_64 0
		.amdhsa_float_denorm_mode_32 3
		.amdhsa_float_denorm_mode_16_64 3
		.amdhsa_dx10_clamp 1
		.amdhsa_ieee_mode 1
		.amdhsa_fp16_overflow 0
		.amdhsa_workgroup_processor_mode 1
		.amdhsa_memory_ordered 1
		.amdhsa_forward_progress 1
		.amdhsa_shared_vgpr_count 0
		.amdhsa_exception_fp_ieee_invalid_op 0
		.amdhsa_exception_fp_denorm_src 0
		.amdhsa_exception_fp_ieee_div_zero 0
		.amdhsa_exception_fp_ieee_overflow 0
		.amdhsa_exception_fp_ieee_underflow 0
		.amdhsa_exception_fp_ieee_inexact 0
		.amdhsa_exception_int_div_zero 0
	.end_amdhsa_kernel
	.section	.text._ZN9rocsparseL19gebsrmvn_2xn_kernelILj128ELj5ELj16EfEEvi20rocsparse_direction_NS_24const_host_device_scalarIT2_EEPKiS6_PKS3_S8_S4_PS3_21rocsparse_index_base_b,"axG",@progbits,_ZN9rocsparseL19gebsrmvn_2xn_kernelILj128ELj5ELj16EfEEvi20rocsparse_direction_NS_24const_host_device_scalarIT2_EEPKiS6_PKS3_S8_S4_PS3_21rocsparse_index_base_b,comdat
.Lfunc_end17:
	.size	_ZN9rocsparseL19gebsrmvn_2xn_kernelILj128ELj5ELj16EfEEvi20rocsparse_direction_NS_24const_host_device_scalarIT2_EEPKiS6_PKS3_S8_S4_PS3_21rocsparse_index_base_b, .Lfunc_end17-_ZN9rocsparseL19gebsrmvn_2xn_kernelILj128ELj5ELj16EfEEvi20rocsparse_direction_NS_24const_host_device_scalarIT2_EEPKiS6_PKS3_S8_S4_PS3_21rocsparse_index_base_b
                                        ; -- End function
	.set _ZN9rocsparseL19gebsrmvn_2xn_kernelILj128ELj5ELj16EfEEvi20rocsparse_direction_NS_24const_host_device_scalarIT2_EEPKiS6_PKS3_S8_S4_PS3_21rocsparse_index_base_b.num_vgpr, 30
	.set _ZN9rocsparseL19gebsrmvn_2xn_kernelILj128ELj5ELj16EfEEvi20rocsparse_direction_NS_24const_host_device_scalarIT2_EEPKiS6_PKS3_S8_S4_PS3_21rocsparse_index_base_b.num_agpr, 0
	.set _ZN9rocsparseL19gebsrmvn_2xn_kernelILj128ELj5ELj16EfEEvi20rocsparse_direction_NS_24const_host_device_scalarIT2_EEPKiS6_PKS3_S8_S4_PS3_21rocsparse_index_base_b.numbered_sgpr, 20
	.set _ZN9rocsparseL19gebsrmvn_2xn_kernelILj128ELj5ELj16EfEEvi20rocsparse_direction_NS_24const_host_device_scalarIT2_EEPKiS6_PKS3_S8_S4_PS3_21rocsparse_index_base_b.num_named_barrier, 0
	.set _ZN9rocsparseL19gebsrmvn_2xn_kernelILj128ELj5ELj16EfEEvi20rocsparse_direction_NS_24const_host_device_scalarIT2_EEPKiS6_PKS3_S8_S4_PS3_21rocsparse_index_base_b.private_seg_size, 0
	.set _ZN9rocsparseL19gebsrmvn_2xn_kernelILj128ELj5ELj16EfEEvi20rocsparse_direction_NS_24const_host_device_scalarIT2_EEPKiS6_PKS3_S8_S4_PS3_21rocsparse_index_base_b.uses_vcc, 1
	.set _ZN9rocsparseL19gebsrmvn_2xn_kernelILj128ELj5ELj16EfEEvi20rocsparse_direction_NS_24const_host_device_scalarIT2_EEPKiS6_PKS3_S8_S4_PS3_21rocsparse_index_base_b.uses_flat_scratch, 0
	.set _ZN9rocsparseL19gebsrmvn_2xn_kernelILj128ELj5ELj16EfEEvi20rocsparse_direction_NS_24const_host_device_scalarIT2_EEPKiS6_PKS3_S8_S4_PS3_21rocsparse_index_base_b.has_dyn_sized_stack, 0
	.set _ZN9rocsparseL19gebsrmvn_2xn_kernelILj128ELj5ELj16EfEEvi20rocsparse_direction_NS_24const_host_device_scalarIT2_EEPKiS6_PKS3_S8_S4_PS3_21rocsparse_index_base_b.has_recursion, 0
	.set _ZN9rocsparseL19gebsrmvn_2xn_kernelILj128ELj5ELj16EfEEvi20rocsparse_direction_NS_24const_host_device_scalarIT2_EEPKiS6_PKS3_S8_S4_PS3_21rocsparse_index_base_b.has_indirect_call, 0
	.section	.AMDGPU.csdata,"",@progbits
; Kernel info:
; codeLenInByte = 1872
; TotalNumSgprs: 22
; NumVgprs: 30
; ScratchSize: 0
; MemoryBound: 0
; FloatMode: 240
; IeeeMode: 1
; LDSByteSize: 0 bytes/workgroup (compile time only)
; SGPRBlocks: 0
; VGPRBlocks: 3
; NumSGPRsForWavesPerEU: 22
; NumVGPRsForWavesPerEU: 30
; Occupancy: 16
; WaveLimiterHint : 1
; COMPUTE_PGM_RSRC2:SCRATCH_EN: 0
; COMPUTE_PGM_RSRC2:USER_SGPR: 6
; COMPUTE_PGM_RSRC2:TRAP_HANDLER: 0
; COMPUTE_PGM_RSRC2:TGID_X_EN: 1
; COMPUTE_PGM_RSRC2:TGID_Y_EN: 0
; COMPUTE_PGM_RSRC2:TGID_Z_EN: 0
; COMPUTE_PGM_RSRC2:TIDIG_COMP_CNT: 0
	.section	.text._ZN9rocsparseL19gebsrmvn_2xn_kernelILj128ELj5ELj32EfEEvi20rocsparse_direction_NS_24const_host_device_scalarIT2_EEPKiS6_PKS3_S8_S4_PS3_21rocsparse_index_base_b,"axG",@progbits,_ZN9rocsparseL19gebsrmvn_2xn_kernelILj128ELj5ELj32EfEEvi20rocsparse_direction_NS_24const_host_device_scalarIT2_EEPKiS6_PKS3_S8_S4_PS3_21rocsparse_index_base_b,comdat
	.globl	_ZN9rocsparseL19gebsrmvn_2xn_kernelILj128ELj5ELj32EfEEvi20rocsparse_direction_NS_24const_host_device_scalarIT2_EEPKiS6_PKS3_S8_S4_PS3_21rocsparse_index_base_b ; -- Begin function _ZN9rocsparseL19gebsrmvn_2xn_kernelILj128ELj5ELj32EfEEvi20rocsparse_direction_NS_24const_host_device_scalarIT2_EEPKiS6_PKS3_S8_S4_PS3_21rocsparse_index_base_b
	.p2align	8
	.type	_ZN9rocsparseL19gebsrmvn_2xn_kernelILj128ELj5ELj32EfEEvi20rocsparse_direction_NS_24const_host_device_scalarIT2_EEPKiS6_PKS3_S8_S4_PS3_21rocsparse_index_base_b,@function
_ZN9rocsparseL19gebsrmvn_2xn_kernelILj128ELj5ELj32EfEEvi20rocsparse_direction_NS_24const_host_device_scalarIT2_EEPKiS6_PKS3_S8_S4_PS3_21rocsparse_index_base_b: ; @_ZN9rocsparseL19gebsrmvn_2xn_kernelILj128ELj5ELj32EfEEvi20rocsparse_direction_NS_24const_host_device_scalarIT2_EEPKiS6_PKS3_S8_S4_PS3_21rocsparse_index_base_b
; %bb.0:
	s_clause 0x2
	s_load_dwordx2 s[18:19], s[4:5], 0x40
	s_load_dwordx2 s[16:17], s[4:5], 0x8
	;; [unrolled: 1-line block ×3, first 2 shown]
	s_waitcnt lgkmcnt(0)
	s_bitcmp1_b32 s19, 0
	s_cselect_b32 s0, -1, 0
	s_and_b32 vcc_lo, exec_lo, s0
	s_xor_b32 s0, s0, -1
	s_cbranch_vccnz .LBB18_2
; %bb.1:
	s_load_dword s16, s[16:17], 0x0
.LBB18_2:
	s_andn2_b32 vcc_lo, exec_lo, s0
	s_cbranch_vccnz .LBB18_4
; %bb.3:
	s_load_dword s2, s[2:3], 0x0
.LBB18_4:
	s_waitcnt lgkmcnt(0)
	v_cmp_eq_f32_e64 s0, s16, 0
	v_cmp_eq_f32_e64 s1, s2, 1.0
	s_and_b32 s0, s0, s1
	s_and_b32 vcc_lo, exec_lo, s0
	s_cbranch_vccnz .LBB18_23
; %bb.5:
	s_load_dwordx2 s[0:1], s[4:5], 0x0
	v_lshrrev_b32_e32 v1, 5, v0
	v_lshl_or_b32 v1, s6, 2, v1
	s_waitcnt lgkmcnt(0)
	v_cmp_gt_i32_e32 vcc_lo, s0, v1
	s_and_saveexec_b32 s0, vcc_lo
	s_cbranch_execz .LBB18_23
; %bb.6:
	s_load_dwordx8 s[8:15], s[4:5], 0x10
	v_ashrrev_i32_e32 v2, 31, v1
	v_and_b32_e32 v0, 31, v0
	s_cmp_lg_u32 s1, 0
	v_lshlrev_b64 v[2:3], 2, v[1:2]
	s_waitcnt lgkmcnt(0)
	v_add_co_u32 v2, vcc_lo, s8, v2
	v_add_co_ci_u32_e64 v3, null, s9, v3, vcc_lo
	global_load_dwordx2 v[2:3], v[2:3], off
	s_waitcnt vmcnt(0)
	v_subrev_nc_u32_e32 v2, s18, v2
	v_subrev_nc_u32_e32 v11, s18, v3
	v_add_nc_u32_e32 v2, v2, v0
	v_cmp_lt_i32_e64 s0, v2, v11
	s_cbranch_scc0 .LBB18_12
; %bb.7:
	v_mov_b32_e32 v9, 0
	v_mov_b32_e32 v10, 0
	s_and_saveexec_b32 s1, s0
	s_cbranch_execz .LBB18_11
; %bb.8:
	v_mad_u64_u32 v[3:4], null, v2, 10, 8
	v_mov_b32_e32 v6, 0
	v_mov_b32_e32 v7, v2
	;; [unrolled: 1-line block ×4, first 2 shown]
	s_mov_b32 s3, 0
.LBB18_9:                               ; =>This Inner Loop Header: Depth=1
	v_ashrrev_i32_e32 v8, 31, v7
	v_mov_b32_e32 v13, v6
	v_lshlrev_b64 v[4:5], 2, v[7:8]
	v_add_nc_u32_e32 v7, 32, v7
	v_add_co_u32 v4, vcc_lo, s10, v4
	v_add_co_ci_u32_e64 v5, null, s11, v5, vcc_lo
	global_load_dword v8, v[4:5], off
	v_add_nc_u32_e32 v5, -8, v3
	v_mov_b32_e32 v4, v6
	v_lshlrev_b64 v[14:15], 2, v[5:6]
	v_add_nc_u32_e32 v5, -6, v3
	v_lshlrev_b64 v[16:17], 2, v[3:4]
	v_lshlrev_b64 v[4:5], 2, v[5:6]
	v_add_co_u32 v14, vcc_lo, s12, v14
	v_add_co_ci_u32_e64 v15, null, s13, v15, vcc_lo
	v_add_co_u32 v16, vcc_lo, s12, v16
	v_add_co_ci_u32_e64 v17, null, s13, v17, vcc_lo
	;; [unrolled: 2-line block ×3, first 2 shown]
	s_clause 0x1
	global_load_dwordx2 v[14:15], v[14:15], off
	global_load_dwordx2 v[18:19], v[4:5], off
	s_waitcnt vmcnt(2)
	v_subrev_nc_u32_e32 v4, s18, v8
	v_lshl_add_u32 v12, v4, 2, v4
	v_add_nc_u32_e32 v5, 1, v12
	v_lshlrev_b64 v[20:21], 2, v[12:13]
	v_lshlrev_b64 v[22:23], 2, v[5:6]
	v_add_nc_u32_e32 v5, -4, v3
	v_add_co_u32 v20, vcc_lo, s14, v20
	v_add_co_ci_u32_e64 v21, null, s15, v21, vcc_lo
	v_add_co_u32 v22, vcc_lo, s14, v22
	v_lshlrev_b64 v[24:25], 2, v[5:6]
	v_add_nc_u32_e32 v5, 2, v12
	v_add_co_ci_u32_e64 v23, null, s15, v23, vcc_lo
	s_clause 0x1
	global_load_dword v8, v[20:21], off
	global_load_dword v28, v[22:23], off
	v_lshlrev_b64 v[20:21], 2, v[5:6]
	v_add_nc_u32_e32 v5, -2, v3
	v_add_co_u32 v22, vcc_lo, s12, v24
	v_add_co_ci_u32_e64 v23, null, s13, v25, vcc_lo
	v_lshlrev_b64 v[24:25], 2, v[5:6]
	v_add_nc_u32_e32 v5, 3, v12
	v_add_co_u32 v20, vcc_lo, s14, v20
	v_add_co_ci_u32_e64 v21, null, s15, v21, vcc_lo
	v_lshlrev_b64 v[26:27], 2, v[5:6]
	v_add_nc_u32_e32 v5, 4, v12
	v_add_co_u32 v12, vcc_lo, s12, v24
	global_load_dword v29, v[20:21], off
	v_add_co_ci_u32_e64 v13, null, s13, v25, vcc_lo
	v_lshlrev_b64 v[4:5], 2, v[5:6]
	v_add_co_u32 v20, vcc_lo, s14, v26
	global_load_dwordx2 v[22:23], v[22:23], off
	v_add_co_ci_u32_e64 v21, null, s15, v27, vcc_lo
	v_add_co_u32 v4, vcc_lo, s14, v4
	global_load_dwordx2 v[12:13], v[12:13], off
	global_load_dword v20, v[20:21], off
	v_add_co_ci_u32_e64 v5, null, s15, v5, vcc_lo
	global_load_dwordx2 v[16:17], v[16:17], off
	global_load_dword v4, v[4:5], off
	v_cmp_ge_i32_e32 vcc_lo, v7, v11
	v_add_nc_u32_e32 v3, 0x140, v3
	s_or_b32 s3, vcc_lo, s3
	s_waitcnt vmcnt(7)
	v_fmac_f32_e32 v9, v14, v8
	v_fmac_f32_e32 v10, v15, v8
	s_waitcnt vmcnt(6)
	v_fmac_f32_e32 v9, v18, v28
	v_fmac_f32_e32 v10, v19, v28
	;; [unrolled: 3-line block ×5, first 2 shown]
	s_andn2_b32 exec_lo, exec_lo, s3
	s_cbranch_execnz .LBB18_9
; %bb.10:
	s_or_b32 exec_lo, exec_lo, s3
.LBB18_11:
	s_or_b32 exec_lo, exec_lo, s1
	s_cbranch_execz .LBB18_13
	s_branch .LBB18_18
.LBB18_12:
                                        ; implicit-def: $vgpr9
                                        ; implicit-def: $vgpr10
.LBB18_13:
	v_mov_b32_e32 v9, 0
	v_mov_b32_e32 v10, 0
	s_and_saveexec_b32 s1, s0
	s_cbranch_execz .LBB18_17
; %bb.14:
	v_mad_u64_u32 v[4:5], null, v2, 10, 9
	v_mov_b32_e32 v7, 0
	v_mov_b32_e32 v9, 0
	;; [unrolled: 1-line block ×3, first 2 shown]
	s_mov_b32 s0, 0
.LBB18_15:                              ; =>This Inner Loop Header: Depth=1
	v_ashrrev_i32_e32 v3, 31, v2
	v_add_nc_u32_e32 v12, -4, v4
	v_mov_b32_e32 v13, v7
	v_mov_b32_e32 v14, v7
	v_lshlrev_b64 v[5:6], 2, v[2:3]
	v_add_nc_u32_e32 v2, 32, v2
	v_lshlrev_b64 v[12:13], 2, v[12:13]
	v_add_co_u32 v5, vcc_lo, s10, v5
	v_add_co_ci_u32_e64 v6, null, s11, v6, vcc_lo
	global_load_dword v3, v[5:6], off
	v_add_nc_u32_e32 v6, -9, v4
	v_mov_b32_e32 v5, v7
	v_lshlrev_b64 v[15:16], 2, v[6:7]
	v_lshlrev_b64 v[5:6], 2, v[4:5]
	v_add_co_u32 v15, vcc_lo, s12, v15
	v_add_co_ci_u32_e64 v16, null, s13, v16, vcc_lo
	v_add_co_u32 v12, vcc_lo, s12, v12
	v_add_co_ci_u32_e64 v13, null, s13, v13, vcc_lo
	s_clause 0x1
	global_load_dwordx2 v[15:16], v[15:16], off
	global_load_dword v8, v[12:13], off
	v_add_co_u32 v17, vcc_lo, s12, v5
	v_add_co_ci_u32_e64 v18, null, s13, v6, vcc_lo
	s_waitcnt vmcnt(2)
	v_subrev_nc_u32_e32 v3, s18, v3
	v_lshl_add_u32 v13, v3, 2, v3
	v_add_nc_u32_e32 v6, 1, v13
	v_lshlrev_b64 v[19:20], 2, v[13:14]
	v_lshlrev_b64 v[21:22], 2, v[6:7]
	v_add_nc_u32_e32 v6, -3, v4
	v_add_co_u32 v19, vcc_lo, s14, v19
	v_add_co_ci_u32_e64 v20, null, s15, v20, vcc_lo
	v_lshlrev_b64 v[23:24], 2, v[6:7]
	v_add_nc_u32_e32 v6, -7, v4
	global_load_dword v3, v[19:20], off
	v_add_co_u32 v19, vcc_lo, s14, v21
	v_add_co_ci_u32_e64 v20, null, s15, v22, vcc_lo
	v_lshlrev_b64 v[21:22], 2, v[6:7]
	v_add_nc_u32_e32 v6, 2, v13
	v_add_co_u32 v23, vcc_lo, s12, v23
	v_add_co_ci_u32_e64 v24, null, s13, v24, vcc_lo
	global_load_dword v14, v[19:20], off
	v_lshlrev_b64 v[19:20], 2, v[6:7]
	v_add_co_u32 v21, vcc_lo, s12, v21
	v_add_nc_u32_e32 v6, -2, v4
	v_add_co_ci_u32_e64 v22, null, s13, v22, vcc_lo
	v_add_co_u32 v19, vcc_lo, s14, v19
	s_clause 0x1
	global_load_dword v25, v[23:24], off
	global_load_dword v26, v[21:22], off
	v_lshlrev_b64 v[23:24], 2, v[6:7]
	v_add_co_ci_u32_e64 v20, null, s15, v20, vcc_lo
	v_add_nc_u32_e32 v6, -6, v4
	global_load_dword v27, v[19:20], off
	v_add_co_u32 v19, vcc_lo, s12, v23
	v_add_co_ci_u32_e64 v20, null, s13, v24, vcc_lo
	global_load_dword v28, v[19:20], off
	v_lshlrev_b64 v[21:22], 2, v[6:7]
	v_add_nc_u32_e32 v6, 3, v13
	v_lshlrev_b64 v[23:24], 2, v[6:7]
	v_add_nc_u32_e32 v6, -1, v4
	v_add_co_u32 v21, vcc_lo, s12, v21
	v_add_co_ci_u32_e64 v22, null, s13, v22, vcc_lo
	v_lshlrev_b64 v[19:20], 2, v[6:7]
	v_add_nc_u32_e32 v6, -5, v4
	v_add_nc_u32_e32 v4, 0x140, v4
	global_load_dword v29, v[21:22], off
	v_add_co_u32 v21, vcc_lo, s14, v23
	v_add_co_ci_u32_e64 v22, null, s15, v24, vcc_lo
	v_lshlrev_b64 v[23:24], 2, v[6:7]
	v_add_nc_u32_e32 v6, 4, v13
	v_add_co_u32 v12, vcc_lo, s12, v19
	v_add_co_ci_u32_e64 v13, null, s13, v20, vcc_lo
	v_lshlrev_b64 v[5:6], 2, v[6:7]
	global_load_dword v19, v[21:22], off
	global_load_dword v20, v[12:13], off
	v_add_co_u32 v12, vcc_lo, s12, v23
	v_add_co_ci_u32_e64 v13, null, s13, v24, vcc_lo
	v_add_co_u32 v5, vcc_lo, s14, v5
	v_add_co_ci_u32_e64 v6, null, s15, v6, vcc_lo
	s_clause 0x1
	global_load_dword v17, v[17:18], off
	global_load_dword v12, v[12:13], off
	;; [unrolled: 1-line block ×3, first 2 shown]
	v_cmp_ge_i32_e32 vcc_lo, v2, v11
	s_or_b32 s0, vcc_lo, s0
	s_waitcnt vmcnt(11)
	v_fmac_f32_e32 v9, v15, v3
	v_fmac_f32_e32 v10, v8, v3
	s_waitcnt vmcnt(10)
	v_fmac_f32_e32 v9, v16, v14
	s_waitcnt vmcnt(9)
	;; [unrolled: 2-line block ×7, first 2 shown]
	v_fmac_f32_e32 v9, v12, v5
	v_fmac_f32_e32 v10, v17, v5
	s_andn2_b32 exec_lo, exec_lo, s0
	s_cbranch_execnz .LBB18_15
; %bb.16:
	s_or_b32 exec_lo, exec_lo, s0
.LBB18_17:
	s_or_b32 exec_lo, exec_lo, s1
.LBB18_18:
	v_mbcnt_lo_u32_b32 v2, -1, 0
	s_mov_b32 s3, -1
	v_xor_b32_e32 v3, 16, v2
	v_xor_b32_e32 v5, 8, v2
	;; [unrolled: 1-line block ×3, first 2 shown]
	v_cmp_gt_i32_e32 vcc_lo, 32, v3
	v_cndmask_b32_e32 v3, v2, v3, vcc_lo
	v_cmp_gt_i32_e32 vcc_lo, 32, v5
	v_lshlrev_b32_e32 v3, 2, v3
	v_cndmask_b32_e32 v5, v2, v5, vcc_lo
	v_cmp_gt_i32_e32 vcc_lo, 32, v7
	ds_bpermute_b32 v4, v3, v9
	ds_bpermute_b32 v3, v3, v10
	v_lshlrev_b32_e32 v5, 2, v5
	v_cndmask_b32_e32 v7, v2, v7, vcc_lo
	v_lshlrev_b32_e32 v7, 2, v7
	s_waitcnt lgkmcnt(1)
	v_add_f32_e32 v4, v9, v4
	s_waitcnt lgkmcnt(0)
	v_add_f32_e32 v3, v10, v3
	ds_bpermute_b32 v6, v5, v4
	ds_bpermute_b32 v5, v5, v3
	s_waitcnt lgkmcnt(1)
	v_add_f32_e32 v4, v4, v6
	s_waitcnt lgkmcnt(0)
	v_add_f32_e32 v3, v3, v5
	ds_bpermute_b32 v5, v7, v4
	ds_bpermute_b32 v6, v7, v3
	v_xor_b32_e32 v7, 2, v2
	v_cmp_gt_i32_e32 vcc_lo, 32, v7
	v_cndmask_b32_e32 v7, v2, v7, vcc_lo
	v_lshlrev_b32_e32 v7, 2, v7
	s_waitcnt lgkmcnt(1)
	v_add_f32_e32 v4, v4, v5
	s_waitcnt lgkmcnt(0)
	v_add_f32_e32 v3, v3, v6
	ds_bpermute_b32 v5, v7, v4
	ds_bpermute_b32 v6, v7, v3
	v_xor_b32_e32 v7, 1, v2
	v_cmp_gt_i32_e32 vcc_lo, 32, v7
	v_cndmask_b32_e32 v2, v2, v7, vcc_lo
	v_cmp_eq_u32_e32 vcc_lo, 31, v0
	v_lshlrev_b32_e32 v7, 2, v2
	s_waitcnt lgkmcnt(1)
	v_add_f32_e32 v2, v4, v5
	s_waitcnt lgkmcnt(0)
	v_add_f32_e32 v3, v3, v6
	ds_bpermute_b32 v4, v7, v2
	ds_bpermute_b32 v5, v7, v3
	s_and_b32 exec_lo, exec_lo, vcc_lo
	s_cbranch_execz .LBB18_23
; %bb.19:
	s_load_dwordx2 s[0:1], s[4:5], 0x38
	s_waitcnt lgkmcnt(0)
	v_add_f32_e32 v0, v2, v4
	v_add_f32_e32 v3, v3, v5
	v_cmp_eq_f32_e64 s4, s2, 0
	v_mul_f32_e32 v2, s16, v0
	v_mul_f32_e32 v3, s16, v3
	v_lshlrev_b32_e32 v0, 1, v1
	s_and_b32 vcc_lo, exec_lo, s4
	s_cbranch_vccz .LBB18_21
; %bb.20:
	v_ashrrev_i32_e32 v1, 31, v0
	s_mov_b32 s3, 0
	v_lshlrev_b64 v[4:5], 2, v[0:1]
	v_add_co_u32 v4, vcc_lo, s0, v4
	v_add_co_ci_u32_e64 v5, null, s1, v5, vcc_lo
	global_store_dwordx2 v[4:5], v[2:3], off
.LBB18_21:
	s_andn2_b32 vcc_lo, exec_lo, s3
	s_cbranch_vccnz .LBB18_23
; %bb.22:
	v_ashrrev_i32_e32 v1, 31, v0
	v_lshlrev_b64 v[0:1], 2, v[0:1]
	v_add_co_u32 v0, vcc_lo, s0, v0
	v_add_co_ci_u32_e64 v1, null, s1, v1, vcc_lo
	global_load_dwordx2 v[4:5], v[0:1], off
	s_waitcnt vmcnt(0)
	v_fmac_f32_e32 v2, s2, v4
	v_fmac_f32_e32 v3, s2, v5
	global_store_dwordx2 v[0:1], v[2:3], off
.LBB18_23:
	s_endpgm
	.section	.rodata,"a",@progbits
	.p2align	6, 0x0
	.amdhsa_kernel _ZN9rocsparseL19gebsrmvn_2xn_kernelILj128ELj5ELj32EfEEvi20rocsparse_direction_NS_24const_host_device_scalarIT2_EEPKiS6_PKS3_S8_S4_PS3_21rocsparse_index_base_b
		.amdhsa_group_segment_fixed_size 0
		.amdhsa_private_segment_fixed_size 0
		.amdhsa_kernarg_size 72
		.amdhsa_user_sgpr_count 6
		.amdhsa_user_sgpr_private_segment_buffer 1
		.amdhsa_user_sgpr_dispatch_ptr 0
		.amdhsa_user_sgpr_queue_ptr 0
		.amdhsa_user_sgpr_kernarg_segment_ptr 1
		.amdhsa_user_sgpr_dispatch_id 0
		.amdhsa_user_sgpr_flat_scratch_init 0
		.amdhsa_user_sgpr_private_segment_size 0
		.amdhsa_wavefront_size32 1
		.amdhsa_uses_dynamic_stack 0
		.amdhsa_system_sgpr_private_segment_wavefront_offset 0
		.amdhsa_system_sgpr_workgroup_id_x 1
		.amdhsa_system_sgpr_workgroup_id_y 0
		.amdhsa_system_sgpr_workgroup_id_z 0
		.amdhsa_system_sgpr_workgroup_info 0
		.amdhsa_system_vgpr_workitem_id 0
		.amdhsa_next_free_vgpr 30
		.amdhsa_next_free_sgpr 20
		.amdhsa_reserve_vcc 1
		.amdhsa_reserve_flat_scratch 0
		.amdhsa_float_round_mode_32 0
		.amdhsa_float_round_mode_16_64 0
		.amdhsa_float_denorm_mode_32 3
		.amdhsa_float_denorm_mode_16_64 3
		.amdhsa_dx10_clamp 1
		.amdhsa_ieee_mode 1
		.amdhsa_fp16_overflow 0
		.amdhsa_workgroup_processor_mode 1
		.amdhsa_memory_ordered 1
		.amdhsa_forward_progress 1
		.amdhsa_shared_vgpr_count 0
		.amdhsa_exception_fp_ieee_invalid_op 0
		.amdhsa_exception_fp_denorm_src 0
		.amdhsa_exception_fp_ieee_div_zero 0
		.amdhsa_exception_fp_ieee_overflow 0
		.amdhsa_exception_fp_ieee_underflow 0
		.amdhsa_exception_fp_ieee_inexact 0
		.amdhsa_exception_int_div_zero 0
	.end_amdhsa_kernel
	.section	.text._ZN9rocsparseL19gebsrmvn_2xn_kernelILj128ELj5ELj32EfEEvi20rocsparse_direction_NS_24const_host_device_scalarIT2_EEPKiS6_PKS3_S8_S4_PS3_21rocsparse_index_base_b,"axG",@progbits,_ZN9rocsparseL19gebsrmvn_2xn_kernelILj128ELj5ELj32EfEEvi20rocsparse_direction_NS_24const_host_device_scalarIT2_EEPKiS6_PKS3_S8_S4_PS3_21rocsparse_index_base_b,comdat
.Lfunc_end18:
	.size	_ZN9rocsparseL19gebsrmvn_2xn_kernelILj128ELj5ELj32EfEEvi20rocsparse_direction_NS_24const_host_device_scalarIT2_EEPKiS6_PKS3_S8_S4_PS3_21rocsparse_index_base_b, .Lfunc_end18-_ZN9rocsparseL19gebsrmvn_2xn_kernelILj128ELj5ELj32EfEEvi20rocsparse_direction_NS_24const_host_device_scalarIT2_EEPKiS6_PKS3_S8_S4_PS3_21rocsparse_index_base_b
                                        ; -- End function
	.set _ZN9rocsparseL19gebsrmvn_2xn_kernelILj128ELj5ELj32EfEEvi20rocsparse_direction_NS_24const_host_device_scalarIT2_EEPKiS6_PKS3_S8_S4_PS3_21rocsparse_index_base_b.num_vgpr, 30
	.set _ZN9rocsparseL19gebsrmvn_2xn_kernelILj128ELj5ELj32EfEEvi20rocsparse_direction_NS_24const_host_device_scalarIT2_EEPKiS6_PKS3_S8_S4_PS3_21rocsparse_index_base_b.num_agpr, 0
	.set _ZN9rocsparseL19gebsrmvn_2xn_kernelILj128ELj5ELj32EfEEvi20rocsparse_direction_NS_24const_host_device_scalarIT2_EEPKiS6_PKS3_S8_S4_PS3_21rocsparse_index_base_b.numbered_sgpr, 20
	.set _ZN9rocsparseL19gebsrmvn_2xn_kernelILj128ELj5ELj32EfEEvi20rocsparse_direction_NS_24const_host_device_scalarIT2_EEPKiS6_PKS3_S8_S4_PS3_21rocsparse_index_base_b.num_named_barrier, 0
	.set _ZN9rocsparseL19gebsrmvn_2xn_kernelILj128ELj5ELj32EfEEvi20rocsparse_direction_NS_24const_host_device_scalarIT2_EEPKiS6_PKS3_S8_S4_PS3_21rocsparse_index_base_b.private_seg_size, 0
	.set _ZN9rocsparseL19gebsrmvn_2xn_kernelILj128ELj5ELj32EfEEvi20rocsparse_direction_NS_24const_host_device_scalarIT2_EEPKiS6_PKS3_S8_S4_PS3_21rocsparse_index_base_b.uses_vcc, 1
	.set _ZN9rocsparseL19gebsrmvn_2xn_kernelILj128ELj5ELj32EfEEvi20rocsparse_direction_NS_24const_host_device_scalarIT2_EEPKiS6_PKS3_S8_S4_PS3_21rocsparse_index_base_b.uses_flat_scratch, 0
	.set _ZN9rocsparseL19gebsrmvn_2xn_kernelILj128ELj5ELj32EfEEvi20rocsparse_direction_NS_24const_host_device_scalarIT2_EEPKiS6_PKS3_S8_S4_PS3_21rocsparse_index_base_b.has_dyn_sized_stack, 0
	.set _ZN9rocsparseL19gebsrmvn_2xn_kernelILj128ELj5ELj32EfEEvi20rocsparse_direction_NS_24const_host_device_scalarIT2_EEPKiS6_PKS3_S8_S4_PS3_21rocsparse_index_base_b.has_recursion, 0
	.set _ZN9rocsparseL19gebsrmvn_2xn_kernelILj128ELj5ELj32EfEEvi20rocsparse_direction_NS_24const_host_device_scalarIT2_EEPKiS6_PKS3_S8_S4_PS3_21rocsparse_index_base_b.has_indirect_call, 0
	.section	.AMDGPU.csdata,"",@progbits
; Kernel info:
; codeLenInByte = 1920
; TotalNumSgprs: 22
; NumVgprs: 30
; ScratchSize: 0
; MemoryBound: 0
; FloatMode: 240
; IeeeMode: 1
; LDSByteSize: 0 bytes/workgroup (compile time only)
; SGPRBlocks: 0
; VGPRBlocks: 3
; NumSGPRsForWavesPerEU: 22
; NumVGPRsForWavesPerEU: 30
; Occupancy: 16
; WaveLimiterHint : 1
; COMPUTE_PGM_RSRC2:SCRATCH_EN: 0
; COMPUTE_PGM_RSRC2:USER_SGPR: 6
; COMPUTE_PGM_RSRC2:TRAP_HANDLER: 0
; COMPUTE_PGM_RSRC2:TGID_X_EN: 1
; COMPUTE_PGM_RSRC2:TGID_Y_EN: 0
; COMPUTE_PGM_RSRC2:TGID_Z_EN: 0
; COMPUTE_PGM_RSRC2:TIDIG_COMP_CNT: 0
	.section	.text._ZN9rocsparseL19gebsrmvn_2xn_kernelILj128ELj5ELj64EfEEvi20rocsparse_direction_NS_24const_host_device_scalarIT2_EEPKiS6_PKS3_S8_S4_PS3_21rocsparse_index_base_b,"axG",@progbits,_ZN9rocsparseL19gebsrmvn_2xn_kernelILj128ELj5ELj64EfEEvi20rocsparse_direction_NS_24const_host_device_scalarIT2_EEPKiS6_PKS3_S8_S4_PS3_21rocsparse_index_base_b,comdat
	.globl	_ZN9rocsparseL19gebsrmvn_2xn_kernelILj128ELj5ELj64EfEEvi20rocsparse_direction_NS_24const_host_device_scalarIT2_EEPKiS6_PKS3_S8_S4_PS3_21rocsparse_index_base_b ; -- Begin function _ZN9rocsparseL19gebsrmvn_2xn_kernelILj128ELj5ELj64EfEEvi20rocsparse_direction_NS_24const_host_device_scalarIT2_EEPKiS6_PKS3_S8_S4_PS3_21rocsparse_index_base_b
	.p2align	8
	.type	_ZN9rocsparseL19gebsrmvn_2xn_kernelILj128ELj5ELj64EfEEvi20rocsparse_direction_NS_24const_host_device_scalarIT2_EEPKiS6_PKS3_S8_S4_PS3_21rocsparse_index_base_b,@function
_ZN9rocsparseL19gebsrmvn_2xn_kernelILj128ELj5ELj64EfEEvi20rocsparse_direction_NS_24const_host_device_scalarIT2_EEPKiS6_PKS3_S8_S4_PS3_21rocsparse_index_base_b: ; @_ZN9rocsparseL19gebsrmvn_2xn_kernelILj128ELj5ELj64EfEEvi20rocsparse_direction_NS_24const_host_device_scalarIT2_EEPKiS6_PKS3_S8_S4_PS3_21rocsparse_index_base_b
; %bb.0:
	s_clause 0x2
	s_load_dwordx2 s[18:19], s[4:5], 0x40
	s_load_dwordx2 s[16:17], s[4:5], 0x8
	;; [unrolled: 1-line block ×3, first 2 shown]
	s_waitcnt lgkmcnt(0)
	s_bitcmp1_b32 s19, 0
	s_cselect_b32 s0, -1, 0
	s_and_b32 vcc_lo, exec_lo, s0
	s_xor_b32 s0, s0, -1
	s_cbranch_vccnz .LBB19_2
; %bb.1:
	s_load_dword s16, s[16:17], 0x0
.LBB19_2:
	s_andn2_b32 vcc_lo, exec_lo, s0
	s_cbranch_vccnz .LBB19_4
; %bb.3:
	s_load_dword s2, s[2:3], 0x0
.LBB19_4:
	s_waitcnt lgkmcnt(0)
	v_cmp_eq_f32_e64 s0, s16, 0
	v_cmp_eq_f32_e64 s1, s2, 1.0
	s_and_b32 s0, s0, s1
	s_and_b32 vcc_lo, exec_lo, s0
	s_cbranch_vccnz .LBB19_23
; %bb.5:
	s_load_dwordx2 s[0:1], s[4:5], 0x0
	v_lshrrev_b32_e32 v1, 6, v0
	v_lshl_or_b32 v1, s6, 1, v1
	s_waitcnt lgkmcnt(0)
	v_cmp_gt_i32_e32 vcc_lo, s0, v1
	s_and_saveexec_b32 s0, vcc_lo
	s_cbranch_execz .LBB19_23
; %bb.6:
	s_load_dwordx8 s[8:15], s[4:5], 0x10
	v_ashrrev_i32_e32 v2, 31, v1
	v_and_b32_e32 v0, 63, v0
	s_cmp_lg_u32 s1, 0
	v_lshlrev_b64 v[2:3], 2, v[1:2]
	s_waitcnt lgkmcnt(0)
	v_add_co_u32 v2, vcc_lo, s8, v2
	v_add_co_ci_u32_e64 v3, null, s9, v3, vcc_lo
	global_load_dwordx2 v[2:3], v[2:3], off
	s_waitcnt vmcnt(0)
	v_subrev_nc_u32_e32 v2, s18, v2
	v_subrev_nc_u32_e32 v11, s18, v3
	v_add_nc_u32_e32 v2, v2, v0
	v_cmp_lt_i32_e64 s0, v2, v11
	s_cbranch_scc0 .LBB19_12
; %bb.7:
	v_mov_b32_e32 v9, 0
	v_mov_b32_e32 v10, 0
	s_and_saveexec_b32 s1, s0
	s_cbranch_execz .LBB19_11
; %bb.8:
	v_mad_u64_u32 v[3:4], null, v2, 10, 8
	v_mov_b32_e32 v6, 0
	v_mov_b32_e32 v7, v2
	;; [unrolled: 1-line block ×4, first 2 shown]
	s_mov_b32 s3, 0
.LBB19_9:                               ; =>This Inner Loop Header: Depth=1
	v_ashrrev_i32_e32 v8, 31, v7
	v_mov_b32_e32 v13, v6
	v_lshlrev_b64 v[4:5], 2, v[7:8]
	v_add_nc_u32_e32 v7, 64, v7
	v_add_co_u32 v4, vcc_lo, s10, v4
	v_add_co_ci_u32_e64 v5, null, s11, v5, vcc_lo
	global_load_dword v8, v[4:5], off
	v_add_nc_u32_e32 v5, -8, v3
	v_mov_b32_e32 v4, v6
	v_lshlrev_b64 v[14:15], 2, v[5:6]
	v_add_nc_u32_e32 v5, -6, v3
	v_lshlrev_b64 v[16:17], 2, v[3:4]
	v_lshlrev_b64 v[4:5], 2, v[5:6]
	v_add_co_u32 v14, vcc_lo, s12, v14
	v_add_co_ci_u32_e64 v15, null, s13, v15, vcc_lo
	v_add_co_u32 v16, vcc_lo, s12, v16
	v_add_co_ci_u32_e64 v17, null, s13, v17, vcc_lo
	;; [unrolled: 2-line block ×3, first 2 shown]
	s_clause 0x1
	global_load_dwordx2 v[14:15], v[14:15], off
	global_load_dwordx2 v[18:19], v[4:5], off
	s_waitcnt vmcnt(2)
	v_subrev_nc_u32_e32 v4, s18, v8
	v_lshl_add_u32 v12, v4, 2, v4
	v_add_nc_u32_e32 v5, 1, v12
	v_lshlrev_b64 v[20:21], 2, v[12:13]
	v_lshlrev_b64 v[22:23], 2, v[5:6]
	v_add_nc_u32_e32 v5, -4, v3
	v_add_co_u32 v20, vcc_lo, s14, v20
	v_add_co_ci_u32_e64 v21, null, s15, v21, vcc_lo
	v_add_co_u32 v22, vcc_lo, s14, v22
	v_lshlrev_b64 v[24:25], 2, v[5:6]
	v_add_nc_u32_e32 v5, 2, v12
	v_add_co_ci_u32_e64 v23, null, s15, v23, vcc_lo
	s_clause 0x1
	global_load_dword v8, v[20:21], off
	global_load_dword v28, v[22:23], off
	v_lshlrev_b64 v[20:21], 2, v[5:6]
	v_add_nc_u32_e32 v5, -2, v3
	v_add_co_u32 v22, vcc_lo, s12, v24
	v_add_co_ci_u32_e64 v23, null, s13, v25, vcc_lo
	v_lshlrev_b64 v[24:25], 2, v[5:6]
	v_add_nc_u32_e32 v5, 3, v12
	v_add_co_u32 v20, vcc_lo, s14, v20
	v_add_co_ci_u32_e64 v21, null, s15, v21, vcc_lo
	v_lshlrev_b64 v[26:27], 2, v[5:6]
	v_add_nc_u32_e32 v5, 4, v12
	v_add_co_u32 v12, vcc_lo, s12, v24
	global_load_dword v29, v[20:21], off
	v_add_co_ci_u32_e64 v13, null, s13, v25, vcc_lo
	v_lshlrev_b64 v[4:5], 2, v[5:6]
	v_add_co_u32 v20, vcc_lo, s14, v26
	global_load_dwordx2 v[22:23], v[22:23], off
	v_add_co_ci_u32_e64 v21, null, s15, v27, vcc_lo
	v_add_co_u32 v4, vcc_lo, s14, v4
	global_load_dwordx2 v[12:13], v[12:13], off
	global_load_dword v20, v[20:21], off
	v_add_co_ci_u32_e64 v5, null, s15, v5, vcc_lo
	global_load_dwordx2 v[16:17], v[16:17], off
	global_load_dword v4, v[4:5], off
	v_cmp_ge_i32_e32 vcc_lo, v7, v11
	v_add_nc_u32_e32 v3, 0x280, v3
	s_or_b32 s3, vcc_lo, s3
	s_waitcnt vmcnt(7)
	v_fmac_f32_e32 v9, v14, v8
	v_fmac_f32_e32 v10, v15, v8
	s_waitcnt vmcnt(6)
	v_fmac_f32_e32 v9, v18, v28
	v_fmac_f32_e32 v10, v19, v28
	;; [unrolled: 3-line block ×5, first 2 shown]
	s_andn2_b32 exec_lo, exec_lo, s3
	s_cbranch_execnz .LBB19_9
; %bb.10:
	s_or_b32 exec_lo, exec_lo, s3
.LBB19_11:
	s_or_b32 exec_lo, exec_lo, s1
	s_cbranch_execz .LBB19_13
	s_branch .LBB19_18
.LBB19_12:
                                        ; implicit-def: $vgpr9
                                        ; implicit-def: $vgpr10
.LBB19_13:
	v_mov_b32_e32 v9, 0
	v_mov_b32_e32 v10, 0
	s_and_saveexec_b32 s1, s0
	s_cbranch_execz .LBB19_17
; %bb.14:
	v_mad_u64_u32 v[4:5], null, v2, 10, 9
	v_mov_b32_e32 v7, 0
	v_mov_b32_e32 v9, 0
	;; [unrolled: 1-line block ×3, first 2 shown]
	s_mov_b32 s0, 0
.LBB19_15:                              ; =>This Inner Loop Header: Depth=1
	v_ashrrev_i32_e32 v3, 31, v2
	v_add_nc_u32_e32 v12, -4, v4
	v_mov_b32_e32 v13, v7
	v_mov_b32_e32 v14, v7
	v_lshlrev_b64 v[5:6], 2, v[2:3]
	v_add_nc_u32_e32 v2, 64, v2
	v_lshlrev_b64 v[12:13], 2, v[12:13]
	v_add_co_u32 v5, vcc_lo, s10, v5
	v_add_co_ci_u32_e64 v6, null, s11, v6, vcc_lo
	global_load_dword v3, v[5:6], off
	v_add_nc_u32_e32 v6, -9, v4
	v_mov_b32_e32 v5, v7
	v_lshlrev_b64 v[15:16], 2, v[6:7]
	v_lshlrev_b64 v[5:6], 2, v[4:5]
	v_add_co_u32 v15, vcc_lo, s12, v15
	v_add_co_ci_u32_e64 v16, null, s13, v16, vcc_lo
	v_add_co_u32 v12, vcc_lo, s12, v12
	v_add_co_ci_u32_e64 v13, null, s13, v13, vcc_lo
	s_clause 0x1
	global_load_dwordx2 v[15:16], v[15:16], off
	global_load_dword v8, v[12:13], off
	v_add_co_u32 v17, vcc_lo, s12, v5
	v_add_co_ci_u32_e64 v18, null, s13, v6, vcc_lo
	s_waitcnt vmcnt(2)
	v_subrev_nc_u32_e32 v3, s18, v3
	v_lshl_add_u32 v13, v3, 2, v3
	v_add_nc_u32_e32 v6, 1, v13
	v_lshlrev_b64 v[19:20], 2, v[13:14]
	v_lshlrev_b64 v[21:22], 2, v[6:7]
	v_add_nc_u32_e32 v6, -3, v4
	v_add_co_u32 v19, vcc_lo, s14, v19
	v_add_co_ci_u32_e64 v20, null, s15, v20, vcc_lo
	v_lshlrev_b64 v[23:24], 2, v[6:7]
	v_add_nc_u32_e32 v6, -7, v4
	global_load_dword v3, v[19:20], off
	v_add_co_u32 v19, vcc_lo, s14, v21
	v_add_co_ci_u32_e64 v20, null, s15, v22, vcc_lo
	v_lshlrev_b64 v[21:22], 2, v[6:7]
	v_add_nc_u32_e32 v6, 2, v13
	v_add_co_u32 v23, vcc_lo, s12, v23
	v_add_co_ci_u32_e64 v24, null, s13, v24, vcc_lo
	global_load_dword v14, v[19:20], off
	v_lshlrev_b64 v[19:20], 2, v[6:7]
	v_add_co_u32 v21, vcc_lo, s12, v21
	v_add_nc_u32_e32 v6, -2, v4
	v_add_co_ci_u32_e64 v22, null, s13, v22, vcc_lo
	v_add_co_u32 v19, vcc_lo, s14, v19
	s_clause 0x1
	global_load_dword v25, v[23:24], off
	global_load_dword v26, v[21:22], off
	v_lshlrev_b64 v[23:24], 2, v[6:7]
	v_add_co_ci_u32_e64 v20, null, s15, v20, vcc_lo
	v_add_nc_u32_e32 v6, -6, v4
	global_load_dword v27, v[19:20], off
	v_add_co_u32 v19, vcc_lo, s12, v23
	v_add_co_ci_u32_e64 v20, null, s13, v24, vcc_lo
	global_load_dword v28, v[19:20], off
	v_lshlrev_b64 v[21:22], 2, v[6:7]
	v_add_nc_u32_e32 v6, 3, v13
	v_lshlrev_b64 v[23:24], 2, v[6:7]
	v_add_nc_u32_e32 v6, -1, v4
	v_add_co_u32 v21, vcc_lo, s12, v21
	v_add_co_ci_u32_e64 v22, null, s13, v22, vcc_lo
	v_lshlrev_b64 v[19:20], 2, v[6:7]
	v_add_nc_u32_e32 v6, -5, v4
	v_add_nc_u32_e32 v4, 0x280, v4
	global_load_dword v29, v[21:22], off
	v_add_co_u32 v21, vcc_lo, s14, v23
	v_add_co_ci_u32_e64 v22, null, s15, v24, vcc_lo
	v_lshlrev_b64 v[23:24], 2, v[6:7]
	v_add_nc_u32_e32 v6, 4, v13
	v_add_co_u32 v12, vcc_lo, s12, v19
	v_add_co_ci_u32_e64 v13, null, s13, v20, vcc_lo
	v_lshlrev_b64 v[5:6], 2, v[6:7]
	global_load_dword v19, v[21:22], off
	global_load_dword v20, v[12:13], off
	v_add_co_u32 v12, vcc_lo, s12, v23
	v_add_co_ci_u32_e64 v13, null, s13, v24, vcc_lo
	v_add_co_u32 v5, vcc_lo, s14, v5
	v_add_co_ci_u32_e64 v6, null, s15, v6, vcc_lo
	s_clause 0x1
	global_load_dword v17, v[17:18], off
	global_load_dword v12, v[12:13], off
	;; [unrolled: 1-line block ×3, first 2 shown]
	v_cmp_ge_i32_e32 vcc_lo, v2, v11
	s_or_b32 s0, vcc_lo, s0
	s_waitcnt vmcnt(11)
	v_fmac_f32_e32 v9, v15, v3
	v_fmac_f32_e32 v10, v8, v3
	s_waitcnt vmcnt(10)
	v_fmac_f32_e32 v9, v16, v14
	s_waitcnt vmcnt(9)
	;; [unrolled: 2-line block ×7, first 2 shown]
	v_fmac_f32_e32 v9, v12, v5
	v_fmac_f32_e32 v10, v17, v5
	s_andn2_b32 exec_lo, exec_lo, s0
	s_cbranch_execnz .LBB19_15
; %bb.16:
	s_or_b32 exec_lo, exec_lo, s0
.LBB19_17:
	s_or_b32 exec_lo, exec_lo, s1
.LBB19_18:
	v_mbcnt_lo_u32_b32 v2, -1, 0
	s_mov_b32 s3, -1
	v_or_b32_e32 v3, 32, v2
	v_xor_b32_e32 v5, 16, v2
	v_xor_b32_e32 v7, 8, v2
	v_cmp_gt_i32_e32 vcc_lo, 32, v3
	v_cndmask_b32_e32 v3, v2, v3, vcc_lo
	v_cmp_gt_i32_e32 vcc_lo, 32, v5
	v_lshlrev_b32_e32 v3, 2, v3
	v_cndmask_b32_e32 v5, v2, v5, vcc_lo
	v_cmp_gt_i32_e32 vcc_lo, 32, v7
	ds_bpermute_b32 v4, v3, v9
	ds_bpermute_b32 v3, v3, v10
	v_lshlrev_b32_e32 v5, 2, v5
	v_cndmask_b32_e32 v7, v2, v7, vcc_lo
	v_lshlrev_b32_e32 v7, 2, v7
	s_waitcnt lgkmcnt(1)
	v_add_f32_e32 v4, v9, v4
	s_waitcnt lgkmcnt(0)
	v_add_f32_e32 v3, v10, v3
	ds_bpermute_b32 v6, v5, v4
	ds_bpermute_b32 v5, v5, v3
	s_waitcnt lgkmcnt(1)
	v_add_f32_e32 v4, v4, v6
	s_waitcnt lgkmcnt(0)
	v_add_f32_e32 v3, v3, v5
	ds_bpermute_b32 v5, v7, v4
	ds_bpermute_b32 v6, v7, v3
	v_xor_b32_e32 v7, 4, v2
	v_cmp_gt_i32_e32 vcc_lo, 32, v7
	v_cndmask_b32_e32 v7, v2, v7, vcc_lo
	v_lshlrev_b32_e32 v7, 2, v7
	s_waitcnt lgkmcnt(1)
	v_add_f32_e32 v4, v4, v5
	s_waitcnt lgkmcnt(0)
	v_add_f32_e32 v3, v3, v6
	ds_bpermute_b32 v5, v7, v4
	ds_bpermute_b32 v6, v7, v3
	v_xor_b32_e32 v7, 2, v2
	v_cmp_gt_i32_e32 vcc_lo, 32, v7
	v_cndmask_b32_e32 v7, v2, v7, vcc_lo
	v_lshlrev_b32_e32 v7, 2, v7
	s_waitcnt lgkmcnt(1)
	v_add_f32_e32 v4, v4, v5
	s_waitcnt lgkmcnt(0)
	v_add_f32_e32 v3, v3, v6
	ds_bpermute_b32 v5, v7, v4
	ds_bpermute_b32 v6, v7, v3
	v_xor_b32_e32 v7, 1, v2
	v_cmp_gt_i32_e32 vcc_lo, 32, v7
	v_cndmask_b32_e32 v2, v2, v7, vcc_lo
	v_cmp_eq_u32_e32 vcc_lo, 63, v0
	v_lshlrev_b32_e32 v7, 2, v2
	s_waitcnt lgkmcnt(1)
	v_add_f32_e32 v2, v4, v5
	s_waitcnt lgkmcnt(0)
	v_add_f32_e32 v3, v3, v6
	ds_bpermute_b32 v4, v7, v2
	ds_bpermute_b32 v5, v7, v3
	s_and_b32 exec_lo, exec_lo, vcc_lo
	s_cbranch_execz .LBB19_23
; %bb.19:
	s_load_dwordx2 s[0:1], s[4:5], 0x38
	s_waitcnt lgkmcnt(0)
	v_add_f32_e32 v0, v2, v4
	v_add_f32_e32 v3, v3, v5
	v_cmp_eq_f32_e64 s4, s2, 0
	v_mul_f32_e32 v2, s16, v0
	v_mul_f32_e32 v3, s16, v3
	v_lshlrev_b32_e32 v0, 1, v1
	s_and_b32 vcc_lo, exec_lo, s4
	s_cbranch_vccz .LBB19_21
; %bb.20:
	v_ashrrev_i32_e32 v1, 31, v0
	s_mov_b32 s3, 0
	v_lshlrev_b64 v[4:5], 2, v[0:1]
	v_add_co_u32 v4, vcc_lo, s0, v4
	v_add_co_ci_u32_e64 v5, null, s1, v5, vcc_lo
	global_store_dwordx2 v[4:5], v[2:3], off
.LBB19_21:
	s_andn2_b32 vcc_lo, exec_lo, s3
	s_cbranch_vccnz .LBB19_23
; %bb.22:
	v_ashrrev_i32_e32 v1, 31, v0
	v_lshlrev_b64 v[0:1], 2, v[0:1]
	v_add_co_u32 v0, vcc_lo, s0, v0
	v_add_co_ci_u32_e64 v1, null, s1, v1, vcc_lo
	global_load_dwordx2 v[4:5], v[0:1], off
	s_waitcnt vmcnt(0)
	v_fmac_f32_e32 v2, s2, v4
	v_fmac_f32_e32 v3, s2, v5
	global_store_dwordx2 v[0:1], v[2:3], off
.LBB19_23:
	s_endpgm
	.section	.rodata,"a",@progbits
	.p2align	6, 0x0
	.amdhsa_kernel _ZN9rocsparseL19gebsrmvn_2xn_kernelILj128ELj5ELj64EfEEvi20rocsparse_direction_NS_24const_host_device_scalarIT2_EEPKiS6_PKS3_S8_S4_PS3_21rocsparse_index_base_b
		.amdhsa_group_segment_fixed_size 0
		.amdhsa_private_segment_fixed_size 0
		.amdhsa_kernarg_size 72
		.amdhsa_user_sgpr_count 6
		.amdhsa_user_sgpr_private_segment_buffer 1
		.amdhsa_user_sgpr_dispatch_ptr 0
		.amdhsa_user_sgpr_queue_ptr 0
		.amdhsa_user_sgpr_kernarg_segment_ptr 1
		.amdhsa_user_sgpr_dispatch_id 0
		.amdhsa_user_sgpr_flat_scratch_init 0
		.amdhsa_user_sgpr_private_segment_size 0
		.amdhsa_wavefront_size32 1
		.amdhsa_uses_dynamic_stack 0
		.amdhsa_system_sgpr_private_segment_wavefront_offset 0
		.amdhsa_system_sgpr_workgroup_id_x 1
		.amdhsa_system_sgpr_workgroup_id_y 0
		.amdhsa_system_sgpr_workgroup_id_z 0
		.amdhsa_system_sgpr_workgroup_info 0
		.amdhsa_system_vgpr_workitem_id 0
		.amdhsa_next_free_vgpr 30
		.amdhsa_next_free_sgpr 20
		.amdhsa_reserve_vcc 1
		.amdhsa_reserve_flat_scratch 0
		.amdhsa_float_round_mode_32 0
		.amdhsa_float_round_mode_16_64 0
		.amdhsa_float_denorm_mode_32 3
		.amdhsa_float_denorm_mode_16_64 3
		.amdhsa_dx10_clamp 1
		.amdhsa_ieee_mode 1
		.amdhsa_fp16_overflow 0
		.amdhsa_workgroup_processor_mode 1
		.amdhsa_memory_ordered 1
		.amdhsa_forward_progress 1
		.amdhsa_shared_vgpr_count 0
		.amdhsa_exception_fp_ieee_invalid_op 0
		.amdhsa_exception_fp_denorm_src 0
		.amdhsa_exception_fp_ieee_div_zero 0
		.amdhsa_exception_fp_ieee_overflow 0
		.amdhsa_exception_fp_ieee_underflow 0
		.amdhsa_exception_fp_ieee_inexact 0
		.amdhsa_exception_int_div_zero 0
	.end_amdhsa_kernel
	.section	.text._ZN9rocsparseL19gebsrmvn_2xn_kernelILj128ELj5ELj64EfEEvi20rocsparse_direction_NS_24const_host_device_scalarIT2_EEPKiS6_PKS3_S8_S4_PS3_21rocsparse_index_base_b,"axG",@progbits,_ZN9rocsparseL19gebsrmvn_2xn_kernelILj128ELj5ELj64EfEEvi20rocsparse_direction_NS_24const_host_device_scalarIT2_EEPKiS6_PKS3_S8_S4_PS3_21rocsparse_index_base_b,comdat
.Lfunc_end19:
	.size	_ZN9rocsparseL19gebsrmvn_2xn_kernelILj128ELj5ELj64EfEEvi20rocsparse_direction_NS_24const_host_device_scalarIT2_EEPKiS6_PKS3_S8_S4_PS3_21rocsparse_index_base_b, .Lfunc_end19-_ZN9rocsparseL19gebsrmvn_2xn_kernelILj128ELj5ELj64EfEEvi20rocsparse_direction_NS_24const_host_device_scalarIT2_EEPKiS6_PKS3_S8_S4_PS3_21rocsparse_index_base_b
                                        ; -- End function
	.set _ZN9rocsparseL19gebsrmvn_2xn_kernelILj128ELj5ELj64EfEEvi20rocsparse_direction_NS_24const_host_device_scalarIT2_EEPKiS6_PKS3_S8_S4_PS3_21rocsparse_index_base_b.num_vgpr, 30
	.set _ZN9rocsparseL19gebsrmvn_2xn_kernelILj128ELj5ELj64EfEEvi20rocsparse_direction_NS_24const_host_device_scalarIT2_EEPKiS6_PKS3_S8_S4_PS3_21rocsparse_index_base_b.num_agpr, 0
	.set _ZN9rocsparseL19gebsrmvn_2xn_kernelILj128ELj5ELj64EfEEvi20rocsparse_direction_NS_24const_host_device_scalarIT2_EEPKiS6_PKS3_S8_S4_PS3_21rocsparse_index_base_b.numbered_sgpr, 20
	.set _ZN9rocsparseL19gebsrmvn_2xn_kernelILj128ELj5ELj64EfEEvi20rocsparse_direction_NS_24const_host_device_scalarIT2_EEPKiS6_PKS3_S8_S4_PS3_21rocsparse_index_base_b.num_named_barrier, 0
	.set _ZN9rocsparseL19gebsrmvn_2xn_kernelILj128ELj5ELj64EfEEvi20rocsparse_direction_NS_24const_host_device_scalarIT2_EEPKiS6_PKS3_S8_S4_PS3_21rocsparse_index_base_b.private_seg_size, 0
	.set _ZN9rocsparseL19gebsrmvn_2xn_kernelILj128ELj5ELj64EfEEvi20rocsparse_direction_NS_24const_host_device_scalarIT2_EEPKiS6_PKS3_S8_S4_PS3_21rocsparse_index_base_b.uses_vcc, 1
	.set _ZN9rocsparseL19gebsrmvn_2xn_kernelILj128ELj5ELj64EfEEvi20rocsparse_direction_NS_24const_host_device_scalarIT2_EEPKiS6_PKS3_S8_S4_PS3_21rocsparse_index_base_b.uses_flat_scratch, 0
	.set _ZN9rocsparseL19gebsrmvn_2xn_kernelILj128ELj5ELj64EfEEvi20rocsparse_direction_NS_24const_host_device_scalarIT2_EEPKiS6_PKS3_S8_S4_PS3_21rocsparse_index_base_b.has_dyn_sized_stack, 0
	.set _ZN9rocsparseL19gebsrmvn_2xn_kernelILj128ELj5ELj64EfEEvi20rocsparse_direction_NS_24const_host_device_scalarIT2_EEPKiS6_PKS3_S8_S4_PS3_21rocsparse_index_base_b.has_recursion, 0
	.set _ZN9rocsparseL19gebsrmvn_2xn_kernelILj128ELj5ELj64EfEEvi20rocsparse_direction_NS_24const_host_device_scalarIT2_EEPKiS6_PKS3_S8_S4_PS3_21rocsparse_index_base_b.has_indirect_call, 0
	.section	.AMDGPU.csdata,"",@progbits
; Kernel info:
; codeLenInByte = 1968
; TotalNumSgprs: 22
; NumVgprs: 30
; ScratchSize: 0
; MemoryBound: 0
; FloatMode: 240
; IeeeMode: 1
; LDSByteSize: 0 bytes/workgroup (compile time only)
; SGPRBlocks: 0
; VGPRBlocks: 3
; NumSGPRsForWavesPerEU: 22
; NumVGPRsForWavesPerEU: 30
; Occupancy: 16
; WaveLimiterHint : 1
; COMPUTE_PGM_RSRC2:SCRATCH_EN: 0
; COMPUTE_PGM_RSRC2:USER_SGPR: 6
; COMPUTE_PGM_RSRC2:TRAP_HANDLER: 0
; COMPUTE_PGM_RSRC2:TGID_X_EN: 1
; COMPUTE_PGM_RSRC2:TGID_Y_EN: 0
; COMPUTE_PGM_RSRC2:TGID_Z_EN: 0
; COMPUTE_PGM_RSRC2:TIDIG_COMP_CNT: 0
	.section	.text._ZN9rocsparseL19gebsrmvn_2xn_kernelILj128ELj6ELj4EfEEvi20rocsparse_direction_NS_24const_host_device_scalarIT2_EEPKiS6_PKS3_S8_S4_PS3_21rocsparse_index_base_b,"axG",@progbits,_ZN9rocsparseL19gebsrmvn_2xn_kernelILj128ELj6ELj4EfEEvi20rocsparse_direction_NS_24const_host_device_scalarIT2_EEPKiS6_PKS3_S8_S4_PS3_21rocsparse_index_base_b,comdat
	.globl	_ZN9rocsparseL19gebsrmvn_2xn_kernelILj128ELj6ELj4EfEEvi20rocsparse_direction_NS_24const_host_device_scalarIT2_EEPKiS6_PKS3_S8_S4_PS3_21rocsparse_index_base_b ; -- Begin function _ZN9rocsparseL19gebsrmvn_2xn_kernelILj128ELj6ELj4EfEEvi20rocsparse_direction_NS_24const_host_device_scalarIT2_EEPKiS6_PKS3_S8_S4_PS3_21rocsparse_index_base_b
	.p2align	8
	.type	_ZN9rocsparseL19gebsrmvn_2xn_kernelILj128ELj6ELj4EfEEvi20rocsparse_direction_NS_24const_host_device_scalarIT2_EEPKiS6_PKS3_S8_S4_PS3_21rocsparse_index_base_b,@function
_ZN9rocsparseL19gebsrmvn_2xn_kernelILj128ELj6ELj4EfEEvi20rocsparse_direction_NS_24const_host_device_scalarIT2_EEPKiS6_PKS3_S8_S4_PS3_21rocsparse_index_base_b: ; @_ZN9rocsparseL19gebsrmvn_2xn_kernelILj128ELj6ELj4EfEEvi20rocsparse_direction_NS_24const_host_device_scalarIT2_EEPKiS6_PKS3_S8_S4_PS3_21rocsparse_index_base_b
; %bb.0:
	s_clause 0x2
	s_load_dwordx2 s[18:19], s[4:5], 0x40
	s_load_dwordx2 s[16:17], s[4:5], 0x8
	;; [unrolled: 1-line block ×3, first 2 shown]
	s_waitcnt lgkmcnt(0)
	s_bitcmp1_b32 s19, 0
	s_cselect_b32 s0, -1, 0
	s_and_b32 vcc_lo, exec_lo, s0
	s_xor_b32 s0, s0, -1
	s_cbranch_vccnz .LBB20_2
; %bb.1:
	s_load_dword s16, s[16:17], 0x0
.LBB20_2:
	s_andn2_b32 vcc_lo, exec_lo, s0
	s_cbranch_vccnz .LBB20_4
; %bb.3:
	s_load_dword s2, s[2:3], 0x0
.LBB20_4:
	s_waitcnt lgkmcnt(0)
	v_cmp_eq_f32_e64 s0, s16, 0
	v_cmp_eq_f32_e64 s1, s2, 1.0
	s_and_b32 s0, s0, s1
	s_and_b32 vcc_lo, exec_lo, s0
	s_cbranch_vccnz .LBB20_23
; %bb.5:
	s_load_dwordx2 s[0:1], s[4:5], 0x0
	v_lshrrev_b32_e32 v1, 2, v0
	v_lshl_or_b32 v1, s6, 5, v1
	s_waitcnt lgkmcnt(0)
	v_cmp_gt_i32_e32 vcc_lo, s0, v1
	s_and_saveexec_b32 s0, vcc_lo
	s_cbranch_execz .LBB20_23
; %bb.6:
	s_load_dwordx8 s[8:15], s[4:5], 0x10
	v_ashrrev_i32_e32 v2, 31, v1
	v_and_b32_e32 v0, 3, v0
	s_cmp_lg_u32 s1, 0
	v_lshlrev_b64 v[2:3], 2, v[1:2]
	s_waitcnt lgkmcnt(0)
	v_add_co_u32 v2, vcc_lo, s8, v2
	v_add_co_ci_u32_e64 v3, null, s9, v3, vcc_lo
	global_load_dwordx2 v[2:3], v[2:3], off
	s_waitcnt vmcnt(0)
	v_subrev_nc_u32_e32 v2, s18, v2
	v_subrev_nc_u32_e32 v11, s18, v3
	v_add_nc_u32_e32 v2, v2, v0
	v_cmp_lt_i32_e64 s0, v2, v11
	s_cbranch_scc0 .LBB20_12
; %bb.7:
	v_mov_b32_e32 v9, 0
	v_mov_b32_e32 v10, 0
	s_and_saveexec_b32 s3, s0
	s_cbranch_execz .LBB20_11
; %bb.8:
	v_mad_u64_u32 v[3:4], null, v2, 12, 10
	v_mov_b32_e32 v6, 0
	v_mov_b32_e32 v7, v2
	;; [unrolled: 1-line block ×4, first 2 shown]
	s_mov_b32 s6, 0
.LBB20_9:                               ; =>This Inner Loop Header: Depth=1
	v_ashrrev_i32_e32 v8, 31, v7
	v_mov_b32_e32 v17, v6
	v_lshlrev_b64 v[4:5], 2, v[7:8]
	v_add_nc_u32_e32 v7, 4, v7
	v_add_co_u32 v4, vcc_lo, s10, v4
	v_add_co_ci_u32_e64 v5, null, s11, v5, vcc_lo
	global_load_dword v8, v[4:5], off
	v_add_nc_u32_e32 v5, -10, v3
	v_mov_b32_e32 v4, v6
	v_lshlrev_b64 v[12:13], 2, v[5:6]
	v_add_nc_u32_e32 v5, -6, v3
	v_lshlrev_b64 v[18:19], 2, v[3:4]
	v_lshlrev_b64 v[4:5], 2, v[5:6]
	v_add_co_u32 v12, vcc_lo, s12, v12
	v_add_co_ci_u32_e64 v13, null, s13, v13, vcc_lo
	v_add_co_u32 v18, vcc_lo, s12, v18
	v_add_co_u32 v4, s1, s12, v4
	v_add_co_ci_u32_e64 v5, null, s13, v5, s1
	s_clause 0x1
	global_load_dwordx4 v[12:15], v[12:13], off
	global_load_dwordx2 v[20:21], v[4:5], off
	v_add_co_ci_u32_e64 v19, null, s13, v19, vcc_lo
	v_cmp_ge_i32_e32 vcc_lo, v7, v11
	s_or_b32 s6, vcc_lo, s6
	s_waitcnt vmcnt(2)
	v_subrev_nc_u32_e32 v4, s18, v8
	v_mul_lo_u32 v16, v4, 6
	v_lshlrev_b64 v[22:23], 2, v[16:17]
	v_add_nc_u32_e32 v5, 2, v16
	v_lshlrev_b64 v[24:25], 2, v[5:6]
	v_add_co_u32 v22, s1, s14, v22
	v_add_nc_u32_e32 v5, -4, v3
	v_add_co_ci_u32_e64 v23, null, s15, v23, s1
	v_add_co_u32 v24, s1, s14, v24
	v_lshlrev_b64 v[26:27], 2, v[5:6]
	v_add_nc_u32_e32 v5, -2, v3
	global_load_dwordx2 v[22:23], v[22:23], off
	v_add_co_ci_u32_e64 v25, null, s15, v25, s1
	v_add_nc_u32_e32 v3, 48, v3
	v_lshlrev_b64 v[28:29], 2, v[5:6]
	v_add_nc_u32_e32 v5, 4, v16
	v_add_co_u32 v16, s1, s12, v26
	v_add_co_ci_u32_e64 v17, null, s13, v27, s1
	v_lshlrev_b64 v[4:5], 2, v[5:6]
	global_load_dwordx2 v[24:25], v[24:25], off
	v_add_co_u32 v26, s1, s12, v28
	global_load_dwordx2 v[16:17], v[16:17], off
	v_add_co_ci_u32_e64 v27, null, s13, v29, s1
	v_add_co_u32 v4, s1, s14, v4
	v_add_co_ci_u32_e64 v5, null, s15, v5, s1
	global_load_dwordx2 v[26:27], v[26:27], off
	global_load_dwordx2 v[4:5], v[4:5], off
	;; [unrolled: 1-line block ×3, first 2 shown]
	s_waitcnt vmcnt(5)
	v_fmac_f32_e32 v9, v12, v22
	v_fmac_f32_e32 v10, v13, v22
	;; [unrolled: 1-line block ×4, first 2 shown]
	s_waitcnt vmcnt(4)
	v_fmac_f32_e32 v9, v20, v24
	v_fmac_f32_e32 v10, v21, v24
	s_waitcnt vmcnt(3)
	v_fmac_f32_e32 v9, v16, v25
	v_fmac_f32_e32 v10, v17, v25
	;; [unrolled: 3-line block ×4, first 2 shown]
	s_andn2_b32 exec_lo, exec_lo, s6
	s_cbranch_execnz .LBB20_9
; %bb.10:
	s_or_b32 exec_lo, exec_lo, s6
.LBB20_11:
	s_or_b32 exec_lo, exec_lo, s3
	s_cbranch_execz .LBB20_13
	s_branch .LBB20_18
.LBB20_12:
                                        ; implicit-def: $vgpr9
                                        ; implicit-def: $vgpr10
.LBB20_13:
	v_mov_b32_e32 v9, 0
	v_mov_b32_e32 v10, 0
	s_and_saveexec_b32 s1, s0
	s_cbranch_execz .LBB20_17
; %bb.14:
	v_mad_u64_u32 v[4:5], null, v2, 12, 11
	v_mov_b32_e32 v7, 0
	v_mov_b32_e32 v9, 0
	v_mov_b32_e32 v10, 0
	s_mov_b32 s0, 0
.LBB20_15:                              ; =>This Inner Loop Header: Depth=1
	v_ashrrev_i32_e32 v3, 31, v2
	v_add_nc_u32_e32 v12, -5, v4
	v_mov_b32_e32 v13, v7
	v_mov_b32_e32 v17, v7
	v_lshlrev_b64 v[5:6], 2, v[2:3]
	v_add_nc_u32_e32 v2, 4, v2
	v_lshlrev_b64 v[12:13], 2, v[12:13]
	v_add_co_u32 v5, vcc_lo, s10, v5
	v_add_co_ci_u32_e64 v6, null, s11, v6, vcc_lo
	global_load_dword v3, v[5:6], off
	v_add_nc_u32_e32 v6, -11, v4
	v_mov_b32_e32 v5, v7
	v_lshlrev_b64 v[14:15], 2, v[6:7]
	v_add_nc_u32_e32 v6, -4, v4
	v_lshlrev_b64 v[18:19], 2, v[4:5]
	v_lshlrev_b64 v[5:6], 2, v[6:7]
	v_add_co_u32 v14, vcc_lo, s12, v14
	v_add_co_ci_u32_e64 v15, null, s13, v15, vcc_lo
	v_add_co_u32 v20, vcc_lo, s12, v12
	v_add_co_ci_u32_e64 v21, null, s13, v13, vcc_lo
	;; [unrolled: 2-line block ×4, first 2 shown]
	s_clause 0x2
	global_load_dwordx4 v[12:15], v[14:15], off
	global_load_dword v8, v[20:21], off
	global_load_dword v30, v[5:6], off
	s_waitcnt vmcnt(3)
	v_subrev_nc_u32_e32 v3, s18, v3
	v_mul_lo_u32 v16, v3, 6
	v_add_nc_u32_e32 v6, 2, v16
	v_lshlrev_b64 v[20:21], 2, v[16:17]
	v_lshlrev_b64 v[22:23], 2, v[6:7]
	v_add_nc_u32_e32 v6, -3, v4
	v_add_co_u32 v20, vcc_lo, s14, v20
	v_add_co_ci_u32_e64 v21, null, s15, v21, vcc_lo
	v_lshlrev_b64 v[24:25], 2, v[6:7]
	v_add_nc_u32_e32 v6, -2, v4
	v_add_co_u32 v22, vcc_lo, s14, v22
	v_add_co_ci_u32_e64 v23, null, s15, v23, vcc_lo
	;; [unrolled: 4-line block ×3, first 2 shown]
	v_lshlrev_b64 v[28:29], 2, v[6:7]
	v_add_nc_u32_e32 v6, 4, v16
	v_add_co_u32 v16, vcc_lo, s12, v26
	s_clause 0x1
	global_load_dwordx2 v[20:21], v[20:21], off
	global_load_dwordx2 v[22:23], v[22:23], off
	v_add_co_ci_u32_e64 v17, null, s13, v27, vcc_lo
	global_load_dword v3, v[24:25], off
	v_lshlrev_b64 v[24:25], 2, v[6:7]
	v_add_nc_u32_e32 v6, -1, v4
	global_load_dword v31, v[16:17], off
	v_add_co_u32 v16, vcc_lo, s12, v28
	v_add_co_ci_u32_e64 v17, null, s13, v29, vcc_lo
	v_lshlrev_b64 v[26:27], 2, v[6:7]
	v_add_nc_u32_e32 v6, -6, v4
	v_add_co_u32 v24, vcc_lo, s14, v24
	v_add_co_ci_u32_e64 v25, null, s15, v25, vcc_lo
	v_lshlrev_b64 v[5:6], 2, v[6:7]
	global_load_dword v28, v[16:17], off
	v_add_nc_u32_e32 v4, 48, v4
	global_load_dwordx2 v[16:17], v[24:25], off
	v_add_co_u32 v24, vcc_lo, s12, v26
	v_add_co_ci_u32_e64 v25, null, s13, v27, vcc_lo
	v_add_co_u32 v5, vcc_lo, s12, v5
	v_add_co_ci_u32_e64 v6, null, s13, v6, vcc_lo
	s_clause 0x2
	global_load_dword v24, v[24:25], off
	global_load_dword v5, v[5:6], off
	;; [unrolled: 1-line block ×3, first 2 shown]
	v_cmp_ge_i32_e32 vcc_lo, v2, v11
	s_or_b32 s0, vcc_lo, s0
	s_waitcnt vmcnt(8)
	v_fmac_f32_e32 v9, v12, v20
	v_fmac_f32_e32 v10, v8, v20
	;; [unrolled: 1-line block ×4, first 2 shown]
	s_waitcnt vmcnt(7)
	v_fmac_f32_e32 v9, v14, v22
	s_waitcnt vmcnt(6)
	v_fmac_f32_e32 v10, v3, v22
	v_fmac_f32_e32 v9, v15, v23
	s_waitcnt vmcnt(5)
	v_fmac_f32_e32 v10, v31, v23
	s_waitcnt vmcnt(3)
	;; [unrolled: 2-line block ×5, first 2 shown]
	v_fmac_f32_e32 v10, v6, v17
	s_andn2_b32 exec_lo, exec_lo, s0
	s_cbranch_execnz .LBB20_15
; %bb.16:
	s_or_b32 exec_lo, exec_lo, s0
.LBB20_17:
	s_or_b32 exec_lo, exec_lo, s1
.LBB20_18:
	v_mbcnt_lo_u32_b32 v2, -1, 0
	s_mov_b32 s3, -1
	v_xor_b32_e32 v3, 2, v2
	v_xor_b32_e32 v5, 1, v2
	v_cmp_gt_i32_e32 vcc_lo, 32, v3
	v_cndmask_b32_e32 v3, v2, v3, vcc_lo
	v_cmp_gt_i32_e32 vcc_lo, 32, v5
	v_lshlrev_b32_e32 v3, 2, v3
	v_cndmask_b32_e32 v2, v2, v5, vcc_lo
	v_cmp_eq_u32_e32 vcc_lo, 3, v0
	ds_bpermute_b32 v4, v3, v9
	ds_bpermute_b32 v3, v3, v10
	v_lshlrev_b32_e32 v5, 2, v2
	s_waitcnt lgkmcnt(1)
	v_add_f32_e32 v2, v9, v4
	s_waitcnt lgkmcnt(0)
	v_add_f32_e32 v3, v10, v3
	ds_bpermute_b32 v4, v5, v2
	ds_bpermute_b32 v5, v5, v3
	s_and_b32 exec_lo, exec_lo, vcc_lo
	s_cbranch_execz .LBB20_23
; %bb.19:
	s_load_dwordx2 s[0:1], s[4:5], 0x38
	s_waitcnt lgkmcnt(0)
	v_add_f32_e32 v0, v2, v4
	v_add_f32_e32 v3, v3, v5
	v_cmp_eq_f32_e64 s4, s2, 0
	v_mul_f32_e32 v2, s16, v0
	v_mul_f32_e32 v3, s16, v3
	v_lshlrev_b32_e32 v0, 1, v1
	s_and_b32 vcc_lo, exec_lo, s4
	s_cbranch_vccz .LBB20_21
; %bb.20:
	v_ashrrev_i32_e32 v1, 31, v0
	s_mov_b32 s3, 0
	v_lshlrev_b64 v[4:5], 2, v[0:1]
	v_add_co_u32 v4, vcc_lo, s0, v4
	v_add_co_ci_u32_e64 v5, null, s1, v5, vcc_lo
	global_store_dwordx2 v[4:5], v[2:3], off
.LBB20_21:
	s_andn2_b32 vcc_lo, exec_lo, s3
	s_cbranch_vccnz .LBB20_23
; %bb.22:
	v_ashrrev_i32_e32 v1, 31, v0
	v_lshlrev_b64 v[0:1], 2, v[0:1]
	v_add_co_u32 v0, vcc_lo, s0, v0
	v_add_co_ci_u32_e64 v1, null, s1, v1, vcc_lo
	global_load_dwordx2 v[4:5], v[0:1], off
	s_waitcnt vmcnt(0)
	v_fmac_f32_e32 v2, s2, v4
	v_fmac_f32_e32 v3, s2, v5
	global_store_dwordx2 v[0:1], v[2:3], off
.LBB20_23:
	s_endpgm
	.section	.rodata,"a",@progbits
	.p2align	6, 0x0
	.amdhsa_kernel _ZN9rocsparseL19gebsrmvn_2xn_kernelILj128ELj6ELj4EfEEvi20rocsparse_direction_NS_24const_host_device_scalarIT2_EEPKiS6_PKS3_S8_S4_PS3_21rocsparse_index_base_b
		.amdhsa_group_segment_fixed_size 0
		.amdhsa_private_segment_fixed_size 0
		.amdhsa_kernarg_size 72
		.amdhsa_user_sgpr_count 6
		.amdhsa_user_sgpr_private_segment_buffer 1
		.amdhsa_user_sgpr_dispatch_ptr 0
		.amdhsa_user_sgpr_queue_ptr 0
		.amdhsa_user_sgpr_kernarg_segment_ptr 1
		.amdhsa_user_sgpr_dispatch_id 0
		.amdhsa_user_sgpr_flat_scratch_init 0
		.amdhsa_user_sgpr_private_segment_size 0
		.amdhsa_wavefront_size32 1
		.amdhsa_uses_dynamic_stack 0
		.amdhsa_system_sgpr_private_segment_wavefront_offset 0
		.amdhsa_system_sgpr_workgroup_id_x 1
		.amdhsa_system_sgpr_workgroup_id_y 0
		.amdhsa_system_sgpr_workgroup_id_z 0
		.amdhsa_system_sgpr_workgroup_info 0
		.amdhsa_system_vgpr_workitem_id 0
		.amdhsa_next_free_vgpr 32
		.amdhsa_next_free_sgpr 20
		.amdhsa_reserve_vcc 1
		.amdhsa_reserve_flat_scratch 0
		.amdhsa_float_round_mode_32 0
		.amdhsa_float_round_mode_16_64 0
		.amdhsa_float_denorm_mode_32 3
		.amdhsa_float_denorm_mode_16_64 3
		.amdhsa_dx10_clamp 1
		.amdhsa_ieee_mode 1
		.amdhsa_fp16_overflow 0
		.amdhsa_workgroup_processor_mode 1
		.amdhsa_memory_ordered 1
		.amdhsa_forward_progress 1
		.amdhsa_shared_vgpr_count 0
		.amdhsa_exception_fp_ieee_invalid_op 0
		.amdhsa_exception_fp_denorm_src 0
		.amdhsa_exception_fp_ieee_div_zero 0
		.amdhsa_exception_fp_ieee_overflow 0
		.amdhsa_exception_fp_ieee_underflow 0
		.amdhsa_exception_fp_ieee_inexact 0
		.amdhsa_exception_int_div_zero 0
	.end_amdhsa_kernel
	.section	.text._ZN9rocsparseL19gebsrmvn_2xn_kernelILj128ELj6ELj4EfEEvi20rocsparse_direction_NS_24const_host_device_scalarIT2_EEPKiS6_PKS3_S8_S4_PS3_21rocsparse_index_base_b,"axG",@progbits,_ZN9rocsparseL19gebsrmvn_2xn_kernelILj128ELj6ELj4EfEEvi20rocsparse_direction_NS_24const_host_device_scalarIT2_EEPKiS6_PKS3_S8_S4_PS3_21rocsparse_index_base_b,comdat
.Lfunc_end20:
	.size	_ZN9rocsparseL19gebsrmvn_2xn_kernelILj128ELj6ELj4EfEEvi20rocsparse_direction_NS_24const_host_device_scalarIT2_EEPKiS6_PKS3_S8_S4_PS3_21rocsparse_index_base_b, .Lfunc_end20-_ZN9rocsparseL19gebsrmvn_2xn_kernelILj128ELj6ELj4EfEEvi20rocsparse_direction_NS_24const_host_device_scalarIT2_EEPKiS6_PKS3_S8_S4_PS3_21rocsparse_index_base_b
                                        ; -- End function
	.set _ZN9rocsparseL19gebsrmvn_2xn_kernelILj128ELj6ELj4EfEEvi20rocsparse_direction_NS_24const_host_device_scalarIT2_EEPKiS6_PKS3_S8_S4_PS3_21rocsparse_index_base_b.num_vgpr, 32
	.set _ZN9rocsparseL19gebsrmvn_2xn_kernelILj128ELj6ELj4EfEEvi20rocsparse_direction_NS_24const_host_device_scalarIT2_EEPKiS6_PKS3_S8_S4_PS3_21rocsparse_index_base_b.num_agpr, 0
	.set _ZN9rocsparseL19gebsrmvn_2xn_kernelILj128ELj6ELj4EfEEvi20rocsparse_direction_NS_24const_host_device_scalarIT2_EEPKiS6_PKS3_S8_S4_PS3_21rocsparse_index_base_b.numbered_sgpr, 20
	.set _ZN9rocsparseL19gebsrmvn_2xn_kernelILj128ELj6ELj4EfEEvi20rocsparse_direction_NS_24const_host_device_scalarIT2_EEPKiS6_PKS3_S8_S4_PS3_21rocsparse_index_base_b.num_named_barrier, 0
	.set _ZN9rocsparseL19gebsrmvn_2xn_kernelILj128ELj6ELj4EfEEvi20rocsparse_direction_NS_24const_host_device_scalarIT2_EEPKiS6_PKS3_S8_S4_PS3_21rocsparse_index_base_b.private_seg_size, 0
	.set _ZN9rocsparseL19gebsrmvn_2xn_kernelILj128ELj6ELj4EfEEvi20rocsparse_direction_NS_24const_host_device_scalarIT2_EEPKiS6_PKS3_S8_S4_PS3_21rocsparse_index_base_b.uses_vcc, 1
	.set _ZN9rocsparseL19gebsrmvn_2xn_kernelILj128ELj6ELj4EfEEvi20rocsparse_direction_NS_24const_host_device_scalarIT2_EEPKiS6_PKS3_S8_S4_PS3_21rocsparse_index_base_b.uses_flat_scratch, 0
	.set _ZN9rocsparseL19gebsrmvn_2xn_kernelILj128ELj6ELj4EfEEvi20rocsparse_direction_NS_24const_host_device_scalarIT2_EEPKiS6_PKS3_S8_S4_PS3_21rocsparse_index_base_b.has_dyn_sized_stack, 0
	.set _ZN9rocsparseL19gebsrmvn_2xn_kernelILj128ELj6ELj4EfEEvi20rocsparse_direction_NS_24const_host_device_scalarIT2_EEPKiS6_PKS3_S8_S4_PS3_21rocsparse_index_base_b.has_recursion, 0
	.set _ZN9rocsparseL19gebsrmvn_2xn_kernelILj128ELj6ELj4EfEEvi20rocsparse_direction_NS_24const_host_device_scalarIT2_EEPKiS6_PKS3_S8_S4_PS3_21rocsparse_index_base_b.has_indirect_call, 0
	.section	.AMDGPU.csdata,"",@progbits
; Kernel info:
; codeLenInByte = 1636
; TotalNumSgprs: 22
; NumVgprs: 32
; ScratchSize: 0
; MemoryBound: 0
; FloatMode: 240
; IeeeMode: 1
; LDSByteSize: 0 bytes/workgroup (compile time only)
; SGPRBlocks: 0
; VGPRBlocks: 3
; NumSGPRsForWavesPerEU: 22
; NumVGPRsForWavesPerEU: 32
; Occupancy: 16
; WaveLimiterHint : 1
; COMPUTE_PGM_RSRC2:SCRATCH_EN: 0
; COMPUTE_PGM_RSRC2:USER_SGPR: 6
; COMPUTE_PGM_RSRC2:TRAP_HANDLER: 0
; COMPUTE_PGM_RSRC2:TGID_X_EN: 1
; COMPUTE_PGM_RSRC2:TGID_Y_EN: 0
; COMPUTE_PGM_RSRC2:TGID_Z_EN: 0
; COMPUTE_PGM_RSRC2:TIDIG_COMP_CNT: 0
	.section	.text._ZN9rocsparseL19gebsrmvn_2xn_kernelILj128ELj6ELj8EfEEvi20rocsparse_direction_NS_24const_host_device_scalarIT2_EEPKiS6_PKS3_S8_S4_PS3_21rocsparse_index_base_b,"axG",@progbits,_ZN9rocsparseL19gebsrmvn_2xn_kernelILj128ELj6ELj8EfEEvi20rocsparse_direction_NS_24const_host_device_scalarIT2_EEPKiS6_PKS3_S8_S4_PS3_21rocsparse_index_base_b,comdat
	.globl	_ZN9rocsparseL19gebsrmvn_2xn_kernelILj128ELj6ELj8EfEEvi20rocsparse_direction_NS_24const_host_device_scalarIT2_EEPKiS6_PKS3_S8_S4_PS3_21rocsparse_index_base_b ; -- Begin function _ZN9rocsparseL19gebsrmvn_2xn_kernelILj128ELj6ELj8EfEEvi20rocsparse_direction_NS_24const_host_device_scalarIT2_EEPKiS6_PKS3_S8_S4_PS3_21rocsparse_index_base_b
	.p2align	8
	.type	_ZN9rocsparseL19gebsrmvn_2xn_kernelILj128ELj6ELj8EfEEvi20rocsparse_direction_NS_24const_host_device_scalarIT2_EEPKiS6_PKS3_S8_S4_PS3_21rocsparse_index_base_b,@function
_ZN9rocsparseL19gebsrmvn_2xn_kernelILj128ELj6ELj8EfEEvi20rocsparse_direction_NS_24const_host_device_scalarIT2_EEPKiS6_PKS3_S8_S4_PS3_21rocsparse_index_base_b: ; @_ZN9rocsparseL19gebsrmvn_2xn_kernelILj128ELj6ELj8EfEEvi20rocsparse_direction_NS_24const_host_device_scalarIT2_EEPKiS6_PKS3_S8_S4_PS3_21rocsparse_index_base_b
; %bb.0:
	s_clause 0x2
	s_load_dwordx2 s[18:19], s[4:5], 0x40
	s_load_dwordx2 s[16:17], s[4:5], 0x8
	;; [unrolled: 1-line block ×3, first 2 shown]
	s_waitcnt lgkmcnt(0)
	s_bitcmp1_b32 s19, 0
	s_cselect_b32 s0, -1, 0
	s_and_b32 vcc_lo, exec_lo, s0
	s_xor_b32 s0, s0, -1
	s_cbranch_vccnz .LBB21_2
; %bb.1:
	s_load_dword s16, s[16:17], 0x0
.LBB21_2:
	s_andn2_b32 vcc_lo, exec_lo, s0
	s_cbranch_vccnz .LBB21_4
; %bb.3:
	s_load_dword s2, s[2:3], 0x0
.LBB21_4:
	s_waitcnt lgkmcnt(0)
	v_cmp_eq_f32_e64 s0, s16, 0
	v_cmp_eq_f32_e64 s1, s2, 1.0
	s_and_b32 s0, s0, s1
	s_and_b32 vcc_lo, exec_lo, s0
	s_cbranch_vccnz .LBB21_23
; %bb.5:
	s_load_dwordx2 s[0:1], s[4:5], 0x0
	v_lshrrev_b32_e32 v1, 3, v0
	v_lshl_or_b32 v1, s6, 4, v1
	s_waitcnt lgkmcnt(0)
	v_cmp_gt_i32_e32 vcc_lo, s0, v1
	s_and_saveexec_b32 s0, vcc_lo
	s_cbranch_execz .LBB21_23
; %bb.6:
	s_load_dwordx8 s[8:15], s[4:5], 0x10
	v_ashrrev_i32_e32 v2, 31, v1
	v_and_b32_e32 v0, 7, v0
	s_cmp_lg_u32 s1, 0
	v_lshlrev_b64 v[2:3], 2, v[1:2]
	s_waitcnt lgkmcnt(0)
	v_add_co_u32 v2, vcc_lo, s8, v2
	v_add_co_ci_u32_e64 v3, null, s9, v3, vcc_lo
	global_load_dwordx2 v[2:3], v[2:3], off
	s_waitcnt vmcnt(0)
	v_subrev_nc_u32_e32 v2, s18, v2
	v_subrev_nc_u32_e32 v11, s18, v3
	v_add_nc_u32_e32 v2, v2, v0
	v_cmp_lt_i32_e64 s0, v2, v11
	s_cbranch_scc0 .LBB21_12
; %bb.7:
	v_mov_b32_e32 v9, 0
	v_mov_b32_e32 v10, 0
	s_and_saveexec_b32 s3, s0
	s_cbranch_execz .LBB21_11
; %bb.8:
	v_mad_u64_u32 v[3:4], null, v2, 12, 10
	v_mov_b32_e32 v6, 0
	v_mov_b32_e32 v7, v2
	;; [unrolled: 1-line block ×4, first 2 shown]
	s_mov_b32 s6, 0
.LBB21_9:                               ; =>This Inner Loop Header: Depth=1
	v_ashrrev_i32_e32 v8, 31, v7
	v_mov_b32_e32 v17, v6
	v_lshlrev_b64 v[4:5], 2, v[7:8]
	v_add_nc_u32_e32 v7, 8, v7
	v_add_co_u32 v4, vcc_lo, s10, v4
	v_add_co_ci_u32_e64 v5, null, s11, v5, vcc_lo
	global_load_dword v8, v[4:5], off
	v_add_nc_u32_e32 v5, -10, v3
	v_mov_b32_e32 v4, v6
	v_lshlrev_b64 v[12:13], 2, v[5:6]
	v_add_nc_u32_e32 v5, -6, v3
	v_lshlrev_b64 v[18:19], 2, v[3:4]
	v_lshlrev_b64 v[4:5], 2, v[5:6]
	v_add_co_u32 v12, vcc_lo, s12, v12
	v_add_co_ci_u32_e64 v13, null, s13, v13, vcc_lo
	v_add_co_u32 v18, vcc_lo, s12, v18
	v_add_co_u32 v4, s1, s12, v4
	v_add_co_ci_u32_e64 v5, null, s13, v5, s1
	s_clause 0x1
	global_load_dwordx4 v[12:15], v[12:13], off
	global_load_dwordx2 v[20:21], v[4:5], off
	v_add_co_ci_u32_e64 v19, null, s13, v19, vcc_lo
	v_cmp_ge_i32_e32 vcc_lo, v7, v11
	s_or_b32 s6, vcc_lo, s6
	s_waitcnt vmcnt(2)
	v_subrev_nc_u32_e32 v4, s18, v8
	v_mul_lo_u32 v16, v4, 6
	v_lshlrev_b64 v[22:23], 2, v[16:17]
	v_add_nc_u32_e32 v5, 2, v16
	v_lshlrev_b64 v[24:25], 2, v[5:6]
	v_add_co_u32 v22, s1, s14, v22
	v_add_nc_u32_e32 v5, -4, v3
	v_add_co_ci_u32_e64 v23, null, s15, v23, s1
	v_add_co_u32 v24, s1, s14, v24
	v_lshlrev_b64 v[26:27], 2, v[5:6]
	v_add_nc_u32_e32 v5, -2, v3
	global_load_dwordx2 v[22:23], v[22:23], off
	v_add_co_ci_u32_e64 v25, null, s15, v25, s1
	v_add_nc_u32_e32 v3, 0x60, v3
	v_lshlrev_b64 v[28:29], 2, v[5:6]
	v_add_nc_u32_e32 v5, 4, v16
	v_add_co_u32 v16, s1, s12, v26
	v_add_co_ci_u32_e64 v17, null, s13, v27, s1
	v_lshlrev_b64 v[4:5], 2, v[5:6]
	global_load_dwordx2 v[24:25], v[24:25], off
	v_add_co_u32 v26, s1, s12, v28
	global_load_dwordx2 v[16:17], v[16:17], off
	v_add_co_ci_u32_e64 v27, null, s13, v29, s1
	v_add_co_u32 v4, s1, s14, v4
	v_add_co_ci_u32_e64 v5, null, s15, v5, s1
	global_load_dwordx2 v[26:27], v[26:27], off
	global_load_dwordx2 v[4:5], v[4:5], off
	;; [unrolled: 1-line block ×3, first 2 shown]
	s_waitcnt vmcnt(5)
	v_fmac_f32_e32 v9, v12, v22
	v_fmac_f32_e32 v10, v13, v22
	;; [unrolled: 1-line block ×4, first 2 shown]
	s_waitcnt vmcnt(4)
	v_fmac_f32_e32 v9, v20, v24
	v_fmac_f32_e32 v10, v21, v24
	s_waitcnt vmcnt(3)
	v_fmac_f32_e32 v9, v16, v25
	v_fmac_f32_e32 v10, v17, v25
	;; [unrolled: 3-line block ×4, first 2 shown]
	s_andn2_b32 exec_lo, exec_lo, s6
	s_cbranch_execnz .LBB21_9
; %bb.10:
	s_or_b32 exec_lo, exec_lo, s6
.LBB21_11:
	s_or_b32 exec_lo, exec_lo, s3
	s_cbranch_execz .LBB21_13
	s_branch .LBB21_18
.LBB21_12:
                                        ; implicit-def: $vgpr9
                                        ; implicit-def: $vgpr10
.LBB21_13:
	v_mov_b32_e32 v9, 0
	v_mov_b32_e32 v10, 0
	s_and_saveexec_b32 s1, s0
	s_cbranch_execz .LBB21_17
; %bb.14:
	v_mad_u64_u32 v[4:5], null, v2, 12, 11
	v_mov_b32_e32 v7, 0
	v_mov_b32_e32 v9, 0
	;; [unrolled: 1-line block ×3, first 2 shown]
	s_mov_b32 s0, 0
.LBB21_15:                              ; =>This Inner Loop Header: Depth=1
	v_ashrrev_i32_e32 v3, 31, v2
	v_add_nc_u32_e32 v12, -5, v4
	v_mov_b32_e32 v13, v7
	v_mov_b32_e32 v17, v7
	v_lshlrev_b64 v[5:6], 2, v[2:3]
	v_add_nc_u32_e32 v2, 8, v2
	v_lshlrev_b64 v[12:13], 2, v[12:13]
	v_add_co_u32 v5, vcc_lo, s10, v5
	v_add_co_ci_u32_e64 v6, null, s11, v6, vcc_lo
	global_load_dword v3, v[5:6], off
	v_add_nc_u32_e32 v6, -11, v4
	v_mov_b32_e32 v5, v7
	v_lshlrev_b64 v[14:15], 2, v[6:7]
	v_add_nc_u32_e32 v6, -4, v4
	v_lshlrev_b64 v[18:19], 2, v[4:5]
	v_lshlrev_b64 v[5:6], 2, v[6:7]
	v_add_co_u32 v14, vcc_lo, s12, v14
	v_add_co_ci_u32_e64 v15, null, s13, v15, vcc_lo
	v_add_co_u32 v20, vcc_lo, s12, v12
	v_add_co_ci_u32_e64 v21, null, s13, v13, vcc_lo
	;; [unrolled: 2-line block ×4, first 2 shown]
	s_clause 0x2
	global_load_dwordx4 v[12:15], v[14:15], off
	global_load_dword v8, v[20:21], off
	global_load_dword v30, v[5:6], off
	s_waitcnt vmcnt(3)
	v_subrev_nc_u32_e32 v3, s18, v3
	v_mul_lo_u32 v16, v3, 6
	v_add_nc_u32_e32 v6, 2, v16
	v_lshlrev_b64 v[20:21], 2, v[16:17]
	v_lshlrev_b64 v[22:23], 2, v[6:7]
	v_add_nc_u32_e32 v6, -3, v4
	v_add_co_u32 v20, vcc_lo, s14, v20
	v_add_co_ci_u32_e64 v21, null, s15, v21, vcc_lo
	v_lshlrev_b64 v[24:25], 2, v[6:7]
	v_add_nc_u32_e32 v6, -2, v4
	v_add_co_u32 v22, vcc_lo, s14, v22
	v_add_co_ci_u32_e64 v23, null, s15, v23, vcc_lo
	;; [unrolled: 4-line block ×3, first 2 shown]
	v_lshlrev_b64 v[28:29], 2, v[6:7]
	v_add_nc_u32_e32 v6, 4, v16
	v_add_co_u32 v16, vcc_lo, s12, v26
	s_clause 0x1
	global_load_dwordx2 v[20:21], v[20:21], off
	global_load_dwordx2 v[22:23], v[22:23], off
	v_add_co_ci_u32_e64 v17, null, s13, v27, vcc_lo
	global_load_dword v3, v[24:25], off
	v_lshlrev_b64 v[24:25], 2, v[6:7]
	v_add_nc_u32_e32 v6, -1, v4
	global_load_dword v31, v[16:17], off
	v_add_co_u32 v16, vcc_lo, s12, v28
	v_add_co_ci_u32_e64 v17, null, s13, v29, vcc_lo
	v_lshlrev_b64 v[26:27], 2, v[6:7]
	v_add_nc_u32_e32 v6, -6, v4
	v_add_co_u32 v24, vcc_lo, s14, v24
	v_add_co_ci_u32_e64 v25, null, s15, v25, vcc_lo
	v_lshlrev_b64 v[5:6], 2, v[6:7]
	global_load_dword v28, v[16:17], off
	v_add_nc_u32_e32 v4, 0x60, v4
	global_load_dwordx2 v[16:17], v[24:25], off
	v_add_co_u32 v24, vcc_lo, s12, v26
	v_add_co_ci_u32_e64 v25, null, s13, v27, vcc_lo
	v_add_co_u32 v5, vcc_lo, s12, v5
	v_add_co_ci_u32_e64 v6, null, s13, v6, vcc_lo
	s_clause 0x2
	global_load_dword v24, v[24:25], off
	global_load_dword v5, v[5:6], off
	;; [unrolled: 1-line block ×3, first 2 shown]
	v_cmp_ge_i32_e32 vcc_lo, v2, v11
	s_or_b32 s0, vcc_lo, s0
	s_waitcnt vmcnt(8)
	v_fmac_f32_e32 v9, v12, v20
	v_fmac_f32_e32 v10, v8, v20
	;; [unrolled: 1-line block ×4, first 2 shown]
	s_waitcnt vmcnt(7)
	v_fmac_f32_e32 v9, v14, v22
	s_waitcnt vmcnt(6)
	v_fmac_f32_e32 v10, v3, v22
	v_fmac_f32_e32 v9, v15, v23
	s_waitcnt vmcnt(5)
	v_fmac_f32_e32 v10, v31, v23
	s_waitcnt vmcnt(3)
	;; [unrolled: 2-line block ×5, first 2 shown]
	v_fmac_f32_e32 v10, v6, v17
	s_andn2_b32 exec_lo, exec_lo, s0
	s_cbranch_execnz .LBB21_15
; %bb.16:
	s_or_b32 exec_lo, exec_lo, s0
.LBB21_17:
	s_or_b32 exec_lo, exec_lo, s1
.LBB21_18:
	v_mbcnt_lo_u32_b32 v2, -1, 0
	s_mov_b32 s3, -1
	v_xor_b32_e32 v3, 4, v2
	v_xor_b32_e32 v5, 2, v2
	;; [unrolled: 1-line block ×3, first 2 shown]
	v_cmp_gt_i32_e32 vcc_lo, 32, v3
	v_cndmask_b32_e32 v3, v2, v3, vcc_lo
	v_cmp_gt_i32_e32 vcc_lo, 32, v5
	v_lshlrev_b32_e32 v3, 2, v3
	v_cndmask_b32_e32 v5, v2, v5, vcc_lo
	v_cmp_gt_i32_e32 vcc_lo, 32, v7
	ds_bpermute_b32 v4, v3, v9
	ds_bpermute_b32 v3, v3, v10
	v_lshlrev_b32_e32 v5, 2, v5
	v_cndmask_b32_e32 v2, v2, v7, vcc_lo
	v_cmp_eq_u32_e32 vcc_lo, 7, v0
	v_lshlrev_b32_e32 v7, 2, v2
	s_waitcnt lgkmcnt(1)
	v_add_f32_e32 v4, v9, v4
	s_waitcnt lgkmcnt(0)
	v_add_f32_e32 v3, v10, v3
	ds_bpermute_b32 v6, v5, v4
	ds_bpermute_b32 v5, v5, v3
	s_waitcnt lgkmcnt(1)
	v_add_f32_e32 v2, v4, v6
	s_waitcnt lgkmcnt(0)
	v_add_f32_e32 v3, v3, v5
	ds_bpermute_b32 v4, v7, v2
	ds_bpermute_b32 v5, v7, v3
	s_and_b32 exec_lo, exec_lo, vcc_lo
	s_cbranch_execz .LBB21_23
; %bb.19:
	s_load_dwordx2 s[0:1], s[4:5], 0x38
	s_waitcnt lgkmcnt(0)
	v_add_f32_e32 v0, v2, v4
	v_add_f32_e32 v3, v3, v5
	v_cmp_eq_f32_e64 s4, s2, 0
	v_mul_f32_e32 v2, s16, v0
	v_mul_f32_e32 v3, s16, v3
	v_lshlrev_b32_e32 v0, 1, v1
	s_and_b32 vcc_lo, exec_lo, s4
	s_cbranch_vccz .LBB21_21
; %bb.20:
	v_ashrrev_i32_e32 v1, 31, v0
	s_mov_b32 s3, 0
	v_lshlrev_b64 v[4:5], 2, v[0:1]
	v_add_co_u32 v4, vcc_lo, s0, v4
	v_add_co_ci_u32_e64 v5, null, s1, v5, vcc_lo
	global_store_dwordx2 v[4:5], v[2:3], off
.LBB21_21:
	s_andn2_b32 vcc_lo, exec_lo, s3
	s_cbranch_vccnz .LBB21_23
; %bb.22:
	v_ashrrev_i32_e32 v1, 31, v0
	v_lshlrev_b64 v[0:1], 2, v[0:1]
	v_add_co_u32 v0, vcc_lo, s0, v0
	v_add_co_ci_u32_e64 v1, null, s1, v1, vcc_lo
	global_load_dwordx2 v[4:5], v[0:1], off
	s_waitcnt vmcnt(0)
	v_fmac_f32_e32 v2, s2, v4
	v_fmac_f32_e32 v3, s2, v5
	global_store_dwordx2 v[0:1], v[2:3], off
.LBB21_23:
	s_endpgm
	.section	.rodata,"a",@progbits
	.p2align	6, 0x0
	.amdhsa_kernel _ZN9rocsparseL19gebsrmvn_2xn_kernelILj128ELj6ELj8EfEEvi20rocsparse_direction_NS_24const_host_device_scalarIT2_EEPKiS6_PKS3_S8_S4_PS3_21rocsparse_index_base_b
		.amdhsa_group_segment_fixed_size 0
		.amdhsa_private_segment_fixed_size 0
		.amdhsa_kernarg_size 72
		.amdhsa_user_sgpr_count 6
		.amdhsa_user_sgpr_private_segment_buffer 1
		.amdhsa_user_sgpr_dispatch_ptr 0
		.amdhsa_user_sgpr_queue_ptr 0
		.amdhsa_user_sgpr_kernarg_segment_ptr 1
		.amdhsa_user_sgpr_dispatch_id 0
		.amdhsa_user_sgpr_flat_scratch_init 0
		.amdhsa_user_sgpr_private_segment_size 0
		.amdhsa_wavefront_size32 1
		.amdhsa_uses_dynamic_stack 0
		.amdhsa_system_sgpr_private_segment_wavefront_offset 0
		.amdhsa_system_sgpr_workgroup_id_x 1
		.amdhsa_system_sgpr_workgroup_id_y 0
		.amdhsa_system_sgpr_workgroup_id_z 0
		.amdhsa_system_sgpr_workgroup_info 0
		.amdhsa_system_vgpr_workitem_id 0
		.amdhsa_next_free_vgpr 32
		.amdhsa_next_free_sgpr 20
		.amdhsa_reserve_vcc 1
		.amdhsa_reserve_flat_scratch 0
		.amdhsa_float_round_mode_32 0
		.amdhsa_float_round_mode_16_64 0
		.amdhsa_float_denorm_mode_32 3
		.amdhsa_float_denorm_mode_16_64 3
		.amdhsa_dx10_clamp 1
		.amdhsa_ieee_mode 1
		.amdhsa_fp16_overflow 0
		.amdhsa_workgroup_processor_mode 1
		.amdhsa_memory_ordered 1
		.amdhsa_forward_progress 1
		.amdhsa_shared_vgpr_count 0
		.amdhsa_exception_fp_ieee_invalid_op 0
		.amdhsa_exception_fp_denorm_src 0
		.amdhsa_exception_fp_ieee_div_zero 0
		.amdhsa_exception_fp_ieee_overflow 0
		.amdhsa_exception_fp_ieee_underflow 0
		.amdhsa_exception_fp_ieee_inexact 0
		.amdhsa_exception_int_div_zero 0
	.end_amdhsa_kernel
	.section	.text._ZN9rocsparseL19gebsrmvn_2xn_kernelILj128ELj6ELj8EfEEvi20rocsparse_direction_NS_24const_host_device_scalarIT2_EEPKiS6_PKS3_S8_S4_PS3_21rocsparse_index_base_b,"axG",@progbits,_ZN9rocsparseL19gebsrmvn_2xn_kernelILj128ELj6ELj8EfEEvi20rocsparse_direction_NS_24const_host_device_scalarIT2_EEPKiS6_PKS3_S8_S4_PS3_21rocsparse_index_base_b,comdat
.Lfunc_end21:
	.size	_ZN9rocsparseL19gebsrmvn_2xn_kernelILj128ELj6ELj8EfEEvi20rocsparse_direction_NS_24const_host_device_scalarIT2_EEPKiS6_PKS3_S8_S4_PS3_21rocsparse_index_base_b, .Lfunc_end21-_ZN9rocsparseL19gebsrmvn_2xn_kernelILj128ELj6ELj8EfEEvi20rocsparse_direction_NS_24const_host_device_scalarIT2_EEPKiS6_PKS3_S8_S4_PS3_21rocsparse_index_base_b
                                        ; -- End function
	.set _ZN9rocsparseL19gebsrmvn_2xn_kernelILj128ELj6ELj8EfEEvi20rocsparse_direction_NS_24const_host_device_scalarIT2_EEPKiS6_PKS3_S8_S4_PS3_21rocsparse_index_base_b.num_vgpr, 32
	.set _ZN9rocsparseL19gebsrmvn_2xn_kernelILj128ELj6ELj8EfEEvi20rocsparse_direction_NS_24const_host_device_scalarIT2_EEPKiS6_PKS3_S8_S4_PS3_21rocsparse_index_base_b.num_agpr, 0
	.set _ZN9rocsparseL19gebsrmvn_2xn_kernelILj128ELj6ELj8EfEEvi20rocsparse_direction_NS_24const_host_device_scalarIT2_EEPKiS6_PKS3_S8_S4_PS3_21rocsparse_index_base_b.numbered_sgpr, 20
	.set _ZN9rocsparseL19gebsrmvn_2xn_kernelILj128ELj6ELj8EfEEvi20rocsparse_direction_NS_24const_host_device_scalarIT2_EEPKiS6_PKS3_S8_S4_PS3_21rocsparse_index_base_b.num_named_barrier, 0
	.set _ZN9rocsparseL19gebsrmvn_2xn_kernelILj128ELj6ELj8EfEEvi20rocsparse_direction_NS_24const_host_device_scalarIT2_EEPKiS6_PKS3_S8_S4_PS3_21rocsparse_index_base_b.private_seg_size, 0
	.set _ZN9rocsparseL19gebsrmvn_2xn_kernelILj128ELj6ELj8EfEEvi20rocsparse_direction_NS_24const_host_device_scalarIT2_EEPKiS6_PKS3_S8_S4_PS3_21rocsparse_index_base_b.uses_vcc, 1
	.set _ZN9rocsparseL19gebsrmvn_2xn_kernelILj128ELj6ELj8EfEEvi20rocsparse_direction_NS_24const_host_device_scalarIT2_EEPKiS6_PKS3_S8_S4_PS3_21rocsparse_index_base_b.uses_flat_scratch, 0
	.set _ZN9rocsparseL19gebsrmvn_2xn_kernelILj128ELj6ELj8EfEEvi20rocsparse_direction_NS_24const_host_device_scalarIT2_EEPKiS6_PKS3_S8_S4_PS3_21rocsparse_index_base_b.has_dyn_sized_stack, 0
	.set _ZN9rocsparseL19gebsrmvn_2xn_kernelILj128ELj6ELj8EfEEvi20rocsparse_direction_NS_24const_host_device_scalarIT2_EEPKiS6_PKS3_S8_S4_PS3_21rocsparse_index_base_b.has_recursion, 0
	.set _ZN9rocsparseL19gebsrmvn_2xn_kernelILj128ELj6ELj8EfEEvi20rocsparse_direction_NS_24const_host_device_scalarIT2_EEPKiS6_PKS3_S8_S4_PS3_21rocsparse_index_base_b.has_indirect_call, 0
	.section	.AMDGPU.csdata,"",@progbits
; Kernel info:
; codeLenInByte = 1692
; TotalNumSgprs: 22
; NumVgprs: 32
; ScratchSize: 0
; MemoryBound: 0
; FloatMode: 240
; IeeeMode: 1
; LDSByteSize: 0 bytes/workgroup (compile time only)
; SGPRBlocks: 0
; VGPRBlocks: 3
; NumSGPRsForWavesPerEU: 22
; NumVGPRsForWavesPerEU: 32
; Occupancy: 16
; WaveLimiterHint : 1
; COMPUTE_PGM_RSRC2:SCRATCH_EN: 0
; COMPUTE_PGM_RSRC2:USER_SGPR: 6
; COMPUTE_PGM_RSRC2:TRAP_HANDLER: 0
; COMPUTE_PGM_RSRC2:TGID_X_EN: 1
; COMPUTE_PGM_RSRC2:TGID_Y_EN: 0
; COMPUTE_PGM_RSRC2:TGID_Z_EN: 0
; COMPUTE_PGM_RSRC2:TIDIG_COMP_CNT: 0
	.section	.text._ZN9rocsparseL19gebsrmvn_2xn_kernelILj128ELj6ELj16EfEEvi20rocsparse_direction_NS_24const_host_device_scalarIT2_EEPKiS6_PKS3_S8_S4_PS3_21rocsparse_index_base_b,"axG",@progbits,_ZN9rocsparseL19gebsrmvn_2xn_kernelILj128ELj6ELj16EfEEvi20rocsparse_direction_NS_24const_host_device_scalarIT2_EEPKiS6_PKS3_S8_S4_PS3_21rocsparse_index_base_b,comdat
	.globl	_ZN9rocsparseL19gebsrmvn_2xn_kernelILj128ELj6ELj16EfEEvi20rocsparse_direction_NS_24const_host_device_scalarIT2_EEPKiS6_PKS3_S8_S4_PS3_21rocsparse_index_base_b ; -- Begin function _ZN9rocsparseL19gebsrmvn_2xn_kernelILj128ELj6ELj16EfEEvi20rocsparse_direction_NS_24const_host_device_scalarIT2_EEPKiS6_PKS3_S8_S4_PS3_21rocsparse_index_base_b
	.p2align	8
	.type	_ZN9rocsparseL19gebsrmvn_2xn_kernelILj128ELj6ELj16EfEEvi20rocsparse_direction_NS_24const_host_device_scalarIT2_EEPKiS6_PKS3_S8_S4_PS3_21rocsparse_index_base_b,@function
_ZN9rocsparseL19gebsrmvn_2xn_kernelILj128ELj6ELj16EfEEvi20rocsparse_direction_NS_24const_host_device_scalarIT2_EEPKiS6_PKS3_S8_S4_PS3_21rocsparse_index_base_b: ; @_ZN9rocsparseL19gebsrmvn_2xn_kernelILj128ELj6ELj16EfEEvi20rocsparse_direction_NS_24const_host_device_scalarIT2_EEPKiS6_PKS3_S8_S4_PS3_21rocsparse_index_base_b
; %bb.0:
	s_clause 0x2
	s_load_dwordx2 s[18:19], s[4:5], 0x40
	s_load_dwordx2 s[16:17], s[4:5], 0x8
	;; [unrolled: 1-line block ×3, first 2 shown]
	s_waitcnt lgkmcnt(0)
	s_bitcmp1_b32 s19, 0
	s_cselect_b32 s0, -1, 0
	s_and_b32 vcc_lo, exec_lo, s0
	s_xor_b32 s0, s0, -1
	s_cbranch_vccnz .LBB22_2
; %bb.1:
	s_load_dword s16, s[16:17], 0x0
.LBB22_2:
	s_andn2_b32 vcc_lo, exec_lo, s0
	s_cbranch_vccnz .LBB22_4
; %bb.3:
	s_load_dword s2, s[2:3], 0x0
.LBB22_4:
	s_waitcnt lgkmcnt(0)
	v_cmp_eq_f32_e64 s0, s16, 0
	v_cmp_eq_f32_e64 s1, s2, 1.0
	s_and_b32 s0, s0, s1
	s_and_b32 vcc_lo, exec_lo, s0
	s_cbranch_vccnz .LBB22_23
; %bb.5:
	s_load_dwordx2 s[0:1], s[4:5], 0x0
	v_lshrrev_b32_e32 v1, 4, v0
	v_lshl_or_b32 v1, s6, 3, v1
	s_waitcnt lgkmcnt(0)
	v_cmp_gt_i32_e32 vcc_lo, s0, v1
	s_and_saveexec_b32 s0, vcc_lo
	s_cbranch_execz .LBB22_23
; %bb.6:
	s_load_dwordx8 s[8:15], s[4:5], 0x10
	v_ashrrev_i32_e32 v2, 31, v1
	v_and_b32_e32 v0, 15, v0
	s_cmp_lg_u32 s1, 0
	v_lshlrev_b64 v[2:3], 2, v[1:2]
	s_waitcnt lgkmcnt(0)
	v_add_co_u32 v2, vcc_lo, s8, v2
	v_add_co_ci_u32_e64 v3, null, s9, v3, vcc_lo
	global_load_dwordx2 v[2:3], v[2:3], off
	s_waitcnt vmcnt(0)
	v_subrev_nc_u32_e32 v2, s18, v2
	v_subrev_nc_u32_e32 v11, s18, v3
	v_add_nc_u32_e32 v2, v2, v0
	v_cmp_lt_i32_e64 s0, v2, v11
	s_cbranch_scc0 .LBB22_12
; %bb.7:
	v_mov_b32_e32 v9, 0
	v_mov_b32_e32 v10, 0
	s_and_saveexec_b32 s3, s0
	s_cbranch_execz .LBB22_11
; %bb.8:
	v_mad_u64_u32 v[3:4], null, v2, 12, 10
	v_mov_b32_e32 v6, 0
	v_mov_b32_e32 v7, v2
	;; [unrolled: 1-line block ×4, first 2 shown]
	s_mov_b32 s6, 0
.LBB22_9:                               ; =>This Inner Loop Header: Depth=1
	v_ashrrev_i32_e32 v8, 31, v7
	v_mov_b32_e32 v17, v6
	v_lshlrev_b64 v[4:5], 2, v[7:8]
	v_add_nc_u32_e32 v7, 16, v7
	v_add_co_u32 v4, vcc_lo, s10, v4
	v_add_co_ci_u32_e64 v5, null, s11, v5, vcc_lo
	global_load_dword v8, v[4:5], off
	v_add_nc_u32_e32 v5, -10, v3
	v_mov_b32_e32 v4, v6
	v_lshlrev_b64 v[12:13], 2, v[5:6]
	v_add_nc_u32_e32 v5, -6, v3
	v_lshlrev_b64 v[18:19], 2, v[3:4]
	v_lshlrev_b64 v[4:5], 2, v[5:6]
	v_add_co_u32 v12, vcc_lo, s12, v12
	v_add_co_ci_u32_e64 v13, null, s13, v13, vcc_lo
	v_add_co_u32 v18, vcc_lo, s12, v18
	v_add_co_u32 v4, s1, s12, v4
	v_add_co_ci_u32_e64 v5, null, s13, v5, s1
	s_clause 0x1
	global_load_dwordx4 v[12:15], v[12:13], off
	global_load_dwordx2 v[20:21], v[4:5], off
	v_add_co_ci_u32_e64 v19, null, s13, v19, vcc_lo
	v_cmp_ge_i32_e32 vcc_lo, v7, v11
	s_or_b32 s6, vcc_lo, s6
	s_waitcnt vmcnt(2)
	v_subrev_nc_u32_e32 v4, s18, v8
	v_mul_lo_u32 v16, v4, 6
	v_lshlrev_b64 v[22:23], 2, v[16:17]
	v_add_nc_u32_e32 v5, 2, v16
	v_lshlrev_b64 v[24:25], 2, v[5:6]
	v_add_co_u32 v22, s1, s14, v22
	v_add_nc_u32_e32 v5, -4, v3
	v_add_co_ci_u32_e64 v23, null, s15, v23, s1
	v_add_co_u32 v24, s1, s14, v24
	v_lshlrev_b64 v[26:27], 2, v[5:6]
	v_add_nc_u32_e32 v5, -2, v3
	global_load_dwordx2 v[22:23], v[22:23], off
	v_add_co_ci_u32_e64 v25, null, s15, v25, s1
	v_add_nc_u32_e32 v3, 0xc0, v3
	v_lshlrev_b64 v[28:29], 2, v[5:6]
	v_add_nc_u32_e32 v5, 4, v16
	v_add_co_u32 v16, s1, s12, v26
	v_add_co_ci_u32_e64 v17, null, s13, v27, s1
	v_lshlrev_b64 v[4:5], 2, v[5:6]
	global_load_dwordx2 v[24:25], v[24:25], off
	v_add_co_u32 v26, s1, s12, v28
	global_load_dwordx2 v[16:17], v[16:17], off
	v_add_co_ci_u32_e64 v27, null, s13, v29, s1
	v_add_co_u32 v4, s1, s14, v4
	v_add_co_ci_u32_e64 v5, null, s15, v5, s1
	global_load_dwordx2 v[26:27], v[26:27], off
	global_load_dwordx2 v[4:5], v[4:5], off
	;; [unrolled: 1-line block ×3, first 2 shown]
	s_waitcnt vmcnt(5)
	v_fmac_f32_e32 v9, v12, v22
	v_fmac_f32_e32 v10, v13, v22
	;; [unrolled: 1-line block ×4, first 2 shown]
	s_waitcnt vmcnt(4)
	v_fmac_f32_e32 v9, v20, v24
	v_fmac_f32_e32 v10, v21, v24
	s_waitcnt vmcnt(3)
	v_fmac_f32_e32 v9, v16, v25
	v_fmac_f32_e32 v10, v17, v25
	;; [unrolled: 3-line block ×4, first 2 shown]
	s_andn2_b32 exec_lo, exec_lo, s6
	s_cbranch_execnz .LBB22_9
; %bb.10:
	s_or_b32 exec_lo, exec_lo, s6
.LBB22_11:
	s_or_b32 exec_lo, exec_lo, s3
	s_cbranch_execz .LBB22_13
	s_branch .LBB22_18
.LBB22_12:
                                        ; implicit-def: $vgpr9
                                        ; implicit-def: $vgpr10
.LBB22_13:
	v_mov_b32_e32 v9, 0
	v_mov_b32_e32 v10, 0
	s_and_saveexec_b32 s1, s0
	s_cbranch_execz .LBB22_17
; %bb.14:
	v_mad_u64_u32 v[4:5], null, v2, 12, 11
	v_mov_b32_e32 v7, 0
	v_mov_b32_e32 v9, 0
	;; [unrolled: 1-line block ×3, first 2 shown]
	s_mov_b32 s0, 0
.LBB22_15:                              ; =>This Inner Loop Header: Depth=1
	v_ashrrev_i32_e32 v3, 31, v2
	v_add_nc_u32_e32 v12, -5, v4
	v_mov_b32_e32 v13, v7
	v_mov_b32_e32 v17, v7
	v_lshlrev_b64 v[5:6], 2, v[2:3]
	v_add_nc_u32_e32 v2, 16, v2
	v_lshlrev_b64 v[12:13], 2, v[12:13]
	v_add_co_u32 v5, vcc_lo, s10, v5
	v_add_co_ci_u32_e64 v6, null, s11, v6, vcc_lo
	global_load_dword v3, v[5:6], off
	v_add_nc_u32_e32 v6, -11, v4
	v_mov_b32_e32 v5, v7
	v_lshlrev_b64 v[14:15], 2, v[6:7]
	v_add_nc_u32_e32 v6, -4, v4
	v_lshlrev_b64 v[18:19], 2, v[4:5]
	v_lshlrev_b64 v[5:6], 2, v[6:7]
	v_add_co_u32 v14, vcc_lo, s12, v14
	v_add_co_ci_u32_e64 v15, null, s13, v15, vcc_lo
	v_add_co_u32 v20, vcc_lo, s12, v12
	v_add_co_ci_u32_e64 v21, null, s13, v13, vcc_lo
	;; [unrolled: 2-line block ×4, first 2 shown]
	s_clause 0x2
	global_load_dwordx4 v[12:15], v[14:15], off
	global_load_dword v8, v[20:21], off
	global_load_dword v30, v[5:6], off
	s_waitcnt vmcnt(3)
	v_subrev_nc_u32_e32 v3, s18, v3
	v_mul_lo_u32 v16, v3, 6
	v_add_nc_u32_e32 v6, 2, v16
	v_lshlrev_b64 v[20:21], 2, v[16:17]
	v_lshlrev_b64 v[22:23], 2, v[6:7]
	v_add_nc_u32_e32 v6, -3, v4
	v_add_co_u32 v20, vcc_lo, s14, v20
	v_add_co_ci_u32_e64 v21, null, s15, v21, vcc_lo
	v_lshlrev_b64 v[24:25], 2, v[6:7]
	v_add_nc_u32_e32 v6, -2, v4
	v_add_co_u32 v22, vcc_lo, s14, v22
	v_add_co_ci_u32_e64 v23, null, s15, v23, vcc_lo
	;; [unrolled: 4-line block ×3, first 2 shown]
	v_lshlrev_b64 v[28:29], 2, v[6:7]
	v_add_nc_u32_e32 v6, 4, v16
	v_add_co_u32 v16, vcc_lo, s12, v26
	s_clause 0x1
	global_load_dwordx2 v[20:21], v[20:21], off
	global_load_dwordx2 v[22:23], v[22:23], off
	v_add_co_ci_u32_e64 v17, null, s13, v27, vcc_lo
	global_load_dword v3, v[24:25], off
	v_lshlrev_b64 v[24:25], 2, v[6:7]
	v_add_nc_u32_e32 v6, -1, v4
	global_load_dword v31, v[16:17], off
	v_add_co_u32 v16, vcc_lo, s12, v28
	v_add_co_ci_u32_e64 v17, null, s13, v29, vcc_lo
	v_lshlrev_b64 v[26:27], 2, v[6:7]
	v_add_nc_u32_e32 v6, -6, v4
	v_add_co_u32 v24, vcc_lo, s14, v24
	v_add_co_ci_u32_e64 v25, null, s15, v25, vcc_lo
	v_lshlrev_b64 v[5:6], 2, v[6:7]
	global_load_dword v28, v[16:17], off
	v_add_nc_u32_e32 v4, 0xc0, v4
	global_load_dwordx2 v[16:17], v[24:25], off
	v_add_co_u32 v24, vcc_lo, s12, v26
	v_add_co_ci_u32_e64 v25, null, s13, v27, vcc_lo
	v_add_co_u32 v5, vcc_lo, s12, v5
	v_add_co_ci_u32_e64 v6, null, s13, v6, vcc_lo
	s_clause 0x2
	global_load_dword v24, v[24:25], off
	global_load_dword v5, v[5:6], off
	;; [unrolled: 1-line block ×3, first 2 shown]
	v_cmp_ge_i32_e32 vcc_lo, v2, v11
	s_or_b32 s0, vcc_lo, s0
	s_waitcnt vmcnt(8)
	v_fmac_f32_e32 v9, v12, v20
	v_fmac_f32_e32 v10, v8, v20
	;; [unrolled: 1-line block ×4, first 2 shown]
	s_waitcnt vmcnt(7)
	v_fmac_f32_e32 v9, v14, v22
	s_waitcnt vmcnt(6)
	v_fmac_f32_e32 v10, v3, v22
	v_fmac_f32_e32 v9, v15, v23
	s_waitcnt vmcnt(5)
	v_fmac_f32_e32 v10, v31, v23
	s_waitcnt vmcnt(3)
	;; [unrolled: 2-line block ×5, first 2 shown]
	v_fmac_f32_e32 v10, v6, v17
	s_andn2_b32 exec_lo, exec_lo, s0
	s_cbranch_execnz .LBB22_15
; %bb.16:
	s_or_b32 exec_lo, exec_lo, s0
.LBB22_17:
	s_or_b32 exec_lo, exec_lo, s1
.LBB22_18:
	v_mbcnt_lo_u32_b32 v2, -1, 0
	s_mov_b32 s3, -1
	v_xor_b32_e32 v3, 8, v2
	v_xor_b32_e32 v5, 4, v2
	;; [unrolled: 1-line block ×3, first 2 shown]
	v_cmp_gt_i32_e32 vcc_lo, 32, v3
	v_cndmask_b32_e32 v3, v2, v3, vcc_lo
	v_cmp_gt_i32_e32 vcc_lo, 32, v5
	v_lshlrev_b32_e32 v3, 2, v3
	v_cndmask_b32_e32 v5, v2, v5, vcc_lo
	v_cmp_gt_i32_e32 vcc_lo, 32, v7
	ds_bpermute_b32 v4, v3, v9
	ds_bpermute_b32 v3, v3, v10
	v_lshlrev_b32_e32 v5, 2, v5
	v_cndmask_b32_e32 v7, v2, v7, vcc_lo
	v_lshlrev_b32_e32 v7, 2, v7
	s_waitcnt lgkmcnt(1)
	v_add_f32_e32 v4, v9, v4
	s_waitcnt lgkmcnt(0)
	v_add_f32_e32 v3, v10, v3
	ds_bpermute_b32 v6, v5, v4
	ds_bpermute_b32 v5, v5, v3
	s_waitcnt lgkmcnt(1)
	v_add_f32_e32 v4, v4, v6
	s_waitcnt lgkmcnt(0)
	v_add_f32_e32 v3, v3, v5
	ds_bpermute_b32 v5, v7, v4
	ds_bpermute_b32 v6, v7, v3
	v_xor_b32_e32 v7, 1, v2
	v_cmp_gt_i32_e32 vcc_lo, 32, v7
	v_cndmask_b32_e32 v2, v2, v7, vcc_lo
	v_cmp_eq_u32_e32 vcc_lo, 15, v0
	v_lshlrev_b32_e32 v7, 2, v2
	s_waitcnt lgkmcnt(1)
	v_add_f32_e32 v2, v4, v5
	s_waitcnt lgkmcnt(0)
	v_add_f32_e32 v3, v3, v6
	ds_bpermute_b32 v4, v7, v2
	ds_bpermute_b32 v5, v7, v3
	s_and_b32 exec_lo, exec_lo, vcc_lo
	s_cbranch_execz .LBB22_23
; %bb.19:
	s_load_dwordx2 s[0:1], s[4:5], 0x38
	s_waitcnt lgkmcnt(0)
	v_add_f32_e32 v0, v2, v4
	v_add_f32_e32 v3, v3, v5
	v_cmp_eq_f32_e64 s4, s2, 0
	v_mul_f32_e32 v2, s16, v0
	v_mul_f32_e32 v3, s16, v3
	v_lshlrev_b32_e32 v0, 1, v1
	s_and_b32 vcc_lo, exec_lo, s4
	s_cbranch_vccz .LBB22_21
; %bb.20:
	v_ashrrev_i32_e32 v1, 31, v0
	s_mov_b32 s3, 0
	v_lshlrev_b64 v[4:5], 2, v[0:1]
	v_add_co_u32 v4, vcc_lo, s0, v4
	v_add_co_ci_u32_e64 v5, null, s1, v5, vcc_lo
	global_store_dwordx2 v[4:5], v[2:3], off
.LBB22_21:
	s_andn2_b32 vcc_lo, exec_lo, s3
	s_cbranch_vccnz .LBB22_23
; %bb.22:
	v_ashrrev_i32_e32 v1, 31, v0
	v_lshlrev_b64 v[0:1], 2, v[0:1]
	v_add_co_u32 v0, vcc_lo, s0, v0
	v_add_co_ci_u32_e64 v1, null, s1, v1, vcc_lo
	global_load_dwordx2 v[4:5], v[0:1], off
	s_waitcnt vmcnt(0)
	v_fmac_f32_e32 v2, s2, v4
	v_fmac_f32_e32 v3, s2, v5
	global_store_dwordx2 v[0:1], v[2:3], off
.LBB22_23:
	s_endpgm
	.section	.rodata,"a",@progbits
	.p2align	6, 0x0
	.amdhsa_kernel _ZN9rocsparseL19gebsrmvn_2xn_kernelILj128ELj6ELj16EfEEvi20rocsparse_direction_NS_24const_host_device_scalarIT2_EEPKiS6_PKS3_S8_S4_PS3_21rocsparse_index_base_b
		.amdhsa_group_segment_fixed_size 0
		.amdhsa_private_segment_fixed_size 0
		.amdhsa_kernarg_size 72
		.amdhsa_user_sgpr_count 6
		.amdhsa_user_sgpr_private_segment_buffer 1
		.amdhsa_user_sgpr_dispatch_ptr 0
		.amdhsa_user_sgpr_queue_ptr 0
		.amdhsa_user_sgpr_kernarg_segment_ptr 1
		.amdhsa_user_sgpr_dispatch_id 0
		.amdhsa_user_sgpr_flat_scratch_init 0
		.amdhsa_user_sgpr_private_segment_size 0
		.amdhsa_wavefront_size32 1
		.amdhsa_uses_dynamic_stack 0
		.amdhsa_system_sgpr_private_segment_wavefront_offset 0
		.amdhsa_system_sgpr_workgroup_id_x 1
		.amdhsa_system_sgpr_workgroup_id_y 0
		.amdhsa_system_sgpr_workgroup_id_z 0
		.amdhsa_system_sgpr_workgroup_info 0
		.amdhsa_system_vgpr_workitem_id 0
		.amdhsa_next_free_vgpr 32
		.amdhsa_next_free_sgpr 20
		.amdhsa_reserve_vcc 1
		.amdhsa_reserve_flat_scratch 0
		.amdhsa_float_round_mode_32 0
		.amdhsa_float_round_mode_16_64 0
		.amdhsa_float_denorm_mode_32 3
		.amdhsa_float_denorm_mode_16_64 3
		.amdhsa_dx10_clamp 1
		.amdhsa_ieee_mode 1
		.amdhsa_fp16_overflow 0
		.amdhsa_workgroup_processor_mode 1
		.amdhsa_memory_ordered 1
		.amdhsa_forward_progress 1
		.amdhsa_shared_vgpr_count 0
		.amdhsa_exception_fp_ieee_invalid_op 0
		.amdhsa_exception_fp_denorm_src 0
		.amdhsa_exception_fp_ieee_div_zero 0
		.amdhsa_exception_fp_ieee_overflow 0
		.amdhsa_exception_fp_ieee_underflow 0
		.amdhsa_exception_fp_ieee_inexact 0
		.amdhsa_exception_int_div_zero 0
	.end_amdhsa_kernel
	.section	.text._ZN9rocsparseL19gebsrmvn_2xn_kernelILj128ELj6ELj16EfEEvi20rocsparse_direction_NS_24const_host_device_scalarIT2_EEPKiS6_PKS3_S8_S4_PS3_21rocsparse_index_base_b,"axG",@progbits,_ZN9rocsparseL19gebsrmvn_2xn_kernelILj128ELj6ELj16EfEEvi20rocsparse_direction_NS_24const_host_device_scalarIT2_EEPKiS6_PKS3_S8_S4_PS3_21rocsparse_index_base_b,comdat
.Lfunc_end22:
	.size	_ZN9rocsparseL19gebsrmvn_2xn_kernelILj128ELj6ELj16EfEEvi20rocsparse_direction_NS_24const_host_device_scalarIT2_EEPKiS6_PKS3_S8_S4_PS3_21rocsparse_index_base_b, .Lfunc_end22-_ZN9rocsparseL19gebsrmvn_2xn_kernelILj128ELj6ELj16EfEEvi20rocsparse_direction_NS_24const_host_device_scalarIT2_EEPKiS6_PKS3_S8_S4_PS3_21rocsparse_index_base_b
                                        ; -- End function
	.set _ZN9rocsparseL19gebsrmvn_2xn_kernelILj128ELj6ELj16EfEEvi20rocsparse_direction_NS_24const_host_device_scalarIT2_EEPKiS6_PKS3_S8_S4_PS3_21rocsparse_index_base_b.num_vgpr, 32
	.set _ZN9rocsparseL19gebsrmvn_2xn_kernelILj128ELj6ELj16EfEEvi20rocsparse_direction_NS_24const_host_device_scalarIT2_EEPKiS6_PKS3_S8_S4_PS3_21rocsparse_index_base_b.num_agpr, 0
	.set _ZN9rocsparseL19gebsrmvn_2xn_kernelILj128ELj6ELj16EfEEvi20rocsparse_direction_NS_24const_host_device_scalarIT2_EEPKiS6_PKS3_S8_S4_PS3_21rocsparse_index_base_b.numbered_sgpr, 20
	.set _ZN9rocsparseL19gebsrmvn_2xn_kernelILj128ELj6ELj16EfEEvi20rocsparse_direction_NS_24const_host_device_scalarIT2_EEPKiS6_PKS3_S8_S4_PS3_21rocsparse_index_base_b.num_named_barrier, 0
	.set _ZN9rocsparseL19gebsrmvn_2xn_kernelILj128ELj6ELj16EfEEvi20rocsparse_direction_NS_24const_host_device_scalarIT2_EEPKiS6_PKS3_S8_S4_PS3_21rocsparse_index_base_b.private_seg_size, 0
	.set _ZN9rocsparseL19gebsrmvn_2xn_kernelILj128ELj6ELj16EfEEvi20rocsparse_direction_NS_24const_host_device_scalarIT2_EEPKiS6_PKS3_S8_S4_PS3_21rocsparse_index_base_b.uses_vcc, 1
	.set _ZN9rocsparseL19gebsrmvn_2xn_kernelILj128ELj6ELj16EfEEvi20rocsparse_direction_NS_24const_host_device_scalarIT2_EEPKiS6_PKS3_S8_S4_PS3_21rocsparse_index_base_b.uses_flat_scratch, 0
	.set _ZN9rocsparseL19gebsrmvn_2xn_kernelILj128ELj6ELj16EfEEvi20rocsparse_direction_NS_24const_host_device_scalarIT2_EEPKiS6_PKS3_S8_S4_PS3_21rocsparse_index_base_b.has_dyn_sized_stack, 0
	.set _ZN9rocsparseL19gebsrmvn_2xn_kernelILj128ELj6ELj16EfEEvi20rocsparse_direction_NS_24const_host_device_scalarIT2_EEPKiS6_PKS3_S8_S4_PS3_21rocsparse_index_base_b.has_recursion, 0
	.set _ZN9rocsparseL19gebsrmvn_2xn_kernelILj128ELj6ELj16EfEEvi20rocsparse_direction_NS_24const_host_device_scalarIT2_EEPKiS6_PKS3_S8_S4_PS3_21rocsparse_index_base_b.has_indirect_call, 0
	.section	.AMDGPU.csdata,"",@progbits
; Kernel info:
; codeLenInByte = 1740
; TotalNumSgprs: 22
; NumVgprs: 32
; ScratchSize: 0
; MemoryBound: 0
; FloatMode: 240
; IeeeMode: 1
; LDSByteSize: 0 bytes/workgroup (compile time only)
; SGPRBlocks: 0
; VGPRBlocks: 3
; NumSGPRsForWavesPerEU: 22
; NumVGPRsForWavesPerEU: 32
; Occupancy: 16
; WaveLimiterHint : 1
; COMPUTE_PGM_RSRC2:SCRATCH_EN: 0
; COMPUTE_PGM_RSRC2:USER_SGPR: 6
; COMPUTE_PGM_RSRC2:TRAP_HANDLER: 0
; COMPUTE_PGM_RSRC2:TGID_X_EN: 1
; COMPUTE_PGM_RSRC2:TGID_Y_EN: 0
; COMPUTE_PGM_RSRC2:TGID_Z_EN: 0
; COMPUTE_PGM_RSRC2:TIDIG_COMP_CNT: 0
	.section	.text._ZN9rocsparseL19gebsrmvn_2xn_kernelILj128ELj6ELj32EfEEvi20rocsparse_direction_NS_24const_host_device_scalarIT2_EEPKiS6_PKS3_S8_S4_PS3_21rocsparse_index_base_b,"axG",@progbits,_ZN9rocsparseL19gebsrmvn_2xn_kernelILj128ELj6ELj32EfEEvi20rocsparse_direction_NS_24const_host_device_scalarIT2_EEPKiS6_PKS3_S8_S4_PS3_21rocsparse_index_base_b,comdat
	.globl	_ZN9rocsparseL19gebsrmvn_2xn_kernelILj128ELj6ELj32EfEEvi20rocsparse_direction_NS_24const_host_device_scalarIT2_EEPKiS6_PKS3_S8_S4_PS3_21rocsparse_index_base_b ; -- Begin function _ZN9rocsparseL19gebsrmvn_2xn_kernelILj128ELj6ELj32EfEEvi20rocsparse_direction_NS_24const_host_device_scalarIT2_EEPKiS6_PKS3_S8_S4_PS3_21rocsparse_index_base_b
	.p2align	8
	.type	_ZN9rocsparseL19gebsrmvn_2xn_kernelILj128ELj6ELj32EfEEvi20rocsparse_direction_NS_24const_host_device_scalarIT2_EEPKiS6_PKS3_S8_S4_PS3_21rocsparse_index_base_b,@function
_ZN9rocsparseL19gebsrmvn_2xn_kernelILj128ELj6ELj32EfEEvi20rocsparse_direction_NS_24const_host_device_scalarIT2_EEPKiS6_PKS3_S8_S4_PS3_21rocsparse_index_base_b: ; @_ZN9rocsparseL19gebsrmvn_2xn_kernelILj128ELj6ELj32EfEEvi20rocsparse_direction_NS_24const_host_device_scalarIT2_EEPKiS6_PKS3_S8_S4_PS3_21rocsparse_index_base_b
; %bb.0:
	s_clause 0x2
	s_load_dwordx2 s[18:19], s[4:5], 0x40
	s_load_dwordx2 s[16:17], s[4:5], 0x8
	s_load_dwordx2 s[2:3], s[4:5], 0x30
	s_waitcnt lgkmcnt(0)
	s_bitcmp1_b32 s19, 0
	s_cselect_b32 s0, -1, 0
	s_and_b32 vcc_lo, exec_lo, s0
	s_xor_b32 s0, s0, -1
	s_cbranch_vccnz .LBB23_2
; %bb.1:
	s_load_dword s16, s[16:17], 0x0
.LBB23_2:
	s_andn2_b32 vcc_lo, exec_lo, s0
	s_cbranch_vccnz .LBB23_4
; %bb.3:
	s_load_dword s2, s[2:3], 0x0
.LBB23_4:
	s_waitcnt lgkmcnt(0)
	v_cmp_eq_f32_e64 s0, s16, 0
	v_cmp_eq_f32_e64 s1, s2, 1.0
	s_and_b32 s0, s0, s1
	s_and_b32 vcc_lo, exec_lo, s0
	s_cbranch_vccnz .LBB23_23
; %bb.5:
	s_load_dwordx2 s[0:1], s[4:5], 0x0
	v_lshrrev_b32_e32 v1, 5, v0
	v_lshl_or_b32 v1, s6, 2, v1
	s_waitcnt lgkmcnt(0)
	v_cmp_gt_i32_e32 vcc_lo, s0, v1
	s_and_saveexec_b32 s0, vcc_lo
	s_cbranch_execz .LBB23_23
; %bb.6:
	s_load_dwordx8 s[8:15], s[4:5], 0x10
	v_ashrrev_i32_e32 v2, 31, v1
	v_and_b32_e32 v0, 31, v0
	s_cmp_lg_u32 s1, 0
	v_lshlrev_b64 v[2:3], 2, v[1:2]
	s_waitcnt lgkmcnt(0)
	v_add_co_u32 v2, vcc_lo, s8, v2
	v_add_co_ci_u32_e64 v3, null, s9, v3, vcc_lo
	global_load_dwordx2 v[2:3], v[2:3], off
	s_waitcnt vmcnt(0)
	v_subrev_nc_u32_e32 v2, s18, v2
	v_subrev_nc_u32_e32 v11, s18, v3
	v_add_nc_u32_e32 v2, v2, v0
	v_cmp_lt_i32_e64 s0, v2, v11
	s_cbranch_scc0 .LBB23_12
; %bb.7:
	v_mov_b32_e32 v9, 0
	v_mov_b32_e32 v10, 0
	s_and_saveexec_b32 s3, s0
	s_cbranch_execz .LBB23_11
; %bb.8:
	v_mad_u64_u32 v[3:4], null, v2, 12, 10
	v_mov_b32_e32 v6, 0
	v_mov_b32_e32 v7, v2
	;; [unrolled: 1-line block ×4, first 2 shown]
	s_mov_b32 s6, 0
.LBB23_9:                               ; =>This Inner Loop Header: Depth=1
	v_ashrrev_i32_e32 v8, 31, v7
	v_mov_b32_e32 v17, v6
	v_lshlrev_b64 v[4:5], 2, v[7:8]
	v_add_nc_u32_e32 v7, 32, v7
	v_add_co_u32 v4, vcc_lo, s10, v4
	v_add_co_ci_u32_e64 v5, null, s11, v5, vcc_lo
	global_load_dword v8, v[4:5], off
	v_add_nc_u32_e32 v5, -10, v3
	v_mov_b32_e32 v4, v6
	v_lshlrev_b64 v[12:13], 2, v[5:6]
	v_add_nc_u32_e32 v5, -6, v3
	v_lshlrev_b64 v[18:19], 2, v[3:4]
	v_lshlrev_b64 v[4:5], 2, v[5:6]
	v_add_co_u32 v12, vcc_lo, s12, v12
	v_add_co_ci_u32_e64 v13, null, s13, v13, vcc_lo
	v_add_co_u32 v18, vcc_lo, s12, v18
	v_add_co_u32 v4, s1, s12, v4
	v_add_co_ci_u32_e64 v5, null, s13, v5, s1
	s_clause 0x1
	global_load_dwordx4 v[12:15], v[12:13], off
	global_load_dwordx2 v[20:21], v[4:5], off
	v_add_co_ci_u32_e64 v19, null, s13, v19, vcc_lo
	v_cmp_ge_i32_e32 vcc_lo, v7, v11
	s_or_b32 s6, vcc_lo, s6
	s_waitcnt vmcnt(2)
	v_subrev_nc_u32_e32 v4, s18, v8
	v_mul_lo_u32 v16, v4, 6
	v_lshlrev_b64 v[22:23], 2, v[16:17]
	v_add_nc_u32_e32 v5, 2, v16
	v_lshlrev_b64 v[24:25], 2, v[5:6]
	v_add_co_u32 v22, s1, s14, v22
	v_add_nc_u32_e32 v5, -4, v3
	v_add_co_ci_u32_e64 v23, null, s15, v23, s1
	v_add_co_u32 v24, s1, s14, v24
	v_lshlrev_b64 v[26:27], 2, v[5:6]
	v_add_nc_u32_e32 v5, -2, v3
	global_load_dwordx2 v[22:23], v[22:23], off
	v_add_co_ci_u32_e64 v25, null, s15, v25, s1
	v_add_nc_u32_e32 v3, 0x180, v3
	v_lshlrev_b64 v[28:29], 2, v[5:6]
	v_add_nc_u32_e32 v5, 4, v16
	v_add_co_u32 v16, s1, s12, v26
	v_add_co_ci_u32_e64 v17, null, s13, v27, s1
	v_lshlrev_b64 v[4:5], 2, v[5:6]
	global_load_dwordx2 v[24:25], v[24:25], off
	v_add_co_u32 v26, s1, s12, v28
	global_load_dwordx2 v[16:17], v[16:17], off
	v_add_co_ci_u32_e64 v27, null, s13, v29, s1
	v_add_co_u32 v4, s1, s14, v4
	v_add_co_ci_u32_e64 v5, null, s15, v5, s1
	global_load_dwordx2 v[26:27], v[26:27], off
	global_load_dwordx2 v[4:5], v[4:5], off
	;; [unrolled: 1-line block ×3, first 2 shown]
	s_waitcnt vmcnt(5)
	v_fmac_f32_e32 v9, v12, v22
	v_fmac_f32_e32 v10, v13, v22
	;; [unrolled: 1-line block ×4, first 2 shown]
	s_waitcnt vmcnt(4)
	v_fmac_f32_e32 v9, v20, v24
	v_fmac_f32_e32 v10, v21, v24
	s_waitcnt vmcnt(3)
	v_fmac_f32_e32 v9, v16, v25
	v_fmac_f32_e32 v10, v17, v25
	;; [unrolled: 3-line block ×4, first 2 shown]
	s_andn2_b32 exec_lo, exec_lo, s6
	s_cbranch_execnz .LBB23_9
; %bb.10:
	s_or_b32 exec_lo, exec_lo, s6
.LBB23_11:
	s_or_b32 exec_lo, exec_lo, s3
	s_cbranch_execz .LBB23_13
	s_branch .LBB23_18
.LBB23_12:
                                        ; implicit-def: $vgpr9
                                        ; implicit-def: $vgpr10
.LBB23_13:
	v_mov_b32_e32 v9, 0
	v_mov_b32_e32 v10, 0
	s_and_saveexec_b32 s1, s0
	s_cbranch_execz .LBB23_17
; %bb.14:
	v_mad_u64_u32 v[4:5], null, v2, 12, 11
	v_mov_b32_e32 v7, 0
	v_mov_b32_e32 v9, 0
	;; [unrolled: 1-line block ×3, first 2 shown]
	s_mov_b32 s0, 0
.LBB23_15:                              ; =>This Inner Loop Header: Depth=1
	v_ashrrev_i32_e32 v3, 31, v2
	v_add_nc_u32_e32 v12, -5, v4
	v_mov_b32_e32 v13, v7
	v_mov_b32_e32 v17, v7
	v_lshlrev_b64 v[5:6], 2, v[2:3]
	v_add_nc_u32_e32 v2, 32, v2
	v_lshlrev_b64 v[12:13], 2, v[12:13]
	v_add_co_u32 v5, vcc_lo, s10, v5
	v_add_co_ci_u32_e64 v6, null, s11, v6, vcc_lo
	global_load_dword v3, v[5:6], off
	v_add_nc_u32_e32 v6, -11, v4
	v_mov_b32_e32 v5, v7
	v_lshlrev_b64 v[14:15], 2, v[6:7]
	v_add_nc_u32_e32 v6, -4, v4
	v_lshlrev_b64 v[18:19], 2, v[4:5]
	v_lshlrev_b64 v[5:6], 2, v[6:7]
	v_add_co_u32 v14, vcc_lo, s12, v14
	v_add_co_ci_u32_e64 v15, null, s13, v15, vcc_lo
	v_add_co_u32 v20, vcc_lo, s12, v12
	v_add_co_ci_u32_e64 v21, null, s13, v13, vcc_lo
	;; [unrolled: 2-line block ×4, first 2 shown]
	s_clause 0x2
	global_load_dwordx4 v[12:15], v[14:15], off
	global_load_dword v8, v[20:21], off
	global_load_dword v30, v[5:6], off
	s_waitcnt vmcnt(3)
	v_subrev_nc_u32_e32 v3, s18, v3
	v_mul_lo_u32 v16, v3, 6
	v_add_nc_u32_e32 v6, 2, v16
	v_lshlrev_b64 v[20:21], 2, v[16:17]
	v_lshlrev_b64 v[22:23], 2, v[6:7]
	v_add_nc_u32_e32 v6, -3, v4
	v_add_co_u32 v20, vcc_lo, s14, v20
	v_add_co_ci_u32_e64 v21, null, s15, v21, vcc_lo
	v_lshlrev_b64 v[24:25], 2, v[6:7]
	v_add_nc_u32_e32 v6, -2, v4
	v_add_co_u32 v22, vcc_lo, s14, v22
	v_add_co_ci_u32_e64 v23, null, s15, v23, vcc_lo
	;; [unrolled: 4-line block ×3, first 2 shown]
	v_lshlrev_b64 v[28:29], 2, v[6:7]
	v_add_nc_u32_e32 v6, 4, v16
	v_add_co_u32 v16, vcc_lo, s12, v26
	s_clause 0x1
	global_load_dwordx2 v[20:21], v[20:21], off
	global_load_dwordx2 v[22:23], v[22:23], off
	v_add_co_ci_u32_e64 v17, null, s13, v27, vcc_lo
	global_load_dword v3, v[24:25], off
	v_lshlrev_b64 v[24:25], 2, v[6:7]
	v_add_nc_u32_e32 v6, -1, v4
	global_load_dword v31, v[16:17], off
	v_add_co_u32 v16, vcc_lo, s12, v28
	v_add_co_ci_u32_e64 v17, null, s13, v29, vcc_lo
	v_lshlrev_b64 v[26:27], 2, v[6:7]
	v_add_nc_u32_e32 v6, -6, v4
	v_add_co_u32 v24, vcc_lo, s14, v24
	v_add_co_ci_u32_e64 v25, null, s15, v25, vcc_lo
	v_lshlrev_b64 v[5:6], 2, v[6:7]
	global_load_dword v28, v[16:17], off
	v_add_nc_u32_e32 v4, 0x180, v4
	global_load_dwordx2 v[16:17], v[24:25], off
	v_add_co_u32 v24, vcc_lo, s12, v26
	v_add_co_ci_u32_e64 v25, null, s13, v27, vcc_lo
	v_add_co_u32 v5, vcc_lo, s12, v5
	v_add_co_ci_u32_e64 v6, null, s13, v6, vcc_lo
	s_clause 0x2
	global_load_dword v24, v[24:25], off
	global_load_dword v5, v[5:6], off
	;; [unrolled: 1-line block ×3, first 2 shown]
	v_cmp_ge_i32_e32 vcc_lo, v2, v11
	s_or_b32 s0, vcc_lo, s0
	s_waitcnt vmcnt(8)
	v_fmac_f32_e32 v9, v12, v20
	v_fmac_f32_e32 v10, v8, v20
	;; [unrolled: 1-line block ×4, first 2 shown]
	s_waitcnt vmcnt(7)
	v_fmac_f32_e32 v9, v14, v22
	s_waitcnt vmcnt(6)
	v_fmac_f32_e32 v10, v3, v22
	v_fmac_f32_e32 v9, v15, v23
	s_waitcnt vmcnt(5)
	v_fmac_f32_e32 v10, v31, v23
	s_waitcnt vmcnt(3)
	;; [unrolled: 2-line block ×5, first 2 shown]
	v_fmac_f32_e32 v10, v6, v17
	s_andn2_b32 exec_lo, exec_lo, s0
	s_cbranch_execnz .LBB23_15
; %bb.16:
	s_or_b32 exec_lo, exec_lo, s0
.LBB23_17:
	s_or_b32 exec_lo, exec_lo, s1
.LBB23_18:
	v_mbcnt_lo_u32_b32 v2, -1, 0
	s_mov_b32 s3, -1
	v_xor_b32_e32 v3, 16, v2
	v_xor_b32_e32 v5, 8, v2
	v_xor_b32_e32 v7, 4, v2
	v_cmp_gt_i32_e32 vcc_lo, 32, v3
	v_cndmask_b32_e32 v3, v2, v3, vcc_lo
	v_cmp_gt_i32_e32 vcc_lo, 32, v5
	v_lshlrev_b32_e32 v3, 2, v3
	v_cndmask_b32_e32 v5, v2, v5, vcc_lo
	v_cmp_gt_i32_e32 vcc_lo, 32, v7
	ds_bpermute_b32 v4, v3, v9
	ds_bpermute_b32 v3, v3, v10
	v_lshlrev_b32_e32 v5, 2, v5
	v_cndmask_b32_e32 v7, v2, v7, vcc_lo
	v_lshlrev_b32_e32 v7, 2, v7
	s_waitcnt lgkmcnt(1)
	v_add_f32_e32 v4, v9, v4
	s_waitcnt lgkmcnt(0)
	v_add_f32_e32 v3, v10, v3
	ds_bpermute_b32 v6, v5, v4
	ds_bpermute_b32 v5, v5, v3
	s_waitcnt lgkmcnt(1)
	v_add_f32_e32 v4, v4, v6
	s_waitcnt lgkmcnt(0)
	v_add_f32_e32 v3, v3, v5
	ds_bpermute_b32 v5, v7, v4
	ds_bpermute_b32 v6, v7, v3
	v_xor_b32_e32 v7, 2, v2
	v_cmp_gt_i32_e32 vcc_lo, 32, v7
	v_cndmask_b32_e32 v7, v2, v7, vcc_lo
	v_lshlrev_b32_e32 v7, 2, v7
	s_waitcnt lgkmcnt(1)
	v_add_f32_e32 v4, v4, v5
	s_waitcnt lgkmcnt(0)
	v_add_f32_e32 v3, v3, v6
	ds_bpermute_b32 v5, v7, v4
	ds_bpermute_b32 v6, v7, v3
	v_xor_b32_e32 v7, 1, v2
	v_cmp_gt_i32_e32 vcc_lo, 32, v7
	v_cndmask_b32_e32 v2, v2, v7, vcc_lo
	v_cmp_eq_u32_e32 vcc_lo, 31, v0
	v_lshlrev_b32_e32 v7, 2, v2
	s_waitcnt lgkmcnt(1)
	v_add_f32_e32 v2, v4, v5
	s_waitcnt lgkmcnt(0)
	v_add_f32_e32 v3, v3, v6
	ds_bpermute_b32 v4, v7, v2
	ds_bpermute_b32 v5, v7, v3
	s_and_b32 exec_lo, exec_lo, vcc_lo
	s_cbranch_execz .LBB23_23
; %bb.19:
	s_load_dwordx2 s[0:1], s[4:5], 0x38
	s_waitcnt lgkmcnt(0)
	v_add_f32_e32 v0, v2, v4
	v_add_f32_e32 v3, v3, v5
	v_cmp_eq_f32_e64 s4, s2, 0
	v_mul_f32_e32 v2, s16, v0
	v_mul_f32_e32 v3, s16, v3
	v_lshlrev_b32_e32 v0, 1, v1
	s_and_b32 vcc_lo, exec_lo, s4
	s_cbranch_vccz .LBB23_21
; %bb.20:
	v_ashrrev_i32_e32 v1, 31, v0
	s_mov_b32 s3, 0
	v_lshlrev_b64 v[4:5], 2, v[0:1]
	v_add_co_u32 v4, vcc_lo, s0, v4
	v_add_co_ci_u32_e64 v5, null, s1, v5, vcc_lo
	global_store_dwordx2 v[4:5], v[2:3], off
.LBB23_21:
	s_andn2_b32 vcc_lo, exec_lo, s3
	s_cbranch_vccnz .LBB23_23
; %bb.22:
	v_ashrrev_i32_e32 v1, 31, v0
	v_lshlrev_b64 v[0:1], 2, v[0:1]
	v_add_co_u32 v0, vcc_lo, s0, v0
	v_add_co_ci_u32_e64 v1, null, s1, v1, vcc_lo
	global_load_dwordx2 v[4:5], v[0:1], off
	s_waitcnt vmcnt(0)
	v_fmac_f32_e32 v2, s2, v4
	v_fmac_f32_e32 v3, s2, v5
	global_store_dwordx2 v[0:1], v[2:3], off
.LBB23_23:
	s_endpgm
	.section	.rodata,"a",@progbits
	.p2align	6, 0x0
	.amdhsa_kernel _ZN9rocsparseL19gebsrmvn_2xn_kernelILj128ELj6ELj32EfEEvi20rocsparse_direction_NS_24const_host_device_scalarIT2_EEPKiS6_PKS3_S8_S4_PS3_21rocsparse_index_base_b
		.amdhsa_group_segment_fixed_size 0
		.amdhsa_private_segment_fixed_size 0
		.amdhsa_kernarg_size 72
		.amdhsa_user_sgpr_count 6
		.amdhsa_user_sgpr_private_segment_buffer 1
		.amdhsa_user_sgpr_dispatch_ptr 0
		.amdhsa_user_sgpr_queue_ptr 0
		.amdhsa_user_sgpr_kernarg_segment_ptr 1
		.amdhsa_user_sgpr_dispatch_id 0
		.amdhsa_user_sgpr_flat_scratch_init 0
		.amdhsa_user_sgpr_private_segment_size 0
		.amdhsa_wavefront_size32 1
		.amdhsa_uses_dynamic_stack 0
		.amdhsa_system_sgpr_private_segment_wavefront_offset 0
		.amdhsa_system_sgpr_workgroup_id_x 1
		.amdhsa_system_sgpr_workgroup_id_y 0
		.amdhsa_system_sgpr_workgroup_id_z 0
		.amdhsa_system_sgpr_workgroup_info 0
		.amdhsa_system_vgpr_workitem_id 0
		.amdhsa_next_free_vgpr 32
		.amdhsa_next_free_sgpr 20
		.amdhsa_reserve_vcc 1
		.amdhsa_reserve_flat_scratch 0
		.amdhsa_float_round_mode_32 0
		.amdhsa_float_round_mode_16_64 0
		.amdhsa_float_denorm_mode_32 3
		.amdhsa_float_denorm_mode_16_64 3
		.amdhsa_dx10_clamp 1
		.amdhsa_ieee_mode 1
		.amdhsa_fp16_overflow 0
		.amdhsa_workgroup_processor_mode 1
		.amdhsa_memory_ordered 1
		.amdhsa_forward_progress 1
		.amdhsa_shared_vgpr_count 0
		.amdhsa_exception_fp_ieee_invalid_op 0
		.amdhsa_exception_fp_denorm_src 0
		.amdhsa_exception_fp_ieee_div_zero 0
		.amdhsa_exception_fp_ieee_overflow 0
		.amdhsa_exception_fp_ieee_underflow 0
		.amdhsa_exception_fp_ieee_inexact 0
		.amdhsa_exception_int_div_zero 0
	.end_amdhsa_kernel
	.section	.text._ZN9rocsparseL19gebsrmvn_2xn_kernelILj128ELj6ELj32EfEEvi20rocsparse_direction_NS_24const_host_device_scalarIT2_EEPKiS6_PKS3_S8_S4_PS3_21rocsparse_index_base_b,"axG",@progbits,_ZN9rocsparseL19gebsrmvn_2xn_kernelILj128ELj6ELj32EfEEvi20rocsparse_direction_NS_24const_host_device_scalarIT2_EEPKiS6_PKS3_S8_S4_PS3_21rocsparse_index_base_b,comdat
.Lfunc_end23:
	.size	_ZN9rocsparseL19gebsrmvn_2xn_kernelILj128ELj6ELj32EfEEvi20rocsparse_direction_NS_24const_host_device_scalarIT2_EEPKiS6_PKS3_S8_S4_PS3_21rocsparse_index_base_b, .Lfunc_end23-_ZN9rocsparseL19gebsrmvn_2xn_kernelILj128ELj6ELj32EfEEvi20rocsparse_direction_NS_24const_host_device_scalarIT2_EEPKiS6_PKS3_S8_S4_PS3_21rocsparse_index_base_b
                                        ; -- End function
	.set _ZN9rocsparseL19gebsrmvn_2xn_kernelILj128ELj6ELj32EfEEvi20rocsparse_direction_NS_24const_host_device_scalarIT2_EEPKiS6_PKS3_S8_S4_PS3_21rocsparse_index_base_b.num_vgpr, 32
	.set _ZN9rocsparseL19gebsrmvn_2xn_kernelILj128ELj6ELj32EfEEvi20rocsparse_direction_NS_24const_host_device_scalarIT2_EEPKiS6_PKS3_S8_S4_PS3_21rocsparse_index_base_b.num_agpr, 0
	.set _ZN9rocsparseL19gebsrmvn_2xn_kernelILj128ELj6ELj32EfEEvi20rocsparse_direction_NS_24const_host_device_scalarIT2_EEPKiS6_PKS3_S8_S4_PS3_21rocsparse_index_base_b.numbered_sgpr, 20
	.set _ZN9rocsparseL19gebsrmvn_2xn_kernelILj128ELj6ELj32EfEEvi20rocsparse_direction_NS_24const_host_device_scalarIT2_EEPKiS6_PKS3_S8_S4_PS3_21rocsparse_index_base_b.num_named_barrier, 0
	.set _ZN9rocsparseL19gebsrmvn_2xn_kernelILj128ELj6ELj32EfEEvi20rocsparse_direction_NS_24const_host_device_scalarIT2_EEPKiS6_PKS3_S8_S4_PS3_21rocsparse_index_base_b.private_seg_size, 0
	.set _ZN9rocsparseL19gebsrmvn_2xn_kernelILj128ELj6ELj32EfEEvi20rocsparse_direction_NS_24const_host_device_scalarIT2_EEPKiS6_PKS3_S8_S4_PS3_21rocsparse_index_base_b.uses_vcc, 1
	.set _ZN9rocsparseL19gebsrmvn_2xn_kernelILj128ELj6ELj32EfEEvi20rocsparse_direction_NS_24const_host_device_scalarIT2_EEPKiS6_PKS3_S8_S4_PS3_21rocsparse_index_base_b.uses_flat_scratch, 0
	.set _ZN9rocsparseL19gebsrmvn_2xn_kernelILj128ELj6ELj32EfEEvi20rocsparse_direction_NS_24const_host_device_scalarIT2_EEPKiS6_PKS3_S8_S4_PS3_21rocsparse_index_base_b.has_dyn_sized_stack, 0
	.set _ZN9rocsparseL19gebsrmvn_2xn_kernelILj128ELj6ELj32EfEEvi20rocsparse_direction_NS_24const_host_device_scalarIT2_EEPKiS6_PKS3_S8_S4_PS3_21rocsparse_index_base_b.has_recursion, 0
	.set _ZN9rocsparseL19gebsrmvn_2xn_kernelILj128ELj6ELj32EfEEvi20rocsparse_direction_NS_24const_host_device_scalarIT2_EEPKiS6_PKS3_S8_S4_PS3_21rocsparse_index_base_b.has_indirect_call, 0
	.section	.AMDGPU.csdata,"",@progbits
; Kernel info:
; codeLenInByte = 1788
; TotalNumSgprs: 22
; NumVgprs: 32
; ScratchSize: 0
; MemoryBound: 0
; FloatMode: 240
; IeeeMode: 1
; LDSByteSize: 0 bytes/workgroup (compile time only)
; SGPRBlocks: 0
; VGPRBlocks: 3
; NumSGPRsForWavesPerEU: 22
; NumVGPRsForWavesPerEU: 32
; Occupancy: 16
; WaveLimiterHint : 1
; COMPUTE_PGM_RSRC2:SCRATCH_EN: 0
; COMPUTE_PGM_RSRC2:USER_SGPR: 6
; COMPUTE_PGM_RSRC2:TRAP_HANDLER: 0
; COMPUTE_PGM_RSRC2:TGID_X_EN: 1
; COMPUTE_PGM_RSRC2:TGID_Y_EN: 0
; COMPUTE_PGM_RSRC2:TGID_Z_EN: 0
; COMPUTE_PGM_RSRC2:TIDIG_COMP_CNT: 0
	.section	.text._ZN9rocsparseL19gebsrmvn_2xn_kernelILj128ELj6ELj64EfEEvi20rocsparse_direction_NS_24const_host_device_scalarIT2_EEPKiS6_PKS3_S8_S4_PS3_21rocsparse_index_base_b,"axG",@progbits,_ZN9rocsparseL19gebsrmvn_2xn_kernelILj128ELj6ELj64EfEEvi20rocsparse_direction_NS_24const_host_device_scalarIT2_EEPKiS6_PKS3_S8_S4_PS3_21rocsparse_index_base_b,comdat
	.globl	_ZN9rocsparseL19gebsrmvn_2xn_kernelILj128ELj6ELj64EfEEvi20rocsparse_direction_NS_24const_host_device_scalarIT2_EEPKiS6_PKS3_S8_S4_PS3_21rocsparse_index_base_b ; -- Begin function _ZN9rocsparseL19gebsrmvn_2xn_kernelILj128ELj6ELj64EfEEvi20rocsparse_direction_NS_24const_host_device_scalarIT2_EEPKiS6_PKS3_S8_S4_PS3_21rocsparse_index_base_b
	.p2align	8
	.type	_ZN9rocsparseL19gebsrmvn_2xn_kernelILj128ELj6ELj64EfEEvi20rocsparse_direction_NS_24const_host_device_scalarIT2_EEPKiS6_PKS3_S8_S4_PS3_21rocsparse_index_base_b,@function
_ZN9rocsparseL19gebsrmvn_2xn_kernelILj128ELj6ELj64EfEEvi20rocsparse_direction_NS_24const_host_device_scalarIT2_EEPKiS6_PKS3_S8_S4_PS3_21rocsparse_index_base_b: ; @_ZN9rocsparseL19gebsrmvn_2xn_kernelILj128ELj6ELj64EfEEvi20rocsparse_direction_NS_24const_host_device_scalarIT2_EEPKiS6_PKS3_S8_S4_PS3_21rocsparse_index_base_b
; %bb.0:
	s_clause 0x2
	s_load_dwordx2 s[18:19], s[4:5], 0x40
	s_load_dwordx2 s[16:17], s[4:5], 0x8
	s_load_dwordx2 s[2:3], s[4:5], 0x30
	s_waitcnt lgkmcnt(0)
	s_bitcmp1_b32 s19, 0
	s_cselect_b32 s0, -1, 0
	s_and_b32 vcc_lo, exec_lo, s0
	s_xor_b32 s0, s0, -1
	s_cbranch_vccnz .LBB24_2
; %bb.1:
	s_load_dword s16, s[16:17], 0x0
.LBB24_2:
	s_andn2_b32 vcc_lo, exec_lo, s0
	s_cbranch_vccnz .LBB24_4
; %bb.3:
	s_load_dword s2, s[2:3], 0x0
.LBB24_4:
	s_waitcnt lgkmcnt(0)
	v_cmp_eq_f32_e64 s0, s16, 0
	v_cmp_eq_f32_e64 s1, s2, 1.0
	s_and_b32 s0, s0, s1
	s_and_b32 vcc_lo, exec_lo, s0
	s_cbranch_vccnz .LBB24_23
; %bb.5:
	s_load_dwordx2 s[0:1], s[4:5], 0x0
	v_lshrrev_b32_e32 v1, 6, v0
	v_lshl_or_b32 v1, s6, 1, v1
	s_waitcnt lgkmcnt(0)
	v_cmp_gt_i32_e32 vcc_lo, s0, v1
	s_and_saveexec_b32 s0, vcc_lo
	s_cbranch_execz .LBB24_23
; %bb.6:
	s_load_dwordx8 s[8:15], s[4:5], 0x10
	v_ashrrev_i32_e32 v2, 31, v1
	v_and_b32_e32 v0, 63, v0
	s_cmp_lg_u32 s1, 0
	v_lshlrev_b64 v[2:3], 2, v[1:2]
	s_waitcnt lgkmcnt(0)
	v_add_co_u32 v2, vcc_lo, s8, v2
	v_add_co_ci_u32_e64 v3, null, s9, v3, vcc_lo
	global_load_dwordx2 v[2:3], v[2:3], off
	s_waitcnt vmcnt(0)
	v_subrev_nc_u32_e32 v2, s18, v2
	v_subrev_nc_u32_e32 v11, s18, v3
	v_add_nc_u32_e32 v2, v2, v0
	v_cmp_lt_i32_e64 s0, v2, v11
	s_cbranch_scc0 .LBB24_12
; %bb.7:
	v_mov_b32_e32 v9, 0
	v_mov_b32_e32 v10, 0
	s_and_saveexec_b32 s3, s0
	s_cbranch_execz .LBB24_11
; %bb.8:
	v_mad_u64_u32 v[3:4], null, v2, 12, 10
	v_mov_b32_e32 v6, 0
	v_mov_b32_e32 v7, v2
	;; [unrolled: 1-line block ×4, first 2 shown]
	s_mov_b32 s6, 0
.LBB24_9:                               ; =>This Inner Loop Header: Depth=1
	v_ashrrev_i32_e32 v8, 31, v7
	v_mov_b32_e32 v17, v6
	v_lshlrev_b64 v[4:5], 2, v[7:8]
	v_add_nc_u32_e32 v7, 64, v7
	v_add_co_u32 v4, vcc_lo, s10, v4
	v_add_co_ci_u32_e64 v5, null, s11, v5, vcc_lo
	global_load_dword v8, v[4:5], off
	v_add_nc_u32_e32 v5, -10, v3
	v_mov_b32_e32 v4, v6
	v_lshlrev_b64 v[12:13], 2, v[5:6]
	v_add_nc_u32_e32 v5, -6, v3
	v_lshlrev_b64 v[18:19], 2, v[3:4]
	v_lshlrev_b64 v[4:5], 2, v[5:6]
	v_add_co_u32 v12, vcc_lo, s12, v12
	v_add_co_ci_u32_e64 v13, null, s13, v13, vcc_lo
	v_add_co_u32 v18, vcc_lo, s12, v18
	v_add_co_u32 v4, s1, s12, v4
	v_add_co_ci_u32_e64 v5, null, s13, v5, s1
	s_clause 0x1
	global_load_dwordx4 v[12:15], v[12:13], off
	global_load_dwordx2 v[20:21], v[4:5], off
	v_add_co_ci_u32_e64 v19, null, s13, v19, vcc_lo
	v_cmp_ge_i32_e32 vcc_lo, v7, v11
	s_or_b32 s6, vcc_lo, s6
	s_waitcnt vmcnt(2)
	v_subrev_nc_u32_e32 v4, s18, v8
	v_mul_lo_u32 v16, v4, 6
	v_lshlrev_b64 v[22:23], 2, v[16:17]
	v_add_nc_u32_e32 v5, 2, v16
	v_lshlrev_b64 v[24:25], 2, v[5:6]
	v_add_co_u32 v22, s1, s14, v22
	v_add_nc_u32_e32 v5, -4, v3
	v_add_co_ci_u32_e64 v23, null, s15, v23, s1
	v_add_co_u32 v24, s1, s14, v24
	v_lshlrev_b64 v[26:27], 2, v[5:6]
	v_add_nc_u32_e32 v5, -2, v3
	global_load_dwordx2 v[22:23], v[22:23], off
	v_add_co_ci_u32_e64 v25, null, s15, v25, s1
	v_add_nc_u32_e32 v3, 0x300, v3
	v_lshlrev_b64 v[28:29], 2, v[5:6]
	v_add_nc_u32_e32 v5, 4, v16
	v_add_co_u32 v16, s1, s12, v26
	v_add_co_ci_u32_e64 v17, null, s13, v27, s1
	v_lshlrev_b64 v[4:5], 2, v[5:6]
	global_load_dwordx2 v[24:25], v[24:25], off
	v_add_co_u32 v26, s1, s12, v28
	global_load_dwordx2 v[16:17], v[16:17], off
	v_add_co_ci_u32_e64 v27, null, s13, v29, s1
	v_add_co_u32 v4, s1, s14, v4
	v_add_co_ci_u32_e64 v5, null, s15, v5, s1
	global_load_dwordx2 v[26:27], v[26:27], off
	global_load_dwordx2 v[4:5], v[4:5], off
	global_load_dwordx2 v[18:19], v[18:19], off
	s_waitcnt vmcnt(5)
	v_fmac_f32_e32 v9, v12, v22
	v_fmac_f32_e32 v10, v13, v22
	;; [unrolled: 1-line block ×4, first 2 shown]
	s_waitcnt vmcnt(4)
	v_fmac_f32_e32 v9, v20, v24
	v_fmac_f32_e32 v10, v21, v24
	s_waitcnt vmcnt(3)
	v_fmac_f32_e32 v9, v16, v25
	v_fmac_f32_e32 v10, v17, v25
	;; [unrolled: 3-line block ×4, first 2 shown]
	s_andn2_b32 exec_lo, exec_lo, s6
	s_cbranch_execnz .LBB24_9
; %bb.10:
	s_or_b32 exec_lo, exec_lo, s6
.LBB24_11:
	s_or_b32 exec_lo, exec_lo, s3
	s_cbranch_execz .LBB24_13
	s_branch .LBB24_18
.LBB24_12:
                                        ; implicit-def: $vgpr9
                                        ; implicit-def: $vgpr10
.LBB24_13:
	v_mov_b32_e32 v9, 0
	v_mov_b32_e32 v10, 0
	s_and_saveexec_b32 s1, s0
	s_cbranch_execz .LBB24_17
; %bb.14:
	v_mad_u64_u32 v[4:5], null, v2, 12, 11
	v_mov_b32_e32 v7, 0
	v_mov_b32_e32 v9, 0
	;; [unrolled: 1-line block ×3, first 2 shown]
	s_mov_b32 s0, 0
.LBB24_15:                              ; =>This Inner Loop Header: Depth=1
	v_ashrrev_i32_e32 v3, 31, v2
	v_add_nc_u32_e32 v12, -5, v4
	v_mov_b32_e32 v13, v7
	v_mov_b32_e32 v17, v7
	v_lshlrev_b64 v[5:6], 2, v[2:3]
	v_add_nc_u32_e32 v2, 64, v2
	v_lshlrev_b64 v[12:13], 2, v[12:13]
	v_add_co_u32 v5, vcc_lo, s10, v5
	v_add_co_ci_u32_e64 v6, null, s11, v6, vcc_lo
	global_load_dword v3, v[5:6], off
	v_add_nc_u32_e32 v6, -11, v4
	v_mov_b32_e32 v5, v7
	v_lshlrev_b64 v[14:15], 2, v[6:7]
	v_add_nc_u32_e32 v6, -4, v4
	v_lshlrev_b64 v[18:19], 2, v[4:5]
	v_lshlrev_b64 v[5:6], 2, v[6:7]
	v_add_co_u32 v14, vcc_lo, s12, v14
	v_add_co_ci_u32_e64 v15, null, s13, v15, vcc_lo
	v_add_co_u32 v20, vcc_lo, s12, v12
	v_add_co_ci_u32_e64 v21, null, s13, v13, vcc_lo
	;; [unrolled: 2-line block ×4, first 2 shown]
	s_clause 0x2
	global_load_dwordx4 v[12:15], v[14:15], off
	global_load_dword v8, v[20:21], off
	global_load_dword v30, v[5:6], off
	s_waitcnt vmcnt(3)
	v_subrev_nc_u32_e32 v3, s18, v3
	v_mul_lo_u32 v16, v3, 6
	v_add_nc_u32_e32 v6, 2, v16
	v_lshlrev_b64 v[20:21], 2, v[16:17]
	v_lshlrev_b64 v[22:23], 2, v[6:7]
	v_add_nc_u32_e32 v6, -3, v4
	v_add_co_u32 v20, vcc_lo, s14, v20
	v_add_co_ci_u32_e64 v21, null, s15, v21, vcc_lo
	v_lshlrev_b64 v[24:25], 2, v[6:7]
	v_add_nc_u32_e32 v6, -2, v4
	v_add_co_u32 v22, vcc_lo, s14, v22
	v_add_co_ci_u32_e64 v23, null, s15, v23, vcc_lo
	;; [unrolled: 4-line block ×3, first 2 shown]
	v_lshlrev_b64 v[28:29], 2, v[6:7]
	v_add_nc_u32_e32 v6, 4, v16
	v_add_co_u32 v16, vcc_lo, s12, v26
	s_clause 0x1
	global_load_dwordx2 v[20:21], v[20:21], off
	global_load_dwordx2 v[22:23], v[22:23], off
	v_add_co_ci_u32_e64 v17, null, s13, v27, vcc_lo
	global_load_dword v3, v[24:25], off
	v_lshlrev_b64 v[24:25], 2, v[6:7]
	v_add_nc_u32_e32 v6, -1, v4
	global_load_dword v31, v[16:17], off
	v_add_co_u32 v16, vcc_lo, s12, v28
	v_add_co_ci_u32_e64 v17, null, s13, v29, vcc_lo
	v_lshlrev_b64 v[26:27], 2, v[6:7]
	v_add_nc_u32_e32 v6, -6, v4
	v_add_co_u32 v24, vcc_lo, s14, v24
	v_add_co_ci_u32_e64 v25, null, s15, v25, vcc_lo
	v_lshlrev_b64 v[5:6], 2, v[6:7]
	global_load_dword v28, v[16:17], off
	v_add_nc_u32_e32 v4, 0x300, v4
	global_load_dwordx2 v[16:17], v[24:25], off
	v_add_co_u32 v24, vcc_lo, s12, v26
	v_add_co_ci_u32_e64 v25, null, s13, v27, vcc_lo
	v_add_co_u32 v5, vcc_lo, s12, v5
	v_add_co_ci_u32_e64 v6, null, s13, v6, vcc_lo
	s_clause 0x2
	global_load_dword v24, v[24:25], off
	global_load_dword v5, v[5:6], off
	;; [unrolled: 1-line block ×3, first 2 shown]
	v_cmp_ge_i32_e32 vcc_lo, v2, v11
	s_or_b32 s0, vcc_lo, s0
	s_waitcnt vmcnt(8)
	v_fmac_f32_e32 v9, v12, v20
	v_fmac_f32_e32 v10, v8, v20
	v_fmac_f32_e32 v9, v13, v21
	v_fmac_f32_e32 v10, v30, v21
	s_waitcnt vmcnt(7)
	v_fmac_f32_e32 v9, v14, v22
	s_waitcnt vmcnt(6)
	v_fmac_f32_e32 v10, v3, v22
	v_fmac_f32_e32 v9, v15, v23
	s_waitcnt vmcnt(5)
	v_fmac_f32_e32 v10, v31, v23
	s_waitcnt vmcnt(3)
	;; [unrolled: 2-line block ×5, first 2 shown]
	v_fmac_f32_e32 v10, v6, v17
	s_andn2_b32 exec_lo, exec_lo, s0
	s_cbranch_execnz .LBB24_15
; %bb.16:
	s_or_b32 exec_lo, exec_lo, s0
.LBB24_17:
	s_or_b32 exec_lo, exec_lo, s1
.LBB24_18:
	v_mbcnt_lo_u32_b32 v2, -1, 0
	s_mov_b32 s3, -1
	v_or_b32_e32 v3, 32, v2
	v_xor_b32_e32 v5, 16, v2
	v_xor_b32_e32 v7, 8, v2
	v_cmp_gt_i32_e32 vcc_lo, 32, v3
	v_cndmask_b32_e32 v3, v2, v3, vcc_lo
	v_cmp_gt_i32_e32 vcc_lo, 32, v5
	v_lshlrev_b32_e32 v3, 2, v3
	v_cndmask_b32_e32 v5, v2, v5, vcc_lo
	v_cmp_gt_i32_e32 vcc_lo, 32, v7
	ds_bpermute_b32 v4, v3, v9
	ds_bpermute_b32 v3, v3, v10
	v_lshlrev_b32_e32 v5, 2, v5
	v_cndmask_b32_e32 v7, v2, v7, vcc_lo
	v_lshlrev_b32_e32 v7, 2, v7
	s_waitcnt lgkmcnt(1)
	v_add_f32_e32 v4, v9, v4
	s_waitcnt lgkmcnt(0)
	v_add_f32_e32 v3, v10, v3
	ds_bpermute_b32 v6, v5, v4
	ds_bpermute_b32 v5, v5, v3
	s_waitcnt lgkmcnt(1)
	v_add_f32_e32 v4, v4, v6
	s_waitcnt lgkmcnt(0)
	v_add_f32_e32 v3, v3, v5
	ds_bpermute_b32 v5, v7, v4
	ds_bpermute_b32 v6, v7, v3
	v_xor_b32_e32 v7, 4, v2
	v_cmp_gt_i32_e32 vcc_lo, 32, v7
	v_cndmask_b32_e32 v7, v2, v7, vcc_lo
	v_lshlrev_b32_e32 v7, 2, v7
	s_waitcnt lgkmcnt(1)
	v_add_f32_e32 v4, v4, v5
	s_waitcnt lgkmcnt(0)
	v_add_f32_e32 v3, v3, v6
	ds_bpermute_b32 v5, v7, v4
	ds_bpermute_b32 v6, v7, v3
	v_xor_b32_e32 v7, 2, v2
	v_cmp_gt_i32_e32 vcc_lo, 32, v7
	v_cndmask_b32_e32 v7, v2, v7, vcc_lo
	v_lshlrev_b32_e32 v7, 2, v7
	s_waitcnt lgkmcnt(1)
	v_add_f32_e32 v4, v4, v5
	s_waitcnt lgkmcnt(0)
	v_add_f32_e32 v3, v3, v6
	ds_bpermute_b32 v5, v7, v4
	ds_bpermute_b32 v6, v7, v3
	v_xor_b32_e32 v7, 1, v2
	v_cmp_gt_i32_e32 vcc_lo, 32, v7
	v_cndmask_b32_e32 v2, v2, v7, vcc_lo
	v_cmp_eq_u32_e32 vcc_lo, 63, v0
	v_lshlrev_b32_e32 v7, 2, v2
	s_waitcnt lgkmcnt(1)
	v_add_f32_e32 v2, v4, v5
	s_waitcnt lgkmcnt(0)
	v_add_f32_e32 v3, v3, v6
	ds_bpermute_b32 v4, v7, v2
	ds_bpermute_b32 v5, v7, v3
	s_and_b32 exec_lo, exec_lo, vcc_lo
	s_cbranch_execz .LBB24_23
; %bb.19:
	s_load_dwordx2 s[0:1], s[4:5], 0x38
	s_waitcnt lgkmcnt(0)
	v_add_f32_e32 v0, v2, v4
	v_add_f32_e32 v3, v3, v5
	v_cmp_eq_f32_e64 s4, s2, 0
	v_mul_f32_e32 v2, s16, v0
	v_mul_f32_e32 v3, s16, v3
	v_lshlrev_b32_e32 v0, 1, v1
	s_and_b32 vcc_lo, exec_lo, s4
	s_cbranch_vccz .LBB24_21
; %bb.20:
	v_ashrrev_i32_e32 v1, 31, v0
	s_mov_b32 s3, 0
	v_lshlrev_b64 v[4:5], 2, v[0:1]
	v_add_co_u32 v4, vcc_lo, s0, v4
	v_add_co_ci_u32_e64 v5, null, s1, v5, vcc_lo
	global_store_dwordx2 v[4:5], v[2:3], off
.LBB24_21:
	s_andn2_b32 vcc_lo, exec_lo, s3
	s_cbranch_vccnz .LBB24_23
; %bb.22:
	v_ashrrev_i32_e32 v1, 31, v0
	v_lshlrev_b64 v[0:1], 2, v[0:1]
	v_add_co_u32 v0, vcc_lo, s0, v0
	v_add_co_ci_u32_e64 v1, null, s1, v1, vcc_lo
	global_load_dwordx2 v[4:5], v[0:1], off
	s_waitcnt vmcnt(0)
	v_fmac_f32_e32 v2, s2, v4
	v_fmac_f32_e32 v3, s2, v5
	global_store_dwordx2 v[0:1], v[2:3], off
.LBB24_23:
	s_endpgm
	.section	.rodata,"a",@progbits
	.p2align	6, 0x0
	.amdhsa_kernel _ZN9rocsparseL19gebsrmvn_2xn_kernelILj128ELj6ELj64EfEEvi20rocsparse_direction_NS_24const_host_device_scalarIT2_EEPKiS6_PKS3_S8_S4_PS3_21rocsparse_index_base_b
		.amdhsa_group_segment_fixed_size 0
		.amdhsa_private_segment_fixed_size 0
		.amdhsa_kernarg_size 72
		.amdhsa_user_sgpr_count 6
		.amdhsa_user_sgpr_private_segment_buffer 1
		.amdhsa_user_sgpr_dispatch_ptr 0
		.amdhsa_user_sgpr_queue_ptr 0
		.amdhsa_user_sgpr_kernarg_segment_ptr 1
		.amdhsa_user_sgpr_dispatch_id 0
		.amdhsa_user_sgpr_flat_scratch_init 0
		.amdhsa_user_sgpr_private_segment_size 0
		.amdhsa_wavefront_size32 1
		.amdhsa_uses_dynamic_stack 0
		.amdhsa_system_sgpr_private_segment_wavefront_offset 0
		.amdhsa_system_sgpr_workgroup_id_x 1
		.amdhsa_system_sgpr_workgroup_id_y 0
		.amdhsa_system_sgpr_workgroup_id_z 0
		.amdhsa_system_sgpr_workgroup_info 0
		.amdhsa_system_vgpr_workitem_id 0
		.amdhsa_next_free_vgpr 32
		.amdhsa_next_free_sgpr 20
		.amdhsa_reserve_vcc 1
		.amdhsa_reserve_flat_scratch 0
		.amdhsa_float_round_mode_32 0
		.amdhsa_float_round_mode_16_64 0
		.amdhsa_float_denorm_mode_32 3
		.amdhsa_float_denorm_mode_16_64 3
		.amdhsa_dx10_clamp 1
		.amdhsa_ieee_mode 1
		.amdhsa_fp16_overflow 0
		.amdhsa_workgroup_processor_mode 1
		.amdhsa_memory_ordered 1
		.amdhsa_forward_progress 1
		.amdhsa_shared_vgpr_count 0
		.amdhsa_exception_fp_ieee_invalid_op 0
		.amdhsa_exception_fp_denorm_src 0
		.amdhsa_exception_fp_ieee_div_zero 0
		.amdhsa_exception_fp_ieee_overflow 0
		.amdhsa_exception_fp_ieee_underflow 0
		.amdhsa_exception_fp_ieee_inexact 0
		.amdhsa_exception_int_div_zero 0
	.end_amdhsa_kernel
	.section	.text._ZN9rocsparseL19gebsrmvn_2xn_kernelILj128ELj6ELj64EfEEvi20rocsparse_direction_NS_24const_host_device_scalarIT2_EEPKiS6_PKS3_S8_S4_PS3_21rocsparse_index_base_b,"axG",@progbits,_ZN9rocsparseL19gebsrmvn_2xn_kernelILj128ELj6ELj64EfEEvi20rocsparse_direction_NS_24const_host_device_scalarIT2_EEPKiS6_PKS3_S8_S4_PS3_21rocsparse_index_base_b,comdat
.Lfunc_end24:
	.size	_ZN9rocsparseL19gebsrmvn_2xn_kernelILj128ELj6ELj64EfEEvi20rocsparse_direction_NS_24const_host_device_scalarIT2_EEPKiS6_PKS3_S8_S4_PS3_21rocsparse_index_base_b, .Lfunc_end24-_ZN9rocsparseL19gebsrmvn_2xn_kernelILj128ELj6ELj64EfEEvi20rocsparse_direction_NS_24const_host_device_scalarIT2_EEPKiS6_PKS3_S8_S4_PS3_21rocsparse_index_base_b
                                        ; -- End function
	.set _ZN9rocsparseL19gebsrmvn_2xn_kernelILj128ELj6ELj64EfEEvi20rocsparse_direction_NS_24const_host_device_scalarIT2_EEPKiS6_PKS3_S8_S4_PS3_21rocsparse_index_base_b.num_vgpr, 32
	.set _ZN9rocsparseL19gebsrmvn_2xn_kernelILj128ELj6ELj64EfEEvi20rocsparse_direction_NS_24const_host_device_scalarIT2_EEPKiS6_PKS3_S8_S4_PS3_21rocsparse_index_base_b.num_agpr, 0
	.set _ZN9rocsparseL19gebsrmvn_2xn_kernelILj128ELj6ELj64EfEEvi20rocsparse_direction_NS_24const_host_device_scalarIT2_EEPKiS6_PKS3_S8_S4_PS3_21rocsparse_index_base_b.numbered_sgpr, 20
	.set _ZN9rocsparseL19gebsrmvn_2xn_kernelILj128ELj6ELj64EfEEvi20rocsparse_direction_NS_24const_host_device_scalarIT2_EEPKiS6_PKS3_S8_S4_PS3_21rocsparse_index_base_b.num_named_barrier, 0
	.set _ZN9rocsparseL19gebsrmvn_2xn_kernelILj128ELj6ELj64EfEEvi20rocsparse_direction_NS_24const_host_device_scalarIT2_EEPKiS6_PKS3_S8_S4_PS3_21rocsparse_index_base_b.private_seg_size, 0
	.set _ZN9rocsparseL19gebsrmvn_2xn_kernelILj128ELj6ELj64EfEEvi20rocsparse_direction_NS_24const_host_device_scalarIT2_EEPKiS6_PKS3_S8_S4_PS3_21rocsparse_index_base_b.uses_vcc, 1
	.set _ZN9rocsparseL19gebsrmvn_2xn_kernelILj128ELj6ELj64EfEEvi20rocsparse_direction_NS_24const_host_device_scalarIT2_EEPKiS6_PKS3_S8_S4_PS3_21rocsparse_index_base_b.uses_flat_scratch, 0
	.set _ZN9rocsparseL19gebsrmvn_2xn_kernelILj128ELj6ELj64EfEEvi20rocsparse_direction_NS_24const_host_device_scalarIT2_EEPKiS6_PKS3_S8_S4_PS3_21rocsparse_index_base_b.has_dyn_sized_stack, 0
	.set _ZN9rocsparseL19gebsrmvn_2xn_kernelILj128ELj6ELj64EfEEvi20rocsparse_direction_NS_24const_host_device_scalarIT2_EEPKiS6_PKS3_S8_S4_PS3_21rocsparse_index_base_b.has_recursion, 0
	.set _ZN9rocsparseL19gebsrmvn_2xn_kernelILj128ELj6ELj64EfEEvi20rocsparse_direction_NS_24const_host_device_scalarIT2_EEPKiS6_PKS3_S8_S4_PS3_21rocsparse_index_base_b.has_indirect_call, 0
	.section	.AMDGPU.csdata,"",@progbits
; Kernel info:
; codeLenInByte = 1836
; TotalNumSgprs: 22
; NumVgprs: 32
; ScratchSize: 0
; MemoryBound: 0
; FloatMode: 240
; IeeeMode: 1
; LDSByteSize: 0 bytes/workgroup (compile time only)
; SGPRBlocks: 0
; VGPRBlocks: 3
; NumSGPRsForWavesPerEU: 22
; NumVGPRsForWavesPerEU: 32
; Occupancy: 16
; WaveLimiterHint : 1
; COMPUTE_PGM_RSRC2:SCRATCH_EN: 0
; COMPUTE_PGM_RSRC2:USER_SGPR: 6
; COMPUTE_PGM_RSRC2:TRAP_HANDLER: 0
; COMPUTE_PGM_RSRC2:TGID_X_EN: 1
; COMPUTE_PGM_RSRC2:TGID_Y_EN: 0
; COMPUTE_PGM_RSRC2:TGID_Z_EN: 0
; COMPUTE_PGM_RSRC2:TIDIG_COMP_CNT: 0
	.section	.text._ZN9rocsparseL19gebsrmvn_2xn_kernelILj128ELj7ELj4EfEEvi20rocsparse_direction_NS_24const_host_device_scalarIT2_EEPKiS6_PKS3_S8_S4_PS3_21rocsparse_index_base_b,"axG",@progbits,_ZN9rocsparseL19gebsrmvn_2xn_kernelILj128ELj7ELj4EfEEvi20rocsparse_direction_NS_24const_host_device_scalarIT2_EEPKiS6_PKS3_S8_S4_PS3_21rocsparse_index_base_b,comdat
	.globl	_ZN9rocsparseL19gebsrmvn_2xn_kernelILj128ELj7ELj4EfEEvi20rocsparse_direction_NS_24const_host_device_scalarIT2_EEPKiS6_PKS3_S8_S4_PS3_21rocsparse_index_base_b ; -- Begin function _ZN9rocsparseL19gebsrmvn_2xn_kernelILj128ELj7ELj4EfEEvi20rocsparse_direction_NS_24const_host_device_scalarIT2_EEPKiS6_PKS3_S8_S4_PS3_21rocsparse_index_base_b
	.p2align	8
	.type	_ZN9rocsparseL19gebsrmvn_2xn_kernelILj128ELj7ELj4EfEEvi20rocsparse_direction_NS_24const_host_device_scalarIT2_EEPKiS6_PKS3_S8_S4_PS3_21rocsparse_index_base_b,@function
_ZN9rocsparseL19gebsrmvn_2xn_kernelILj128ELj7ELj4EfEEvi20rocsparse_direction_NS_24const_host_device_scalarIT2_EEPKiS6_PKS3_S8_S4_PS3_21rocsparse_index_base_b: ; @_ZN9rocsparseL19gebsrmvn_2xn_kernelILj128ELj7ELj4EfEEvi20rocsparse_direction_NS_24const_host_device_scalarIT2_EEPKiS6_PKS3_S8_S4_PS3_21rocsparse_index_base_b
; %bb.0:
	s_clause 0x2
	s_load_dwordx2 s[18:19], s[4:5], 0x40
	s_load_dwordx2 s[16:17], s[4:5], 0x8
	;; [unrolled: 1-line block ×3, first 2 shown]
	s_waitcnt lgkmcnt(0)
	s_bitcmp1_b32 s19, 0
	s_cselect_b32 s0, -1, 0
	s_and_b32 vcc_lo, exec_lo, s0
	s_xor_b32 s0, s0, -1
	s_cbranch_vccnz .LBB25_2
; %bb.1:
	s_load_dword s16, s[16:17], 0x0
.LBB25_2:
	s_andn2_b32 vcc_lo, exec_lo, s0
	s_cbranch_vccnz .LBB25_4
; %bb.3:
	s_load_dword s2, s[2:3], 0x0
.LBB25_4:
	s_waitcnt lgkmcnt(0)
	v_cmp_eq_f32_e64 s0, s16, 0
	v_cmp_eq_f32_e64 s1, s2, 1.0
	s_and_b32 s0, s0, s1
	s_and_b32 vcc_lo, exec_lo, s0
	s_cbranch_vccnz .LBB25_23
; %bb.5:
	s_load_dwordx2 s[0:1], s[4:5], 0x0
	v_lshrrev_b32_e32 v1, 2, v0
	v_lshl_or_b32 v1, s6, 5, v1
	s_waitcnt lgkmcnt(0)
	v_cmp_gt_i32_e32 vcc_lo, s0, v1
	s_and_saveexec_b32 s0, vcc_lo
	s_cbranch_execz .LBB25_23
; %bb.6:
	s_load_dwordx8 s[8:15], s[4:5], 0x10
	v_ashrrev_i32_e32 v2, 31, v1
	v_and_b32_e32 v0, 3, v0
	s_cmp_lg_u32 s1, 0
	v_lshlrev_b64 v[2:3], 2, v[1:2]
	s_waitcnt lgkmcnt(0)
	v_add_co_u32 v2, vcc_lo, s8, v2
	v_add_co_ci_u32_e64 v3, null, s9, v3, vcc_lo
	global_load_dwordx2 v[2:3], v[2:3], off
	s_waitcnt vmcnt(0)
	v_subrev_nc_u32_e32 v2, s18, v2
	v_subrev_nc_u32_e32 v11, s18, v3
	v_add_nc_u32_e32 v2, v2, v0
	v_cmp_lt_i32_e64 s0, v2, v11
	s_cbranch_scc0 .LBB25_12
; %bb.7:
	v_mov_b32_e32 v9, 0
	v_mov_b32_e32 v10, 0
	s_and_saveexec_b32 s1, s0
	s_cbranch_execz .LBB25_11
; %bb.8:
	v_mad_u64_u32 v[3:4], null, v2, 14, 12
	v_mov_b32_e32 v6, 0
	v_mov_b32_e32 v7, v2
	;; [unrolled: 1-line block ×4, first 2 shown]
	s_mov_b32 s3, 0
.LBB25_9:                               ; =>This Inner Loop Header: Depth=1
	v_ashrrev_i32_e32 v8, 31, v7
	v_mov_b32_e32 v13, v6
	v_lshlrev_b64 v[4:5], 2, v[7:8]
	v_add_nc_u32_e32 v7, 4, v7
	v_add_co_u32 v4, vcc_lo, s10, v4
	v_add_co_ci_u32_e64 v5, null, s11, v5, vcc_lo
	global_load_dword v8, v[4:5], off
	v_add_nc_u32_e32 v5, -12, v3
	v_mov_b32_e32 v4, v6
	v_lshlrev_b64 v[14:15], 2, v[5:6]
	v_add_nc_u32_e32 v5, -10, v3
	v_lshlrev_b64 v[16:17], 2, v[3:4]
	v_lshlrev_b64 v[4:5], 2, v[5:6]
	v_add_co_u32 v14, vcc_lo, s12, v14
	v_add_co_ci_u32_e64 v15, null, s13, v15, vcc_lo
	v_add_co_u32 v16, vcc_lo, s12, v16
	v_add_co_ci_u32_e64 v17, null, s13, v17, vcc_lo
	;; [unrolled: 2-line block ×3, first 2 shown]
	s_clause 0x1
	global_load_dwordx2 v[14:15], v[14:15], off
	global_load_dwordx2 v[18:19], v[4:5], off
	s_waitcnt vmcnt(2)
	v_subrev_nc_u32_e32 v4, s18, v8
	v_mul_lo_u32 v12, v4, 7
	v_add_nc_u32_e32 v5, 1, v12
	v_lshlrev_b64 v[20:21], 2, v[12:13]
	v_lshlrev_b64 v[22:23], 2, v[5:6]
	v_add_nc_u32_e32 v5, -8, v3
	v_add_co_u32 v20, vcc_lo, s14, v20
	v_add_co_ci_u32_e64 v21, null, s15, v21, vcc_lo
	v_add_co_u32 v22, vcc_lo, s14, v22
	v_lshlrev_b64 v[24:25], 2, v[5:6]
	v_add_nc_u32_e32 v5, 2, v12
	v_add_co_ci_u32_e64 v23, null, s15, v23, vcc_lo
	s_clause 0x1
	global_load_dword v8, v[20:21], off
	global_load_dword v32, v[22:23], off
	v_lshlrev_b64 v[20:21], 2, v[5:6]
	v_add_nc_u32_e32 v5, -6, v3
	v_add_co_u32 v22, vcc_lo, s12, v24
	v_add_co_ci_u32_e64 v23, null, s13, v25, vcc_lo
	v_lshlrev_b64 v[24:25], 2, v[5:6]
	v_add_nc_u32_e32 v5, 3, v12
	v_add_co_u32 v20, vcc_lo, s14, v20
	v_add_co_ci_u32_e64 v21, null, s15, v21, vcc_lo
	v_lshlrev_b64 v[26:27], 2, v[5:6]
	v_add_nc_u32_e32 v5, -4, v3
	global_load_dwordx2 v[22:23], v[22:23], off
	global_load_dword v33, v[20:21], off
	v_add_co_u32 v20, vcc_lo, s12, v24
	v_add_co_ci_u32_e64 v21, null, s13, v25, vcc_lo
	v_lshlrev_b64 v[24:25], 2, v[5:6]
	v_add_nc_u32_e32 v5, 4, v12
	v_add_co_u32 v26, vcc_lo, s14, v26
	v_add_co_ci_u32_e64 v27, null, s15, v27, vcc_lo
	v_lshlrev_b64 v[28:29], 2, v[5:6]
	v_add_co_u32 v24, vcc_lo, s12, v24
	v_add_co_ci_u32_e64 v25, null, s13, v25, vcc_lo
	v_add_nc_u32_e32 v5, -2, v3
	v_add_co_u32 v28, vcc_lo, s14, v28
	v_add_co_ci_u32_e64 v29, null, s15, v29, vcc_lo
	global_load_dword v34, v[26:27], off
	s_clause 0x1
	global_load_dwordx2 v[24:25], v[24:25], off
	global_load_dwordx2 v[20:21], v[20:21], off
	global_load_dword v28, v[28:29], off
	v_lshlrev_b64 v[26:27], 2, v[5:6]
	v_add_nc_u32_e32 v5, 5, v12
	v_add_nc_u32_e32 v3, 56, v3
	v_lshlrev_b64 v[30:31], 2, v[5:6]
	v_add_nc_u32_e32 v5, 6, v12
	v_add_co_u32 v12, vcc_lo, s12, v26
	v_add_co_ci_u32_e64 v13, null, s13, v27, vcc_lo
	v_lshlrev_b64 v[4:5], 2, v[5:6]
	v_add_co_u32 v26, vcc_lo, s14, v30
	v_add_co_ci_u32_e64 v27, null, s15, v31, vcc_lo
	global_load_dwordx2 v[12:13], v[12:13], off
	global_load_dword v26, v[26:27], off
	v_add_co_u32 v4, vcc_lo, s14, v4
	v_add_co_ci_u32_e64 v5, null, s15, v5, vcc_lo
	global_load_dwordx2 v[16:17], v[16:17], off
	global_load_dword v4, v[4:5], off
	v_cmp_ge_i32_e32 vcc_lo, v7, v11
	s_or_b32 s3, vcc_lo, s3
	s_waitcnt vmcnt(11)
	v_fmac_f32_e32 v9, v14, v8
	v_fmac_f32_e32 v10, v15, v8
	s_waitcnt vmcnt(10)
	v_fmac_f32_e32 v9, v18, v32
	v_fmac_f32_e32 v10, v19, v32
	;; [unrolled: 3-line block ×7, first 2 shown]
	s_andn2_b32 exec_lo, exec_lo, s3
	s_cbranch_execnz .LBB25_9
; %bb.10:
	s_or_b32 exec_lo, exec_lo, s3
.LBB25_11:
	s_or_b32 exec_lo, exec_lo, s1
	s_cbranch_execz .LBB25_13
	s_branch .LBB25_18
.LBB25_12:
                                        ; implicit-def: $vgpr9
                                        ; implicit-def: $vgpr10
.LBB25_13:
	v_mov_b32_e32 v9, 0
	v_mov_b32_e32 v10, 0
	s_and_saveexec_b32 s1, s0
	s_cbranch_execz .LBB25_17
; %bb.14:
	v_mad_u64_u32 v[4:5], null, v2, 14, 13
	v_mov_b32_e32 v7, 0
	v_mov_b32_e32 v9, 0
	;; [unrolled: 1-line block ×3, first 2 shown]
	s_mov_b32 s0, 0
.LBB25_15:                              ; =>This Inner Loop Header: Depth=1
	v_ashrrev_i32_e32 v3, 31, v2
	v_add_nc_u32_e32 v12, -6, v4
	v_mov_b32_e32 v13, v7
	v_mov_b32_e32 v14, v7
	v_lshlrev_b64 v[5:6], 2, v[2:3]
	v_add_nc_u32_e32 v2, 4, v2
	v_lshlrev_b64 v[12:13], 2, v[12:13]
	v_add_co_u32 v5, vcc_lo, s10, v5
	v_add_co_ci_u32_e64 v6, null, s11, v6, vcc_lo
	global_load_dword v3, v[5:6], off
	v_add_nc_u32_e32 v6, -13, v4
	v_mov_b32_e32 v5, v7
	v_lshlrev_b64 v[15:16], 2, v[6:7]
	v_lshlrev_b64 v[5:6], 2, v[4:5]
	v_add_co_u32 v15, vcc_lo, s12, v15
	v_add_co_ci_u32_e64 v16, null, s13, v16, vcc_lo
	v_add_co_u32 v12, vcc_lo, s12, v12
	v_add_co_ci_u32_e64 v13, null, s13, v13, vcc_lo
	s_clause 0x1
	global_load_dwordx2 v[15:16], v[15:16], off
	global_load_dword v8, v[12:13], off
	v_add_co_u32 v17, vcc_lo, s12, v5
	v_add_co_ci_u32_e64 v18, null, s13, v6, vcc_lo
	s_waitcnt vmcnt(2)
	v_subrev_nc_u32_e32 v3, s18, v3
	v_mul_lo_u32 v13, v3, 7
	v_add_nc_u32_e32 v6, 1, v13
	v_lshlrev_b64 v[19:20], 2, v[13:14]
	v_lshlrev_b64 v[21:22], 2, v[6:7]
	v_add_nc_u32_e32 v6, -5, v4
	v_add_co_u32 v19, vcc_lo, s14, v19
	v_add_co_ci_u32_e64 v20, null, s15, v20, vcc_lo
	v_lshlrev_b64 v[23:24], 2, v[6:7]
	v_add_nc_u32_e32 v6, -11, v4
	global_load_dword v3, v[19:20], off
	v_add_co_u32 v19, vcc_lo, s14, v21
	v_add_co_ci_u32_e64 v20, null, s15, v22, vcc_lo
	v_lshlrev_b64 v[21:22], 2, v[6:7]
	v_add_nc_u32_e32 v6, 2, v13
	v_add_co_u32 v23, vcc_lo, s12, v23
	v_add_co_ci_u32_e64 v24, null, s13, v24, vcc_lo
	global_load_dword v14, v[19:20], off
	v_lshlrev_b64 v[19:20], 2, v[6:7]
	v_add_co_u32 v21, vcc_lo, s12, v21
	v_add_nc_u32_e32 v6, -4, v4
	v_add_co_ci_u32_e64 v22, null, s13, v22, vcc_lo
	v_add_co_u32 v19, vcc_lo, s14, v19
	s_clause 0x1
	global_load_dword v25, v[23:24], off
	global_load_dword v26, v[21:22], off
	v_lshlrev_b64 v[23:24], 2, v[6:7]
	v_add_co_ci_u32_e64 v20, null, s15, v20, vcc_lo
	v_add_nc_u32_e32 v6, -10, v4
	global_load_dword v27, v[19:20], off
	v_add_co_u32 v19, vcc_lo, s12, v23
	v_add_co_ci_u32_e64 v20, null, s13, v24, vcc_lo
	global_load_dword v28, v[19:20], off
	v_lshlrev_b64 v[21:22], 2, v[6:7]
	v_add_nc_u32_e32 v6, 3, v13
	v_lshlrev_b64 v[23:24], 2, v[6:7]
	v_add_nc_u32_e32 v6, -3, v4
	v_add_co_u32 v21, vcc_lo, s12, v21
	v_add_co_ci_u32_e64 v22, null, s13, v22, vcc_lo
	v_lshlrev_b64 v[19:20], 2, v[6:7]
	v_add_nc_u32_e32 v6, -9, v4
	global_load_dword v29, v[21:22], off
	v_add_co_u32 v21, vcc_lo, s14, v23
	v_add_co_ci_u32_e64 v22, null, s15, v24, vcc_lo
	v_lshlrev_b64 v[23:24], 2, v[6:7]
	v_add_nc_u32_e32 v6, 4, v13
	v_add_co_u32 v19, vcc_lo, s12, v19
	v_add_co_ci_u32_e64 v20, null, s13, v20, vcc_lo
	global_load_dword v30, v[21:22], off
	v_lshlrev_b64 v[21:22], 2, v[6:7]
	v_add_nc_u32_e32 v6, -2, v4
	global_load_dword v31, v[19:20], off
	v_add_co_u32 v19, vcc_lo, s12, v23
	v_add_co_ci_u32_e64 v20, null, s13, v24, vcc_lo
	v_lshlrev_b64 v[23:24], 2, v[6:7]
	v_add_nc_u32_e32 v6, -8, v4
	v_add_co_u32 v21, vcc_lo, s14, v21
	v_add_co_ci_u32_e64 v22, null, s15, v22, vcc_lo
	global_load_dword v32, v[19:20], off
	v_lshlrev_b64 v[19:20], 2, v[6:7]
	v_add_nc_u32_e32 v6, 5, v13
	global_load_dword v33, v[21:22], off
	v_add_co_u32 v21, vcc_lo, s12, v23
	v_add_co_ci_u32_e64 v22, null, s13, v24, vcc_lo
	v_add_co_u32 v19, vcc_lo, s12, v19
	v_lshlrev_b64 v[23:24], 2, v[6:7]
	v_add_nc_u32_e32 v6, -1, v4
	v_add_co_ci_u32_e64 v20, null, s13, v20, vcc_lo
	s_clause 0x1
	global_load_dword v34, v[21:22], off
	global_load_dword v35, v[19:20], off
	v_lshlrev_b64 v[21:22], 2, v[6:7]
	v_add_nc_u32_e32 v6, -7, v4
	v_add_co_u32 v19, vcc_lo, s14, v23
	v_add_co_ci_u32_e64 v20, null, s15, v24, vcc_lo
	v_lshlrev_b64 v[23:24], 2, v[6:7]
	v_add_nc_u32_e32 v6, 6, v13
	v_add_co_u32 v12, vcc_lo, s12, v21
	v_add_co_ci_u32_e64 v13, null, s13, v22, vcc_lo
	v_lshlrev_b64 v[5:6], 2, v[6:7]
	global_load_dword v19, v[19:20], off
	v_add_nc_u32_e32 v4, 56, v4
	global_load_dword v20, v[12:13], off
	v_add_co_u32 v12, vcc_lo, s12, v23
	v_add_co_ci_u32_e64 v13, null, s13, v24, vcc_lo
	v_add_co_u32 v5, vcc_lo, s14, v5
	v_add_co_ci_u32_e64 v6, null, s15, v6, vcc_lo
	s_clause 0x1
	global_load_dword v17, v[17:18], off
	global_load_dword v12, v[12:13], off
	;; [unrolled: 1-line block ×3, first 2 shown]
	v_cmp_ge_i32_e32 vcc_lo, v2, v11
	s_or_b32 s0, vcc_lo, s0
	s_waitcnt vmcnt(17)
	v_fmac_f32_e32 v9, v15, v3
	v_fmac_f32_e32 v10, v8, v3
	s_waitcnt vmcnt(16)
	v_fmac_f32_e32 v9, v16, v14
	s_waitcnt vmcnt(15)
	;; [unrolled: 2-line block ×11, first 2 shown]
	v_fmac_f32_e32 v9, v12, v5
	v_fmac_f32_e32 v10, v17, v5
	s_andn2_b32 exec_lo, exec_lo, s0
	s_cbranch_execnz .LBB25_15
; %bb.16:
	s_or_b32 exec_lo, exec_lo, s0
.LBB25_17:
	s_or_b32 exec_lo, exec_lo, s1
.LBB25_18:
	v_mbcnt_lo_u32_b32 v2, -1, 0
	s_mov_b32 s3, -1
	v_xor_b32_e32 v3, 2, v2
	v_xor_b32_e32 v5, 1, v2
	v_cmp_gt_i32_e32 vcc_lo, 32, v3
	v_cndmask_b32_e32 v3, v2, v3, vcc_lo
	v_cmp_gt_i32_e32 vcc_lo, 32, v5
	v_lshlrev_b32_e32 v3, 2, v3
	v_cndmask_b32_e32 v2, v2, v5, vcc_lo
	v_cmp_eq_u32_e32 vcc_lo, 3, v0
	ds_bpermute_b32 v4, v3, v9
	ds_bpermute_b32 v3, v3, v10
	v_lshlrev_b32_e32 v5, 2, v2
	s_waitcnt lgkmcnt(1)
	v_add_f32_e32 v2, v9, v4
	s_waitcnt lgkmcnt(0)
	v_add_f32_e32 v3, v10, v3
	ds_bpermute_b32 v4, v5, v2
	ds_bpermute_b32 v5, v5, v3
	s_and_b32 exec_lo, exec_lo, vcc_lo
	s_cbranch_execz .LBB25_23
; %bb.19:
	s_load_dwordx2 s[0:1], s[4:5], 0x38
	s_waitcnt lgkmcnt(0)
	v_add_f32_e32 v0, v2, v4
	v_add_f32_e32 v3, v3, v5
	v_cmp_eq_f32_e64 s4, s2, 0
	v_mul_f32_e32 v2, s16, v0
	v_mul_f32_e32 v3, s16, v3
	v_lshlrev_b32_e32 v0, 1, v1
	s_and_b32 vcc_lo, exec_lo, s4
	s_cbranch_vccz .LBB25_21
; %bb.20:
	v_ashrrev_i32_e32 v1, 31, v0
	s_mov_b32 s3, 0
	v_lshlrev_b64 v[4:5], 2, v[0:1]
	v_add_co_u32 v4, vcc_lo, s0, v4
	v_add_co_ci_u32_e64 v5, null, s1, v5, vcc_lo
	global_store_dwordx2 v[4:5], v[2:3], off
.LBB25_21:
	s_andn2_b32 vcc_lo, exec_lo, s3
	s_cbranch_vccnz .LBB25_23
; %bb.22:
	v_ashrrev_i32_e32 v1, 31, v0
	v_lshlrev_b64 v[0:1], 2, v[0:1]
	v_add_co_u32 v0, vcc_lo, s0, v0
	v_add_co_ci_u32_e64 v1, null, s1, v1, vcc_lo
	global_load_dwordx2 v[4:5], v[0:1], off
	s_waitcnt vmcnt(0)
	v_fmac_f32_e32 v2, s2, v4
	v_fmac_f32_e32 v3, s2, v5
	global_store_dwordx2 v[0:1], v[2:3], off
.LBB25_23:
	s_endpgm
	.section	.rodata,"a",@progbits
	.p2align	6, 0x0
	.amdhsa_kernel _ZN9rocsparseL19gebsrmvn_2xn_kernelILj128ELj7ELj4EfEEvi20rocsparse_direction_NS_24const_host_device_scalarIT2_EEPKiS6_PKS3_S8_S4_PS3_21rocsparse_index_base_b
		.amdhsa_group_segment_fixed_size 0
		.amdhsa_private_segment_fixed_size 0
		.amdhsa_kernarg_size 72
		.amdhsa_user_sgpr_count 6
		.amdhsa_user_sgpr_private_segment_buffer 1
		.amdhsa_user_sgpr_dispatch_ptr 0
		.amdhsa_user_sgpr_queue_ptr 0
		.amdhsa_user_sgpr_kernarg_segment_ptr 1
		.amdhsa_user_sgpr_dispatch_id 0
		.amdhsa_user_sgpr_flat_scratch_init 0
		.amdhsa_user_sgpr_private_segment_size 0
		.amdhsa_wavefront_size32 1
		.amdhsa_uses_dynamic_stack 0
		.amdhsa_system_sgpr_private_segment_wavefront_offset 0
		.amdhsa_system_sgpr_workgroup_id_x 1
		.amdhsa_system_sgpr_workgroup_id_y 0
		.amdhsa_system_sgpr_workgroup_id_z 0
		.amdhsa_system_sgpr_workgroup_info 0
		.amdhsa_system_vgpr_workitem_id 0
		.amdhsa_next_free_vgpr 36
		.amdhsa_next_free_sgpr 20
		.amdhsa_reserve_vcc 1
		.amdhsa_reserve_flat_scratch 0
		.amdhsa_float_round_mode_32 0
		.amdhsa_float_round_mode_16_64 0
		.amdhsa_float_denorm_mode_32 3
		.amdhsa_float_denorm_mode_16_64 3
		.amdhsa_dx10_clamp 1
		.amdhsa_ieee_mode 1
		.amdhsa_fp16_overflow 0
		.amdhsa_workgroup_processor_mode 1
		.amdhsa_memory_ordered 1
		.amdhsa_forward_progress 1
		.amdhsa_shared_vgpr_count 0
		.amdhsa_exception_fp_ieee_invalid_op 0
		.amdhsa_exception_fp_denorm_src 0
		.amdhsa_exception_fp_ieee_div_zero 0
		.amdhsa_exception_fp_ieee_overflow 0
		.amdhsa_exception_fp_ieee_underflow 0
		.amdhsa_exception_fp_ieee_inexact 0
		.amdhsa_exception_int_div_zero 0
	.end_amdhsa_kernel
	.section	.text._ZN9rocsparseL19gebsrmvn_2xn_kernelILj128ELj7ELj4EfEEvi20rocsparse_direction_NS_24const_host_device_scalarIT2_EEPKiS6_PKS3_S8_S4_PS3_21rocsparse_index_base_b,"axG",@progbits,_ZN9rocsparseL19gebsrmvn_2xn_kernelILj128ELj7ELj4EfEEvi20rocsparse_direction_NS_24const_host_device_scalarIT2_EEPKiS6_PKS3_S8_S4_PS3_21rocsparse_index_base_b,comdat
.Lfunc_end25:
	.size	_ZN9rocsparseL19gebsrmvn_2xn_kernelILj128ELj7ELj4EfEEvi20rocsparse_direction_NS_24const_host_device_scalarIT2_EEPKiS6_PKS3_S8_S4_PS3_21rocsparse_index_base_b, .Lfunc_end25-_ZN9rocsparseL19gebsrmvn_2xn_kernelILj128ELj7ELj4EfEEvi20rocsparse_direction_NS_24const_host_device_scalarIT2_EEPKiS6_PKS3_S8_S4_PS3_21rocsparse_index_base_b
                                        ; -- End function
	.set _ZN9rocsparseL19gebsrmvn_2xn_kernelILj128ELj7ELj4EfEEvi20rocsparse_direction_NS_24const_host_device_scalarIT2_EEPKiS6_PKS3_S8_S4_PS3_21rocsparse_index_base_b.num_vgpr, 36
	.set _ZN9rocsparseL19gebsrmvn_2xn_kernelILj128ELj7ELj4EfEEvi20rocsparse_direction_NS_24const_host_device_scalarIT2_EEPKiS6_PKS3_S8_S4_PS3_21rocsparse_index_base_b.num_agpr, 0
	.set _ZN9rocsparseL19gebsrmvn_2xn_kernelILj128ELj7ELj4EfEEvi20rocsparse_direction_NS_24const_host_device_scalarIT2_EEPKiS6_PKS3_S8_S4_PS3_21rocsparse_index_base_b.numbered_sgpr, 20
	.set _ZN9rocsparseL19gebsrmvn_2xn_kernelILj128ELj7ELj4EfEEvi20rocsparse_direction_NS_24const_host_device_scalarIT2_EEPKiS6_PKS3_S8_S4_PS3_21rocsparse_index_base_b.num_named_barrier, 0
	.set _ZN9rocsparseL19gebsrmvn_2xn_kernelILj128ELj7ELj4EfEEvi20rocsparse_direction_NS_24const_host_device_scalarIT2_EEPKiS6_PKS3_S8_S4_PS3_21rocsparse_index_base_b.private_seg_size, 0
	.set _ZN9rocsparseL19gebsrmvn_2xn_kernelILj128ELj7ELj4EfEEvi20rocsparse_direction_NS_24const_host_device_scalarIT2_EEPKiS6_PKS3_S8_S4_PS3_21rocsparse_index_base_b.uses_vcc, 1
	.set _ZN9rocsparseL19gebsrmvn_2xn_kernelILj128ELj7ELj4EfEEvi20rocsparse_direction_NS_24const_host_device_scalarIT2_EEPKiS6_PKS3_S8_S4_PS3_21rocsparse_index_base_b.uses_flat_scratch, 0
	.set _ZN9rocsparseL19gebsrmvn_2xn_kernelILj128ELj7ELj4EfEEvi20rocsparse_direction_NS_24const_host_device_scalarIT2_EEPKiS6_PKS3_S8_S4_PS3_21rocsparse_index_base_b.has_dyn_sized_stack, 0
	.set _ZN9rocsparseL19gebsrmvn_2xn_kernelILj128ELj7ELj4EfEEvi20rocsparse_direction_NS_24const_host_device_scalarIT2_EEPKiS6_PKS3_S8_S4_PS3_21rocsparse_index_base_b.has_recursion, 0
	.set _ZN9rocsparseL19gebsrmvn_2xn_kernelILj128ELj7ELj4EfEEvi20rocsparse_direction_NS_24const_host_device_scalarIT2_EEPKiS6_PKS3_S8_S4_PS3_21rocsparse_index_base_b.has_indirect_call, 0
	.section	.AMDGPU.csdata,"",@progbits
; Kernel info:
; codeLenInByte = 2192
; TotalNumSgprs: 22
; NumVgprs: 36
; ScratchSize: 0
; MemoryBound: 0
; FloatMode: 240
; IeeeMode: 1
; LDSByteSize: 0 bytes/workgroup (compile time only)
; SGPRBlocks: 0
; VGPRBlocks: 4
; NumSGPRsForWavesPerEU: 22
; NumVGPRsForWavesPerEU: 36
; Occupancy: 16
; WaveLimiterHint : 1
; COMPUTE_PGM_RSRC2:SCRATCH_EN: 0
; COMPUTE_PGM_RSRC2:USER_SGPR: 6
; COMPUTE_PGM_RSRC2:TRAP_HANDLER: 0
; COMPUTE_PGM_RSRC2:TGID_X_EN: 1
; COMPUTE_PGM_RSRC2:TGID_Y_EN: 0
; COMPUTE_PGM_RSRC2:TGID_Z_EN: 0
; COMPUTE_PGM_RSRC2:TIDIG_COMP_CNT: 0
	.section	.text._ZN9rocsparseL19gebsrmvn_2xn_kernelILj128ELj7ELj8EfEEvi20rocsparse_direction_NS_24const_host_device_scalarIT2_EEPKiS6_PKS3_S8_S4_PS3_21rocsparse_index_base_b,"axG",@progbits,_ZN9rocsparseL19gebsrmvn_2xn_kernelILj128ELj7ELj8EfEEvi20rocsparse_direction_NS_24const_host_device_scalarIT2_EEPKiS6_PKS3_S8_S4_PS3_21rocsparse_index_base_b,comdat
	.globl	_ZN9rocsparseL19gebsrmvn_2xn_kernelILj128ELj7ELj8EfEEvi20rocsparse_direction_NS_24const_host_device_scalarIT2_EEPKiS6_PKS3_S8_S4_PS3_21rocsparse_index_base_b ; -- Begin function _ZN9rocsparseL19gebsrmvn_2xn_kernelILj128ELj7ELj8EfEEvi20rocsparse_direction_NS_24const_host_device_scalarIT2_EEPKiS6_PKS3_S8_S4_PS3_21rocsparse_index_base_b
	.p2align	8
	.type	_ZN9rocsparseL19gebsrmvn_2xn_kernelILj128ELj7ELj8EfEEvi20rocsparse_direction_NS_24const_host_device_scalarIT2_EEPKiS6_PKS3_S8_S4_PS3_21rocsparse_index_base_b,@function
_ZN9rocsparseL19gebsrmvn_2xn_kernelILj128ELj7ELj8EfEEvi20rocsparse_direction_NS_24const_host_device_scalarIT2_EEPKiS6_PKS3_S8_S4_PS3_21rocsparse_index_base_b: ; @_ZN9rocsparseL19gebsrmvn_2xn_kernelILj128ELj7ELj8EfEEvi20rocsparse_direction_NS_24const_host_device_scalarIT2_EEPKiS6_PKS3_S8_S4_PS3_21rocsparse_index_base_b
; %bb.0:
	s_clause 0x2
	s_load_dwordx2 s[18:19], s[4:5], 0x40
	s_load_dwordx2 s[16:17], s[4:5], 0x8
	;; [unrolled: 1-line block ×3, first 2 shown]
	s_waitcnt lgkmcnt(0)
	s_bitcmp1_b32 s19, 0
	s_cselect_b32 s0, -1, 0
	s_and_b32 vcc_lo, exec_lo, s0
	s_xor_b32 s0, s0, -1
	s_cbranch_vccnz .LBB26_2
; %bb.1:
	s_load_dword s16, s[16:17], 0x0
.LBB26_2:
	s_andn2_b32 vcc_lo, exec_lo, s0
	s_cbranch_vccnz .LBB26_4
; %bb.3:
	s_load_dword s2, s[2:3], 0x0
.LBB26_4:
	s_waitcnt lgkmcnt(0)
	v_cmp_eq_f32_e64 s0, s16, 0
	v_cmp_eq_f32_e64 s1, s2, 1.0
	s_and_b32 s0, s0, s1
	s_and_b32 vcc_lo, exec_lo, s0
	s_cbranch_vccnz .LBB26_23
; %bb.5:
	s_load_dwordx2 s[0:1], s[4:5], 0x0
	v_lshrrev_b32_e32 v1, 3, v0
	v_lshl_or_b32 v1, s6, 4, v1
	s_waitcnt lgkmcnt(0)
	v_cmp_gt_i32_e32 vcc_lo, s0, v1
	s_and_saveexec_b32 s0, vcc_lo
	s_cbranch_execz .LBB26_23
; %bb.6:
	s_load_dwordx8 s[8:15], s[4:5], 0x10
	v_ashrrev_i32_e32 v2, 31, v1
	v_and_b32_e32 v0, 7, v0
	s_cmp_lg_u32 s1, 0
	v_lshlrev_b64 v[2:3], 2, v[1:2]
	s_waitcnt lgkmcnt(0)
	v_add_co_u32 v2, vcc_lo, s8, v2
	v_add_co_ci_u32_e64 v3, null, s9, v3, vcc_lo
	global_load_dwordx2 v[2:3], v[2:3], off
	s_waitcnt vmcnt(0)
	v_subrev_nc_u32_e32 v2, s18, v2
	v_subrev_nc_u32_e32 v11, s18, v3
	v_add_nc_u32_e32 v2, v2, v0
	v_cmp_lt_i32_e64 s0, v2, v11
	s_cbranch_scc0 .LBB26_12
; %bb.7:
	v_mov_b32_e32 v9, 0
	v_mov_b32_e32 v10, 0
	s_and_saveexec_b32 s1, s0
	s_cbranch_execz .LBB26_11
; %bb.8:
	v_mad_u64_u32 v[3:4], null, v2, 14, 12
	v_mov_b32_e32 v6, 0
	v_mov_b32_e32 v7, v2
	;; [unrolled: 1-line block ×4, first 2 shown]
	s_mov_b32 s3, 0
.LBB26_9:                               ; =>This Inner Loop Header: Depth=1
	v_ashrrev_i32_e32 v8, 31, v7
	v_mov_b32_e32 v13, v6
	v_lshlrev_b64 v[4:5], 2, v[7:8]
	v_add_nc_u32_e32 v7, 8, v7
	v_add_co_u32 v4, vcc_lo, s10, v4
	v_add_co_ci_u32_e64 v5, null, s11, v5, vcc_lo
	global_load_dword v8, v[4:5], off
	v_add_nc_u32_e32 v5, -12, v3
	v_mov_b32_e32 v4, v6
	v_lshlrev_b64 v[14:15], 2, v[5:6]
	v_add_nc_u32_e32 v5, -10, v3
	v_lshlrev_b64 v[16:17], 2, v[3:4]
	v_lshlrev_b64 v[4:5], 2, v[5:6]
	v_add_co_u32 v14, vcc_lo, s12, v14
	v_add_co_ci_u32_e64 v15, null, s13, v15, vcc_lo
	v_add_co_u32 v16, vcc_lo, s12, v16
	v_add_co_ci_u32_e64 v17, null, s13, v17, vcc_lo
	;; [unrolled: 2-line block ×3, first 2 shown]
	s_clause 0x1
	global_load_dwordx2 v[14:15], v[14:15], off
	global_load_dwordx2 v[18:19], v[4:5], off
	s_waitcnt vmcnt(2)
	v_subrev_nc_u32_e32 v4, s18, v8
	v_mul_lo_u32 v12, v4, 7
	v_add_nc_u32_e32 v5, 1, v12
	v_lshlrev_b64 v[20:21], 2, v[12:13]
	v_lshlrev_b64 v[22:23], 2, v[5:6]
	v_add_nc_u32_e32 v5, -8, v3
	v_add_co_u32 v20, vcc_lo, s14, v20
	v_add_co_ci_u32_e64 v21, null, s15, v21, vcc_lo
	v_add_co_u32 v22, vcc_lo, s14, v22
	v_lshlrev_b64 v[24:25], 2, v[5:6]
	v_add_nc_u32_e32 v5, 2, v12
	v_add_co_ci_u32_e64 v23, null, s15, v23, vcc_lo
	s_clause 0x1
	global_load_dword v8, v[20:21], off
	global_load_dword v32, v[22:23], off
	v_lshlrev_b64 v[20:21], 2, v[5:6]
	v_add_nc_u32_e32 v5, -6, v3
	v_add_co_u32 v22, vcc_lo, s12, v24
	v_add_co_ci_u32_e64 v23, null, s13, v25, vcc_lo
	v_lshlrev_b64 v[24:25], 2, v[5:6]
	v_add_nc_u32_e32 v5, 3, v12
	v_add_co_u32 v20, vcc_lo, s14, v20
	v_add_co_ci_u32_e64 v21, null, s15, v21, vcc_lo
	v_lshlrev_b64 v[26:27], 2, v[5:6]
	v_add_nc_u32_e32 v5, -4, v3
	global_load_dwordx2 v[22:23], v[22:23], off
	global_load_dword v33, v[20:21], off
	v_add_co_u32 v20, vcc_lo, s12, v24
	v_add_co_ci_u32_e64 v21, null, s13, v25, vcc_lo
	v_lshlrev_b64 v[24:25], 2, v[5:6]
	v_add_nc_u32_e32 v5, 4, v12
	v_add_co_u32 v26, vcc_lo, s14, v26
	v_add_co_ci_u32_e64 v27, null, s15, v27, vcc_lo
	v_lshlrev_b64 v[28:29], 2, v[5:6]
	v_add_co_u32 v24, vcc_lo, s12, v24
	v_add_co_ci_u32_e64 v25, null, s13, v25, vcc_lo
	v_add_nc_u32_e32 v5, -2, v3
	v_add_co_u32 v28, vcc_lo, s14, v28
	v_add_co_ci_u32_e64 v29, null, s15, v29, vcc_lo
	global_load_dword v34, v[26:27], off
	s_clause 0x1
	global_load_dwordx2 v[24:25], v[24:25], off
	global_load_dwordx2 v[20:21], v[20:21], off
	global_load_dword v28, v[28:29], off
	v_lshlrev_b64 v[26:27], 2, v[5:6]
	v_add_nc_u32_e32 v5, 5, v12
	v_add_nc_u32_e32 v3, 0x70, v3
	v_lshlrev_b64 v[30:31], 2, v[5:6]
	v_add_nc_u32_e32 v5, 6, v12
	v_add_co_u32 v12, vcc_lo, s12, v26
	v_add_co_ci_u32_e64 v13, null, s13, v27, vcc_lo
	v_lshlrev_b64 v[4:5], 2, v[5:6]
	v_add_co_u32 v26, vcc_lo, s14, v30
	v_add_co_ci_u32_e64 v27, null, s15, v31, vcc_lo
	global_load_dwordx2 v[12:13], v[12:13], off
	global_load_dword v26, v[26:27], off
	v_add_co_u32 v4, vcc_lo, s14, v4
	v_add_co_ci_u32_e64 v5, null, s15, v5, vcc_lo
	global_load_dwordx2 v[16:17], v[16:17], off
	global_load_dword v4, v[4:5], off
	v_cmp_ge_i32_e32 vcc_lo, v7, v11
	s_or_b32 s3, vcc_lo, s3
	s_waitcnt vmcnt(11)
	v_fmac_f32_e32 v9, v14, v8
	v_fmac_f32_e32 v10, v15, v8
	s_waitcnt vmcnt(10)
	v_fmac_f32_e32 v9, v18, v32
	v_fmac_f32_e32 v10, v19, v32
	;; [unrolled: 3-line block ×7, first 2 shown]
	s_andn2_b32 exec_lo, exec_lo, s3
	s_cbranch_execnz .LBB26_9
; %bb.10:
	s_or_b32 exec_lo, exec_lo, s3
.LBB26_11:
	s_or_b32 exec_lo, exec_lo, s1
	s_cbranch_execz .LBB26_13
	s_branch .LBB26_18
.LBB26_12:
                                        ; implicit-def: $vgpr9
                                        ; implicit-def: $vgpr10
.LBB26_13:
	v_mov_b32_e32 v9, 0
	v_mov_b32_e32 v10, 0
	s_and_saveexec_b32 s1, s0
	s_cbranch_execz .LBB26_17
; %bb.14:
	v_mad_u64_u32 v[4:5], null, v2, 14, 13
	v_mov_b32_e32 v7, 0
	v_mov_b32_e32 v9, 0
	;; [unrolled: 1-line block ×3, first 2 shown]
	s_mov_b32 s0, 0
.LBB26_15:                              ; =>This Inner Loop Header: Depth=1
	v_ashrrev_i32_e32 v3, 31, v2
	v_add_nc_u32_e32 v12, -6, v4
	v_mov_b32_e32 v13, v7
	v_mov_b32_e32 v14, v7
	v_lshlrev_b64 v[5:6], 2, v[2:3]
	v_add_nc_u32_e32 v2, 8, v2
	v_lshlrev_b64 v[12:13], 2, v[12:13]
	v_add_co_u32 v5, vcc_lo, s10, v5
	v_add_co_ci_u32_e64 v6, null, s11, v6, vcc_lo
	global_load_dword v3, v[5:6], off
	v_add_nc_u32_e32 v6, -13, v4
	v_mov_b32_e32 v5, v7
	v_lshlrev_b64 v[15:16], 2, v[6:7]
	v_lshlrev_b64 v[5:6], 2, v[4:5]
	v_add_co_u32 v15, vcc_lo, s12, v15
	v_add_co_ci_u32_e64 v16, null, s13, v16, vcc_lo
	v_add_co_u32 v12, vcc_lo, s12, v12
	v_add_co_ci_u32_e64 v13, null, s13, v13, vcc_lo
	s_clause 0x1
	global_load_dwordx2 v[15:16], v[15:16], off
	global_load_dword v8, v[12:13], off
	v_add_co_u32 v17, vcc_lo, s12, v5
	v_add_co_ci_u32_e64 v18, null, s13, v6, vcc_lo
	s_waitcnt vmcnt(2)
	v_subrev_nc_u32_e32 v3, s18, v3
	v_mul_lo_u32 v13, v3, 7
	v_add_nc_u32_e32 v6, 1, v13
	v_lshlrev_b64 v[19:20], 2, v[13:14]
	v_lshlrev_b64 v[21:22], 2, v[6:7]
	v_add_nc_u32_e32 v6, -5, v4
	v_add_co_u32 v19, vcc_lo, s14, v19
	v_add_co_ci_u32_e64 v20, null, s15, v20, vcc_lo
	v_lshlrev_b64 v[23:24], 2, v[6:7]
	v_add_nc_u32_e32 v6, -11, v4
	global_load_dword v3, v[19:20], off
	v_add_co_u32 v19, vcc_lo, s14, v21
	v_add_co_ci_u32_e64 v20, null, s15, v22, vcc_lo
	v_lshlrev_b64 v[21:22], 2, v[6:7]
	v_add_nc_u32_e32 v6, 2, v13
	v_add_co_u32 v23, vcc_lo, s12, v23
	v_add_co_ci_u32_e64 v24, null, s13, v24, vcc_lo
	global_load_dword v14, v[19:20], off
	v_lshlrev_b64 v[19:20], 2, v[6:7]
	v_add_co_u32 v21, vcc_lo, s12, v21
	v_add_nc_u32_e32 v6, -4, v4
	v_add_co_ci_u32_e64 v22, null, s13, v22, vcc_lo
	v_add_co_u32 v19, vcc_lo, s14, v19
	s_clause 0x1
	global_load_dword v25, v[23:24], off
	global_load_dword v26, v[21:22], off
	v_lshlrev_b64 v[23:24], 2, v[6:7]
	v_add_co_ci_u32_e64 v20, null, s15, v20, vcc_lo
	v_add_nc_u32_e32 v6, -10, v4
	global_load_dword v27, v[19:20], off
	v_add_co_u32 v19, vcc_lo, s12, v23
	v_add_co_ci_u32_e64 v20, null, s13, v24, vcc_lo
	global_load_dword v28, v[19:20], off
	v_lshlrev_b64 v[21:22], 2, v[6:7]
	v_add_nc_u32_e32 v6, 3, v13
	v_lshlrev_b64 v[23:24], 2, v[6:7]
	v_add_nc_u32_e32 v6, -3, v4
	v_add_co_u32 v21, vcc_lo, s12, v21
	v_add_co_ci_u32_e64 v22, null, s13, v22, vcc_lo
	v_lshlrev_b64 v[19:20], 2, v[6:7]
	v_add_nc_u32_e32 v6, -9, v4
	global_load_dword v29, v[21:22], off
	v_add_co_u32 v21, vcc_lo, s14, v23
	v_add_co_ci_u32_e64 v22, null, s15, v24, vcc_lo
	v_lshlrev_b64 v[23:24], 2, v[6:7]
	v_add_nc_u32_e32 v6, 4, v13
	v_add_co_u32 v19, vcc_lo, s12, v19
	v_add_co_ci_u32_e64 v20, null, s13, v20, vcc_lo
	global_load_dword v30, v[21:22], off
	v_lshlrev_b64 v[21:22], 2, v[6:7]
	v_add_nc_u32_e32 v6, -2, v4
	global_load_dword v31, v[19:20], off
	v_add_co_u32 v19, vcc_lo, s12, v23
	v_add_co_ci_u32_e64 v20, null, s13, v24, vcc_lo
	v_lshlrev_b64 v[23:24], 2, v[6:7]
	v_add_nc_u32_e32 v6, -8, v4
	v_add_co_u32 v21, vcc_lo, s14, v21
	v_add_co_ci_u32_e64 v22, null, s15, v22, vcc_lo
	global_load_dword v32, v[19:20], off
	v_lshlrev_b64 v[19:20], 2, v[6:7]
	v_add_nc_u32_e32 v6, 5, v13
	global_load_dword v33, v[21:22], off
	v_add_co_u32 v21, vcc_lo, s12, v23
	v_add_co_ci_u32_e64 v22, null, s13, v24, vcc_lo
	v_add_co_u32 v19, vcc_lo, s12, v19
	v_lshlrev_b64 v[23:24], 2, v[6:7]
	v_add_nc_u32_e32 v6, -1, v4
	v_add_co_ci_u32_e64 v20, null, s13, v20, vcc_lo
	s_clause 0x1
	global_load_dword v34, v[21:22], off
	global_load_dword v35, v[19:20], off
	v_lshlrev_b64 v[21:22], 2, v[6:7]
	v_add_nc_u32_e32 v6, -7, v4
	v_add_co_u32 v19, vcc_lo, s14, v23
	v_add_co_ci_u32_e64 v20, null, s15, v24, vcc_lo
	v_lshlrev_b64 v[23:24], 2, v[6:7]
	v_add_nc_u32_e32 v6, 6, v13
	v_add_co_u32 v12, vcc_lo, s12, v21
	v_add_co_ci_u32_e64 v13, null, s13, v22, vcc_lo
	v_lshlrev_b64 v[5:6], 2, v[6:7]
	global_load_dword v19, v[19:20], off
	v_add_nc_u32_e32 v4, 0x70, v4
	global_load_dword v20, v[12:13], off
	v_add_co_u32 v12, vcc_lo, s12, v23
	v_add_co_ci_u32_e64 v13, null, s13, v24, vcc_lo
	v_add_co_u32 v5, vcc_lo, s14, v5
	v_add_co_ci_u32_e64 v6, null, s15, v6, vcc_lo
	s_clause 0x1
	global_load_dword v17, v[17:18], off
	global_load_dword v12, v[12:13], off
	;; [unrolled: 1-line block ×3, first 2 shown]
	v_cmp_ge_i32_e32 vcc_lo, v2, v11
	s_or_b32 s0, vcc_lo, s0
	s_waitcnt vmcnt(17)
	v_fmac_f32_e32 v9, v15, v3
	v_fmac_f32_e32 v10, v8, v3
	s_waitcnt vmcnt(16)
	v_fmac_f32_e32 v9, v16, v14
	s_waitcnt vmcnt(15)
	;; [unrolled: 2-line block ×11, first 2 shown]
	v_fmac_f32_e32 v9, v12, v5
	v_fmac_f32_e32 v10, v17, v5
	s_andn2_b32 exec_lo, exec_lo, s0
	s_cbranch_execnz .LBB26_15
; %bb.16:
	s_or_b32 exec_lo, exec_lo, s0
.LBB26_17:
	s_or_b32 exec_lo, exec_lo, s1
.LBB26_18:
	v_mbcnt_lo_u32_b32 v2, -1, 0
	s_mov_b32 s3, -1
	v_xor_b32_e32 v3, 4, v2
	v_xor_b32_e32 v5, 2, v2
	;; [unrolled: 1-line block ×3, first 2 shown]
	v_cmp_gt_i32_e32 vcc_lo, 32, v3
	v_cndmask_b32_e32 v3, v2, v3, vcc_lo
	v_cmp_gt_i32_e32 vcc_lo, 32, v5
	v_lshlrev_b32_e32 v3, 2, v3
	v_cndmask_b32_e32 v5, v2, v5, vcc_lo
	v_cmp_gt_i32_e32 vcc_lo, 32, v7
	ds_bpermute_b32 v4, v3, v9
	ds_bpermute_b32 v3, v3, v10
	v_lshlrev_b32_e32 v5, 2, v5
	v_cndmask_b32_e32 v2, v2, v7, vcc_lo
	v_cmp_eq_u32_e32 vcc_lo, 7, v0
	v_lshlrev_b32_e32 v7, 2, v2
	s_waitcnt lgkmcnt(1)
	v_add_f32_e32 v4, v9, v4
	s_waitcnt lgkmcnt(0)
	v_add_f32_e32 v3, v10, v3
	ds_bpermute_b32 v6, v5, v4
	ds_bpermute_b32 v5, v5, v3
	s_waitcnt lgkmcnt(1)
	v_add_f32_e32 v2, v4, v6
	s_waitcnt lgkmcnt(0)
	v_add_f32_e32 v3, v3, v5
	ds_bpermute_b32 v4, v7, v2
	ds_bpermute_b32 v5, v7, v3
	s_and_b32 exec_lo, exec_lo, vcc_lo
	s_cbranch_execz .LBB26_23
; %bb.19:
	s_load_dwordx2 s[0:1], s[4:5], 0x38
	s_waitcnt lgkmcnt(0)
	v_add_f32_e32 v0, v2, v4
	v_add_f32_e32 v3, v3, v5
	v_cmp_eq_f32_e64 s4, s2, 0
	v_mul_f32_e32 v2, s16, v0
	v_mul_f32_e32 v3, s16, v3
	v_lshlrev_b32_e32 v0, 1, v1
	s_and_b32 vcc_lo, exec_lo, s4
	s_cbranch_vccz .LBB26_21
; %bb.20:
	v_ashrrev_i32_e32 v1, 31, v0
	s_mov_b32 s3, 0
	v_lshlrev_b64 v[4:5], 2, v[0:1]
	v_add_co_u32 v4, vcc_lo, s0, v4
	v_add_co_ci_u32_e64 v5, null, s1, v5, vcc_lo
	global_store_dwordx2 v[4:5], v[2:3], off
.LBB26_21:
	s_andn2_b32 vcc_lo, exec_lo, s3
	s_cbranch_vccnz .LBB26_23
; %bb.22:
	v_ashrrev_i32_e32 v1, 31, v0
	v_lshlrev_b64 v[0:1], 2, v[0:1]
	v_add_co_u32 v0, vcc_lo, s0, v0
	v_add_co_ci_u32_e64 v1, null, s1, v1, vcc_lo
	global_load_dwordx2 v[4:5], v[0:1], off
	s_waitcnt vmcnt(0)
	v_fmac_f32_e32 v2, s2, v4
	v_fmac_f32_e32 v3, s2, v5
	global_store_dwordx2 v[0:1], v[2:3], off
.LBB26_23:
	s_endpgm
	.section	.rodata,"a",@progbits
	.p2align	6, 0x0
	.amdhsa_kernel _ZN9rocsparseL19gebsrmvn_2xn_kernelILj128ELj7ELj8EfEEvi20rocsparse_direction_NS_24const_host_device_scalarIT2_EEPKiS6_PKS3_S8_S4_PS3_21rocsparse_index_base_b
		.amdhsa_group_segment_fixed_size 0
		.amdhsa_private_segment_fixed_size 0
		.amdhsa_kernarg_size 72
		.amdhsa_user_sgpr_count 6
		.amdhsa_user_sgpr_private_segment_buffer 1
		.amdhsa_user_sgpr_dispatch_ptr 0
		.amdhsa_user_sgpr_queue_ptr 0
		.amdhsa_user_sgpr_kernarg_segment_ptr 1
		.amdhsa_user_sgpr_dispatch_id 0
		.amdhsa_user_sgpr_flat_scratch_init 0
		.amdhsa_user_sgpr_private_segment_size 0
		.amdhsa_wavefront_size32 1
		.amdhsa_uses_dynamic_stack 0
		.amdhsa_system_sgpr_private_segment_wavefront_offset 0
		.amdhsa_system_sgpr_workgroup_id_x 1
		.amdhsa_system_sgpr_workgroup_id_y 0
		.amdhsa_system_sgpr_workgroup_id_z 0
		.amdhsa_system_sgpr_workgroup_info 0
		.amdhsa_system_vgpr_workitem_id 0
		.amdhsa_next_free_vgpr 36
		.amdhsa_next_free_sgpr 20
		.amdhsa_reserve_vcc 1
		.amdhsa_reserve_flat_scratch 0
		.amdhsa_float_round_mode_32 0
		.amdhsa_float_round_mode_16_64 0
		.amdhsa_float_denorm_mode_32 3
		.amdhsa_float_denorm_mode_16_64 3
		.amdhsa_dx10_clamp 1
		.amdhsa_ieee_mode 1
		.amdhsa_fp16_overflow 0
		.amdhsa_workgroup_processor_mode 1
		.amdhsa_memory_ordered 1
		.amdhsa_forward_progress 1
		.amdhsa_shared_vgpr_count 0
		.amdhsa_exception_fp_ieee_invalid_op 0
		.amdhsa_exception_fp_denorm_src 0
		.amdhsa_exception_fp_ieee_div_zero 0
		.amdhsa_exception_fp_ieee_overflow 0
		.amdhsa_exception_fp_ieee_underflow 0
		.amdhsa_exception_fp_ieee_inexact 0
		.amdhsa_exception_int_div_zero 0
	.end_amdhsa_kernel
	.section	.text._ZN9rocsparseL19gebsrmvn_2xn_kernelILj128ELj7ELj8EfEEvi20rocsparse_direction_NS_24const_host_device_scalarIT2_EEPKiS6_PKS3_S8_S4_PS3_21rocsparse_index_base_b,"axG",@progbits,_ZN9rocsparseL19gebsrmvn_2xn_kernelILj128ELj7ELj8EfEEvi20rocsparse_direction_NS_24const_host_device_scalarIT2_EEPKiS6_PKS3_S8_S4_PS3_21rocsparse_index_base_b,comdat
.Lfunc_end26:
	.size	_ZN9rocsparseL19gebsrmvn_2xn_kernelILj128ELj7ELj8EfEEvi20rocsparse_direction_NS_24const_host_device_scalarIT2_EEPKiS6_PKS3_S8_S4_PS3_21rocsparse_index_base_b, .Lfunc_end26-_ZN9rocsparseL19gebsrmvn_2xn_kernelILj128ELj7ELj8EfEEvi20rocsparse_direction_NS_24const_host_device_scalarIT2_EEPKiS6_PKS3_S8_S4_PS3_21rocsparse_index_base_b
                                        ; -- End function
	.set _ZN9rocsparseL19gebsrmvn_2xn_kernelILj128ELj7ELj8EfEEvi20rocsparse_direction_NS_24const_host_device_scalarIT2_EEPKiS6_PKS3_S8_S4_PS3_21rocsparse_index_base_b.num_vgpr, 36
	.set _ZN9rocsparseL19gebsrmvn_2xn_kernelILj128ELj7ELj8EfEEvi20rocsparse_direction_NS_24const_host_device_scalarIT2_EEPKiS6_PKS3_S8_S4_PS3_21rocsparse_index_base_b.num_agpr, 0
	.set _ZN9rocsparseL19gebsrmvn_2xn_kernelILj128ELj7ELj8EfEEvi20rocsparse_direction_NS_24const_host_device_scalarIT2_EEPKiS6_PKS3_S8_S4_PS3_21rocsparse_index_base_b.numbered_sgpr, 20
	.set _ZN9rocsparseL19gebsrmvn_2xn_kernelILj128ELj7ELj8EfEEvi20rocsparse_direction_NS_24const_host_device_scalarIT2_EEPKiS6_PKS3_S8_S4_PS3_21rocsparse_index_base_b.num_named_barrier, 0
	.set _ZN9rocsparseL19gebsrmvn_2xn_kernelILj128ELj7ELj8EfEEvi20rocsparse_direction_NS_24const_host_device_scalarIT2_EEPKiS6_PKS3_S8_S4_PS3_21rocsparse_index_base_b.private_seg_size, 0
	.set _ZN9rocsparseL19gebsrmvn_2xn_kernelILj128ELj7ELj8EfEEvi20rocsparse_direction_NS_24const_host_device_scalarIT2_EEPKiS6_PKS3_S8_S4_PS3_21rocsparse_index_base_b.uses_vcc, 1
	.set _ZN9rocsparseL19gebsrmvn_2xn_kernelILj128ELj7ELj8EfEEvi20rocsparse_direction_NS_24const_host_device_scalarIT2_EEPKiS6_PKS3_S8_S4_PS3_21rocsparse_index_base_b.uses_flat_scratch, 0
	.set _ZN9rocsparseL19gebsrmvn_2xn_kernelILj128ELj7ELj8EfEEvi20rocsparse_direction_NS_24const_host_device_scalarIT2_EEPKiS6_PKS3_S8_S4_PS3_21rocsparse_index_base_b.has_dyn_sized_stack, 0
	.set _ZN9rocsparseL19gebsrmvn_2xn_kernelILj128ELj7ELj8EfEEvi20rocsparse_direction_NS_24const_host_device_scalarIT2_EEPKiS6_PKS3_S8_S4_PS3_21rocsparse_index_base_b.has_recursion, 0
	.set _ZN9rocsparseL19gebsrmvn_2xn_kernelILj128ELj7ELj8EfEEvi20rocsparse_direction_NS_24const_host_device_scalarIT2_EEPKiS6_PKS3_S8_S4_PS3_21rocsparse_index_base_b.has_indirect_call, 0
	.section	.AMDGPU.csdata,"",@progbits
; Kernel info:
; codeLenInByte = 2248
; TotalNumSgprs: 22
; NumVgprs: 36
; ScratchSize: 0
; MemoryBound: 0
; FloatMode: 240
; IeeeMode: 1
; LDSByteSize: 0 bytes/workgroup (compile time only)
; SGPRBlocks: 0
; VGPRBlocks: 4
; NumSGPRsForWavesPerEU: 22
; NumVGPRsForWavesPerEU: 36
; Occupancy: 16
; WaveLimiterHint : 1
; COMPUTE_PGM_RSRC2:SCRATCH_EN: 0
; COMPUTE_PGM_RSRC2:USER_SGPR: 6
; COMPUTE_PGM_RSRC2:TRAP_HANDLER: 0
; COMPUTE_PGM_RSRC2:TGID_X_EN: 1
; COMPUTE_PGM_RSRC2:TGID_Y_EN: 0
; COMPUTE_PGM_RSRC2:TGID_Z_EN: 0
; COMPUTE_PGM_RSRC2:TIDIG_COMP_CNT: 0
	.section	.text._ZN9rocsparseL19gebsrmvn_2xn_kernelILj128ELj7ELj16EfEEvi20rocsparse_direction_NS_24const_host_device_scalarIT2_EEPKiS6_PKS3_S8_S4_PS3_21rocsparse_index_base_b,"axG",@progbits,_ZN9rocsparseL19gebsrmvn_2xn_kernelILj128ELj7ELj16EfEEvi20rocsparse_direction_NS_24const_host_device_scalarIT2_EEPKiS6_PKS3_S8_S4_PS3_21rocsparse_index_base_b,comdat
	.globl	_ZN9rocsparseL19gebsrmvn_2xn_kernelILj128ELj7ELj16EfEEvi20rocsparse_direction_NS_24const_host_device_scalarIT2_EEPKiS6_PKS3_S8_S4_PS3_21rocsparse_index_base_b ; -- Begin function _ZN9rocsparseL19gebsrmvn_2xn_kernelILj128ELj7ELj16EfEEvi20rocsparse_direction_NS_24const_host_device_scalarIT2_EEPKiS6_PKS3_S8_S4_PS3_21rocsparse_index_base_b
	.p2align	8
	.type	_ZN9rocsparseL19gebsrmvn_2xn_kernelILj128ELj7ELj16EfEEvi20rocsparse_direction_NS_24const_host_device_scalarIT2_EEPKiS6_PKS3_S8_S4_PS3_21rocsparse_index_base_b,@function
_ZN9rocsparseL19gebsrmvn_2xn_kernelILj128ELj7ELj16EfEEvi20rocsparse_direction_NS_24const_host_device_scalarIT2_EEPKiS6_PKS3_S8_S4_PS3_21rocsparse_index_base_b: ; @_ZN9rocsparseL19gebsrmvn_2xn_kernelILj128ELj7ELj16EfEEvi20rocsparse_direction_NS_24const_host_device_scalarIT2_EEPKiS6_PKS3_S8_S4_PS3_21rocsparse_index_base_b
; %bb.0:
	s_clause 0x2
	s_load_dwordx2 s[18:19], s[4:5], 0x40
	s_load_dwordx2 s[16:17], s[4:5], 0x8
	;; [unrolled: 1-line block ×3, first 2 shown]
	s_waitcnt lgkmcnt(0)
	s_bitcmp1_b32 s19, 0
	s_cselect_b32 s0, -1, 0
	s_and_b32 vcc_lo, exec_lo, s0
	s_xor_b32 s0, s0, -1
	s_cbranch_vccnz .LBB27_2
; %bb.1:
	s_load_dword s16, s[16:17], 0x0
.LBB27_2:
	s_andn2_b32 vcc_lo, exec_lo, s0
	s_cbranch_vccnz .LBB27_4
; %bb.3:
	s_load_dword s2, s[2:3], 0x0
.LBB27_4:
	s_waitcnt lgkmcnt(0)
	v_cmp_eq_f32_e64 s0, s16, 0
	v_cmp_eq_f32_e64 s1, s2, 1.0
	s_and_b32 s0, s0, s1
	s_and_b32 vcc_lo, exec_lo, s0
	s_cbranch_vccnz .LBB27_23
; %bb.5:
	s_load_dwordx2 s[0:1], s[4:5], 0x0
	v_lshrrev_b32_e32 v1, 4, v0
	v_lshl_or_b32 v1, s6, 3, v1
	s_waitcnt lgkmcnt(0)
	v_cmp_gt_i32_e32 vcc_lo, s0, v1
	s_and_saveexec_b32 s0, vcc_lo
	s_cbranch_execz .LBB27_23
; %bb.6:
	s_load_dwordx8 s[8:15], s[4:5], 0x10
	v_ashrrev_i32_e32 v2, 31, v1
	v_and_b32_e32 v0, 15, v0
	s_cmp_lg_u32 s1, 0
	v_lshlrev_b64 v[2:3], 2, v[1:2]
	s_waitcnt lgkmcnt(0)
	v_add_co_u32 v2, vcc_lo, s8, v2
	v_add_co_ci_u32_e64 v3, null, s9, v3, vcc_lo
	global_load_dwordx2 v[2:3], v[2:3], off
	s_waitcnt vmcnt(0)
	v_subrev_nc_u32_e32 v2, s18, v2
	v_subrev_nc_u32_e32 v11, s18, v3
	v_add_nc_u32_e32 v2, v2, v0
	v_cmp_lt_i32_e64 s0, v2, v11
	s_cbranch_scc0 .LBB27_12
; %bb.7:
	v_mov_b32_e32 v9, 0
	v_mov_b32_e32 v10, 0
	s_and_saveexec_b32 s1, s0
	s_cbranch_execz .LBB27_11
; %bb.8:
	v_mad_u64_u32 v[3:4], null, v2, 14, 12
	v_mov_b32_e32 v6, 0
	v_mov_b32_e32 v7, v2
	;; [unrolled: 1-line block ×4, first 2 shown]
	s_mov_b32 s3, 0
.LBB27_9:                               ; =>This Inner Loop Header: Depth=1
	v_ashrrev_i32_e32 v8, 31, v7
	v_mov_b32_e32 v13, v6
	v_lshlrev_b64 v[4:5], 2, v[7:8]
	v_add_nc_u32_e32 v7, 16, v7
	v_add_co_u32 v4, vcc_lo, s10, v4
	v_add_co_ci_u32_e64 v5, null, s11, v5, vcc_lo
	global_load_dword v8, v[4:5], off
	v_add_nc_u32_e32 v5, -12, v3
	v_mov_b32_e32 v4, v6
	v_lshlrev_b64 v[14:15], 2, v[5:6]
	v_add_nc_u32_e32 v5, -10, v3
	v_lshlrev_b64 v[16:17], 2, v[3:4]
	v_lshlrev_b64 v[4:5], 2, v[5:6]
	v_add_co_u32 v14, vcc_lo, s12, v14
	v_add_co_ci_u32_e64 v15, null, s13, v15, vcc_lo
	v_add_co_u32 v16, vcc_lo, s12, v16
	v_add_co_ci_u32_e64 v17, null, s13, v17, vcc_lo
	;; [unrolled: 2-line block ×3, first 2 shown]
	s_clause 0x1
	global_load_dwordx2 v[14:15], v[14:15], off
	global_load_dwordx2 v[18:19], v[4:5], off
	s_waitcnt vmcnt(2)
	v_subrev_nc_u32_e32 v4, s18, v8
	v_mul_lo_u32 v12, v4, 7
	v_add_nc_u32_e32 v5, 1, v12
	v_lshlrev_b64 v[20:21], 2, v[12:13]
	v_lshlrev_b64 v[22:23], 2, v[5:6]
	v_add_nc_u32_e32 v5, -8, v3
	v_add_co_u32 v20, vcc_lo, s14, v20
	v_add_co_ci_u32_e64 v21, null, s15, v21, vcc_lo
	v_add_co_u32 v22, vcc_lo, s14, v22
	v_lshlrev_b64 v[24:25], 2, v[5:6]
	v_add_nc_u32_e32 v5, 2, v12
	v_add_co_ci_u32_e64 v23, null, s15, v23, vcc_lo
	s_clause 0x1
	global_load_dword v8, v[20:21], off
	global_load_dword v32, v[22:23], off
	v_lshlrev_b64 v[20:21], 2, v[5:6]
	v_add_nc_u32_e32 v5, -6, v3
	v_add_co_u32 v22, vcc_lo, s12, v24
	v_add_co_ci_u32_e64 v23, null, s13, v25, vcc_lo
	v_lshlrev_b64 v[24:25], 2, v[5:6]
	v_add_nc_u32_e32 v5, 3, v12
	v_add_co_u32 v20, vcc_lo, s14, v20
	v_add_co_ci_u32_e64 v21, null, s15, v21, vcc_lo
	v_lshlrev_b64 v[26:27], 2, v[5:6]
	v_add_nc_u32_e32 v5, -4, v3
	global_load_dwordx2 v[22:23], v[22:23], off
	global_load_dword v33, v[20:21], off
	v_add_co_u32 v20, vcc_lo, s12, v24
	v_add_co_ci_u32_e64 v21, null, s13, v25, vcc_lo
	v_lshlrev_b64 v[24:25], 2, v[5:6]
	v_add_nc_u32_e32 v5, 4, v12
	v_add_co_u32 v26, vcc_lo, s14, v26
	v_add_co_ci_u32_e64 v27, null, s15, v27, vcc_lo
	v_lshlrev_b64 v[28:29], 2, v[5:6]
	v_add_co_u32 v24, vcc_lo, s12, v24
	v_add_co_ci_u32_e64 v25, null, s13, v25, vcc_lo
	v_add_nc_u32_e32 v5, -2, v3
	v_add_co_u32 v28, vcc_lo, s14, v28
	v_add_co_ci_u32_e64 v29, null, s15, v29, vcc_lo
	global_load_dword v34, v[26:27], off
	s_clause 0x1
	global_load_dwordx2 v[24:25], v[24:25], off
	global_load_dwordx2 v[20:21], v[20:21], off
	global_load_dword v28, v[28:29], off
	v_lshlrev_b64 v[26:27], 2, v[5:6]
	v_add_nc_u32_e32 v5, 5, v12
	v_add_nc_u32_e32 v3, 0xe0, v3
	v_lshlrev_b64 v[30:31], 2, v[5:6]
	v_add_nc_u32_e32 v5, 6, v12
	v_add_co_u32 v12, vcc_lo, s12, v26
	v_add_co_ci_u32_e64 v13, null, s13, v27, vcc_lo
	v_lshlrev_b64 v[4:5], 2, v[5:6]
	v_add_co_u32 v26, vcc_lo, s14, v30
	v_add_co_ci_u32_e64 v27, null, s15, v31, vcc_lo
	global_load_dwordx2 v[12:13], v[12:13], off
	global_load_dword v26, v[26:27], off
	v_add_co_u32 v4, vcc_lo, s14, v4
	v_add_co_ci_u32_e64 v5, null, s15, v5, vcc_lo
	global_load_dwordx2 v[16:17], v[16:17], off
	global_load_dword v4, v[4:5], off
	v_cmp_ge_i32_e32 vcc_lo, v7, v11
	s_or_b32 s3, vcc_lo, s3
	s_waitcnt vmcnt(11)
	v_fmac_f32_e32 v9, v14, v8
	v_fmac_f32_e32 v10, v15, v8
	s_waitcnt vmcnt(10)
	v_fmac_f32_e32 v9, v18, v32
	v_fmac_f32_e32 v10, v19, v32
	;; [unrolled: 3-line block ×7, first 2 shown]
	s_andn2_b32 exec_lo, exec_lo, s3
	s_cbranch_execnz .LBB27_9
; %bb.10:
	s_or_b32 exec_lo, exec_lo, s3
.LBB27_11:
	s_or_b32 exec_lo, exec_lo, s1
	s_cbranch_execz .LBB27_13
	s_branch .LBB27_18
.LBB27_12:
                                        ; implicit-def: $vgpr9
                                        ; implicit-def: $vgpr10
.LBB27_13:
	v_mov_b32_e32 v9, 0
	v_mov_b32_e32 v10, 0
	s_and_saveexec_b32 s1, s0
	s_cbranch_execz .LBB27_17
; %bb.14:
	v_mad_u64_u32 v[4:5], null, v2, 14, 13
	v_mov_b32_e32 v7, 0
	v_mov_b32_e32 v9, 0
	;; [unrolled: 1-line block ×3, first 2 shown]
	s_mov_b32 s0, 0
.LBB27_15:                              ; =>This Inner Loop Header: Depth=1
	v_ashrrev_i32_e32 v3, 31, v2
	v_add_nc_u32_e32 v12, -6, v4
	v_mov_b32_e32 v13, v7
	v_mov_b32_e32 v14, v7
	v_lshlrev_b64 v[5:6], 2, v[2:3]
	v_add_nc_u32_e32 v2, 16, v2
	v_lshlrev_b64 v[12:13], 2, v[12:13]
	v_add_co_u32 v5, vcc_lo, s10, v5
	v_add_co_ci_u32_e64 v6, null, s11, v6, vcc_lo
	global_load_dword v3, v[5:6], off
	v_add_nc_u32_e32 v6, -13, v4
	v_mov_b32_e32 v5, v7
	v_lshlrev_b64 v[15:16], 2, v[6:7]
	v_lshlrev_b64 v[5:6], 2, v[4:5]
	v_add_co_u32 v15, vcc_lo, s12, v15
	v_add_co_ci_u32_e64 v16, null, s13, v16, vcc_lo
	v_add_co_u32 v12, vcc_lo, s12, v12
	v_add_co_ci_u32_e64 v13, null, s13, v13, vcc_lo
	s_clause 0x1
	global_load_dwordx2 v[15:16], v[15:16], off
	global_load_dword v8, v[12:13], off
	v_add_co_u32 v17, vcc_lo, s12, v5
	v_add_co_ci_u32_e64 v18, null, s13, v6, vcc_lo
	s_waitcnt vmcnt(2)
	v_subrev_nc_u32_e32 v3, s18, v3
	v_mul_lo_u32 v13, v3, 7
	v_add_nc_u32_e32 v6, 1, v13
	v_lshlrev_b64 v[19:20], 2, v[13:14]
	v_lshlrev_b64 v[21:22], 2, v[6:7]
	v_add_nc_u32_e32 v6, -5, v4
	v_add_co_u32 v19, vcc_lo, s14, v19
	v_add_co_ci_u32_e64 v20, null, s15, v20, vcc_lo
	v_lshlrev_b64 v[23:24], 2, v[6:7]
	v_add_nc_u32_e32 v6, -11, v4
	global_load_dword v3, v[19:20], off
	v_add_co_u32 v19, vcc_lo, s14, v21
	v_add_co_ci_u32_e64 v20, null, s15, v22, vcc_lo
	v_lshlrev_b64 v[21:22], 2, v[6:7]
	v_add_nc_u32_e32 v6, 2, v13
	v_add_co_u32 v23, vcc_lo, s12, v23
	v_add_co_ci_u32_e64 v24, null, s13, v24, vcc_lo
	global_load_dword v14, v[19:20], off
	v_lshlrev_b64 v[19:20], 2, v[6:7]
	v_add_co_u32 v21, vcc_lo, s12, v21
	v_add_nc_u32_e32 v6, -4, v4
	v_add_co_ci_u32_e64 v22, null, s13, v22, vcc_lo
	v_add_co_u32 v19, vcc_lo, s14, v19
	s_clause 0x1
	global_load_dword v25, v[23:24], off
	global_load_dword v26, v[21:22], off
	v_lshlrev_b64 v[23:24], 2, v[6:7]
	v_add_co_ci_u32_e64 v20, null, s15, v20, vcc_lo
	v_add_nc_u32_e32 v6, -10, v4
	global_load_dword v27, v[19:20], off
	v_add_co_u32 v19, vcc_lo, s12, v23
	v_add_co_ci_u32_e64 v20, null, s13, v24, vcc_lo
	global_load_dword v28, v[19:20], off
	v_lshlrev_b64 v[21:22], 2, v[6:7]
	v_add_nc_u32_e32 v6, 3, v13
	v_lshlrev_b64 v[23:24], 2, v[6:7]
	v_add_nc_u32_e32 v6, -3, v4
	v_add_co_u32 v21, vcc_lo, s12, v21
	v_add_co_ci_u32_e64 v22, null, s13, v22, vcc_lo
	v_lshlrev_b64 v[19:20], 2, v[6:7]
	v_add_nc_u32_e32 v6, -9, v4
	global_load_dword v29, v[21:22], off
	v_add_co_u32 v21, vcc_lo, s14, v23
	v_add_co_ci_u32_e64 v22, null, s15, v24, vcc_lo
	v_lshlrev_b64 v[23:24], 2, v[6:7]
	v_add_nc_u32_e32 v6, 4, v13
	v_add_co_u32 v19, vcc_lo, s12, v19
	v_add_co_ci_u32_e64 v20, null, s13, v20, vcc_lo
	global_load_dword v30, v[21:22], off
	v_lshlrev_b64 v[21:22], 2, v[6:7]
	v_add_nc_u32_e32 v6, -2, v4
	global_load_dword v31, v[19:20], off
	v_add_co_u32 v19, vcc_lo, s12, v23
	v_add_co_ci_u32_e64 v20, null, s13, v24, vcc_lo
	v_lshlrev_b64 v[23:24], 2, v[6:7]
	v_add_nc_u32_e32 v6, -8, v4
	v_add_co_u32 v21, vcc_lo, s14, v21
	v_add_co_ci_u32_e64 v22, null, s15, v22, vcc_lo
	global_load_dword v32, v[19:20], off
	v_lshlrev_b64 v[19:20], 2, v[6:7]
	v_add_nc_u32_e32 v6, 5, v13
	global_load_dword v33, v[21:22], off
	v_add_co_u32 v21, vcc_lo, s12, v23
	v_add_co_ci_u32_e64 v22, null, s13, v24, vcc_lo
	v_add_co_u32 v19, vcc_lo, s12, v19
	v_lshlrev_b64 v[23:24], 2, v[6:7]
	v_add_nc_u32_e32 v6, -1, v4
	v_add_co_ci_u32_e64 v20, null, s13, v20, vcc_lo
	s_clause 0x1
	global_load_dword v34, v[21:22], off
	global_load_dword v35, v[19:20], off
	v_lshlrev_b64 v[21:22], 2, v[6:7]
	v_add_nc_u32_e32 v6, -7, v4
	v_add_co_u32 v19, vcc_lo, s14, v23
	v_add_co_ci_u32_e64 v20, null, s15, v24, vcc_lo
	v_lshlrev_b64 v[23:24], 2, v[6:7]
	v_add_nc_u32_e32 v6, 6, v13
	v_add_co_u32 v12, vcc_lo, s12, v21
	v_add_co_ci_u32_e64 v13, null, s13, v22, vcc_lo
	v_lshlrev_b64 v[5:6], 2, v[6:7]
	global_load_dword v19, v[19:20], off
	v_add_nc_u32_e32 v4, 0xe0, v4
	global_load_dword v20, v[12:13], off
	v_add_co_u32 v12, vcc_lo, s12, v23
	v_add_co_ci_u32_e64 v13, null, s13, v24, vcc_lo
	v_add_co_u32 v5, vcc_lo, s14, v5
	v_add_co_ci_u32_e64 v6, null, s15, v6, vcc_lo
	s_clause 0x1
	global_load_dword v17, v[17:18], off
	global_load_dword v12, v[12:13], off
	;; [unrolled: 1-line block ×3, first 2 shown]
	v_cmp_ge_i32_e32 vcc_lo, v2, v11
	s_or_b32 s0, vcc_lo, s0
	s_waitcnt vmcnt(17)
	v_fmac_f32_e32 v9, v15, v3
	v_fmac_f32_e32 v10, v8, v3
	s_waitcnt vmcnt(16)
	v_fmac_f32_e32 v9, v16, v14
	s_waitcnt vmcnt(15)
	;; [unrolled: 2-line block ×11, first 2 shown]
	v_fmac_f32_e32 v9, v12, v5
	v_fmac_f32_e32 v10, v17, v5
	s_andn2_b32 exec_lo, exec_lo, s0
	s_cbranch_execnz .LBB27_15
; %bb.16:
	s_or_b32 exec_lo, exec_lo, s0
.LBB27_17:
	s_or_b32 exec_lo, exec_lo, s1
.LBB27_18:
	v_mbcnt_lo_u32_b32 v2, -1, 0
	s_mov_b32 s3, -1
	v_xor_b32_e32 v3, 8, v2
	v_xor_b32_e32 v5, 4, v2
	;; [unrolled: 1-line block ×3, first 2 shown]
	v_cmp_gt_i32_e32 vcc_lo, 32, v3
	v_cndmask_b32_e32 v3, v2, v3, vcc_lo
	v_cmp_gt_i32_e32 vcc_lo, 32, v5
	v_lshlrev_b32_e32 v3, 2, v3
	v_cndmask_b32_e32 v5, v2, v5, vcc_lo
	v_cmp_gt_i32_e32 vcc_lo, 32, v7
	ds_bpermute_b32 v4, v3, v9
	ds_bpermute_b32 v3, v3, v10
	v_lshlrev_b32_e32 v5, 2, v5
	v_cndmask_b32_e32 v7, v2, v7, vcc_lo
	v_lshlrev_b32_e32 v7, 2, v7
	s_waitcnt lgkmcnt(1)
	v_add_f32_e32 v4, v9, v4
	s_waitcnt lgkmcnt(0)
	v_add_f32_e32 v3, v10, v3
	ds_bpermute_b32 v6, v5, v4
	ds_bpermute_b32 v5, v5, v3
	s_waitcnt lgkmcnt(1)
	v_add_f32_e32 v4, v4, v6
	s_waitcnt lgkmcnt(0)
	v_add_f32_e32 v3, v3, v5
	ds_bpermute_b32 v5, v7, v4
	ds_bpermute_b32 v6, v7, v3
	v_xor_b32_e32 v7, 1, v2
	v_cmp_gt_i32_e32 vcc_lo, 32, v7
	v_cndmask_b32_e32 v2, v2, v7, vcc_lo
	v_cmp_eq_u32_e32 vcc_lo, 15, v0
	v_lshlrev_b32_e32 v7, 2, v2
	s_waitcnt lgkmcnt(1)
	v_add_f32_e32 v2, v4, v5
	s_waitcnt lgkmcnt(0)
	v_add_f32_e32 v3, v3, v6
	ds_bpermute_b32 v4, v7, v2
	ds_bpermute_b32 v5, v7, v3
	s_and_b32 exec_lo, exec_lo, vcc_lo
	s_cbranch_execz .LBB27_23
; %bb.19:
	s_load_dwordx2 s[0:1], s[4:5], 0x38
	s_waitcnt lgkmcnt(0)
	v_add_f32_e32 v0, v2, v4
	v_add_f32_e32 v3, v3, v5
	v_cmp_eq_f32_e64 s4, s2, 0
	v_mul_f32_e32 v2, s16, v0
	v_mul_f32_e32 v3, s16, v3
	v_lshlrev_b32_e32 v0, 1, v1
	s_and_b32 vcc_lo, exec_lo, s4
	s_cbranch_vccz .LBB27_21
; %bb.20:
	v_ashrrev_i32_e32 v1, 31, v0
	s_mov_b32 s3, 0
	v_lshlrev_b64 v[4:5], 2, v[0:1]
	v_add_co_u32 v4, vcc_lo, s0, v4
	v_add_co_ci_u32_e64 v5, null, s1, v5, vcc_lo
	global_store_dwordx2 v[4:5], v[2:3], off
.LBB27_21:
	s_andn2_b32 vcc_lo, exec_lo, s3
	s_cbranch_vccnz .LBB27_23
; %bb.22:
	v_ashrrev_i32_e32 v1, 31, v0
	v_lshlrev_b64 v[0:1], 2, v[0:1]
	v_add_co_u32 v0, vcc_lo, s0, v0
	v_add_co_ci_u32_e64 v1, null, s1, v1, vcc_lo
	global_load_dwordx2 v[4:5], v[0:1], off
	s_waitcnt vmcnt(0)
	v_fmac_f32_e32 v2, s2, v4
	v_fmac_f32_e32 v3, s2, v5
	global_store_dwordx2 v[0:1], v[2:3], off
.LBB27_23:
	s_endpgm
	.section	.rodata,"a",@progbits
	.p2align	6, 0x0
	.amdhsa_kernel _ZN9rocsparseL19gebsrmvn_2xn_kernelILj128ELj7ELj16EfEEvi20rocsparse_direction_NS_24const_host_device_scalarIT2_EEPKiS6_PKS3_S8_S4_PS3_21rocsparse_index_base_b
		.amdhsa_group_segment_fixed_size 0
		.amdhsa_private_segment_fixed_size 0
		.amdhsa_kernarg_size 72
		.amdhsa_user_sgpr_count 6
		.amdhsa_user_sgpr_private_segment_buffer 1
		.amdhsa_user_sgpr_dispatch_ptr 0
		.amdhsa_user_sgpr_queue_ptr 0
		.amdhsa_user_sgpr_kernarg_segment_ptr 1
		.amdhsa_user_sgpr_dispatch_id 0
		.amdhsa_user_sgpr_flat_scratch_init 0
		.amdhsa_user_sgpr_private_segment_size 0
		.amdhsa_wavefront_size32 1
		.amdhsa_uses_dynamic_stack 0
		.amdhsa_system_sgpr_private_segment_wavefront_offset 0
		.amdhsa_system_sgpr_workgroup_id_x 1
		.amdhsa_system_sgpr_workgroup_id_y 0
		.amdhsa_system_sgpr_workgroup_id_z 0
		.amdhsa_system_sgpr_workgroup_info 0
		.amdhsa_system_vgpr_workitem_id 0
		.amdhsa_next_free_vgpr 36
		.amdhsa_next_free_sgpr 20
		.amdhsa_reserve_vcc 1
		.amdhsa_reserve_flat_scratch 0
		.amdhsa_float_round_mode_32 0
		.amdhsa_float_round_mode_16_64 0
		.amdhsa_float_denorm_mode_32 3
		.amdhsa_float_denorm_mode_16_64 3
		.amdhsa_dx10_clamp 1
		.amdhsa_ieee_mode 1
		.amdhsa_fp16_overflow 0
		.amdhsa_workgroup_processor_mode 1
		.amdhsa_memory_ordered 1
		.amdhsa_forward_progress 1
		.amdhsa_shared_vgpr_count 0
		.amdhsa_exception_fp_ieee_invalid_op 0
		.amdhsa_exception_fp_denorm_src 0
		.amdhsa_exception_fp_ieee_div_zero 0
		.amdhsa_exception_fp_ieee_overflow 0
		.amdhsa_exception_fp_ieee_underflow 0
		.amdhsa_exception_fp_ieee_inexact 0
		.amdhsa_exception_int_div_zero 0
	.end_amdhsa_kernel
	.section	.text._ZN9rocsparseL19gebsrmvn_2xn_kernelILj128ELj7ELj16EfEEvi20rocsparse_direction_NS_24const_host_device_scalarIT2_EEPKiS6_PKS3_S8_S4_PS3_21rocsparse_index_base_b,"axG",@progbits,_ZN9rocsparseL19gebsrmvn_2xn_kernelILj128ELj7ELj16EfEEvi20rocsparse_direction_NS_24const_host_device_scalarIT2_EEPKiS6_PKS3_S8_S4_PS3_21rocsparse_index_base_b,comdat
.Lfunc_end27:
	.size	_ZN9rocsparseL19gebsrmvn_2xn_kernelILj128ELj7ELj16EfEEvi20rocsparse_direction_NS_24const_host_device_scalarIT2_EEPKiS6_PKS3_S8_S4_PS3_21rocsparse_index_base_b, .Lfunc_end27-_ZN9rocsparseL19gebsrmvn_2xn_kernelILj128ELj7ELj16EfEEvi20rocsparse_direction_NS_24const_host_device_scalarIT2_EEPKiS6_PKS3_S8_S4_PS3_21rocsparse_index_base_b
                                        ; -- End function
	.set _ZN9rocsparseL19gebsrmvn_2xn_kernelILj128ELj7ELj16EfEEvi20rocsparse_direction_NS_24const_host_device_scalarIT2_EEPKiS6_PKS3_S8_S4_PS3_21rocsparse_index_base_b.num_vgpr, 36
	.set _ZN9rocsparseL19gebsrmvn_2xn_kernelILj128ELj7ELj16EfEEvi20rocsparse_direction_NS_24const_host_device_scalarIT2_EEPKiS6_PKS3_S8_S4_PS3_21rocsparse_index_base_b.num_agpr, 0
	.set _ZN9rocsparseL19gebsrmvn_2xn_kernelILj128ELj7ELj16EfEEvi20rocsparse_direction_NS_24const_host_device_scalarIT2_EEPKiS6_PKS3_S8_S4_PS3_21rocsparse_index_base_b.numbered_sgpr, 20
	.set _ZN9rocsparseL19gebsrmvn_2xn_kernelILj128ELj7ELj16EfEEvi20rocsparse_direction_NS_24const_host_device_scalarIT2_EEPKiS6_PKS3_S8_S4_PS3_21rocsparse_index_base_b.num_named_barrier, 0
	.set _ZN9rocsparseL19gebsrmvn_2xn_kernelILj128ELj7ELj16EfEEvi20rocsparse_direction_NS_24const_host_device_scalarIT2_EEPKiS6_PKS3_S8_S4_PS3_21rocsparse_index_base_b.private_seg_size, 0
	.set _ZN9rocsparseL19gebsrmvn_2xn_kernelILj128ELj7ELj16EfEEvi20rocsparse_direction_NS_24const_host_device_scalarIT2_EEPKiS6_PKS3_S8_S4_PS3_21rocsparse_index_base_b.uses_vcc, 1
	.set _ZN9rocsparseL19gebsrmvn_2xn_kernelILj128ELj7ELj16EfEEvi20rocsparse_direction_NS_24const_host_device_scalarIT2_EEPKiS6_PKS3_S8_S4_PS3_21rocsparse_index_base_b.uses_flat_scratch, 0
	.set _ZN9rocsparseL19gebsrmvn_2xn_kernelILj128ELj7ELj16EfEEvi20rocsparse_direction_NS_24const_host_device_scalarIT2_EEPKiS6_PKS3_S8_S4_PS3_21rocsparse_index_base_b.has_dyn_sized_stack, 0
	.set _ZN9rocsparseL19gebsrmvn_2xn_kernelILj128ELj7ELj16EfEEvi20rocsparse_direction_NS_24const_host_device_scalarIT2_EEPKiS6_PKS3_S8_S4_PS3_21rocsparse_index_base_b.has_recursion, 0
	.set _ZN9rocsparseL19gebsrmvn_2xn_kernelILj128ELj7ELj16EfEEvi20rocsparse_direction_NS_24const_host_device_scalarIT2_EEPKiS6_PKS3_S8_S4_PS3_21rocsparse_index_base_b.has_indirect_call, 0
	.section	.AMDGPU.csdata,"",@progbits
; Kernel info:
; codeLenInByte = 2296
; TotalNumSgprs: 22
; NumVgprs: 36
; ScratchSize: 0
; MemoryBound: 0
; FloatMode: 240
; IeeeMode: 1
; LDSByteSize: 0 bytes/workgroup (compile time only)
; SGPRBlocks: 0
; VGPRBlocks: 4
; NumSGPRsForWavesPerEU: 22
; NumVGPRsForWavesPerEU: 36
; Occupancy: 16
; WaveLimiterHint : 1
; COMPUTE_PGM_RSRC2:SCRATCH_EN: 0
; COMPUTE_PGM_RSRC2:USER_SGPR: 6
; COMPUTE_PGM_RSRC2:TRAP_HANDLER: 0
; COMPUTE_PGM_RSRC2:TGID_X_EN: 1
; COMPUTE_PGM_RSRC2:TGID_Y_EN: 0
; COMPUTE_PGM_RSRC2:TGID_Z_EN: 0
; COMPUTE_PGM_RSRC2:TIDIG_COMP_CNT: 0
	.section	.text._ZN9rocsparseL19gebsrmvn_2xn_kernelILj128ELj7ELj32EfEEvi20rocsparse_direction_NS_24const_host_device_scalarIT2_EEPKiS6_PKS3_S8_S4_PS3_21rocsparse_index_base_b,"axG",@progbits,_ZN9rocsparseL19gebsrmvn_2xn_kernelILj128ELj7ELj32EfEEvi20rocsparse_direction_NS_24const_host_device_scalarIT2_EEPKiS6_PKS3_S8_S4_PS3_21rocsparse_index_base_b,comdat
	.globl	_ZN9rocsparseL19gebsrmvn_2xn_kernelILj128ELj7ELj32EfEEvi20rocsparse_direction_NS_24const_host_device_scalarIT2_EEPKiS6_PKS3_S8_S4_PS3_21rocsparse_index_base_b ; -- Begin function _ZN9rocsparseL19gebsrmvn_2xn_kernelILj128ELj7ELj32EfEEvi20rocsparse_direction_NS_24const_host_device_scalarIT2_EEPKiS6_PKS3_S8_S4_PS3_21rocsparse_index_base_b
	.p2align	8
	.type	_ZN9rocsparseL19gebsrmvn_2xn_kernelILj128ELj7ELj32EfEEvi20rocsparse_direction_NS_24const_host_device_scalarIT2_EEPKiS6_PKS3_S8_S4_PS3_21rocsparse_index_base_b,@function
_ZN9rocsparseL19gebsrmvn_2xn_kernelILj128ELj7ELj32EfEEvi20rocsparse_direction_NS_24const_host_device_scalarIT2_EEPKiS6_PKS3_S8_S4_PS3_21rocsparse_index_base_b: ; @_ZN9rocsparseL19gebsrmvn_2xn_kernelILj128ELj7ELj32EfEEvi20rocsparse_direction_NS_24const_host_device_scalarIT2_EEPKiS6_PKS3_S8_S4_PS3_21rocsparse_index_base_b
; %bb.0:
	s_clause 0x2
	s_load_dwordx2 s[18:19], s[4:5], 0x40
	s_load_dwordx2 s[16:17], s[4:5], 0x8
	;; [unrolled: 1-line block ×3, first 2 shown]
	s_waitcnt lgkmcnt(0)
	s_bitcmp1_b32 s19, 0
	s_cselect_b32 s0, -1, 0
	s_and_b32 vcc_lo, exec_lo, s0
	s_xor_b32 s0, s0, -1
	s_cbranch_vccnz .LBB28_2
; %bb.1:
	s_load_dword s16, s[16:17], 0x0
.LBB28_2:
	s_andn2_b32 vcc_lo, exec_lo, s0
	s_cbranch_vccnz .LBB28_4
; %bb.3:
	s_load_dword s2, s[2:3], 0x0
.LBB28_4:
	s_waitcnt lgkmcnt(0)
	v_cmp_eq_f32_e64 s0, s16, 0
	v_cmp_eq_f32_e64 s1, s2, 1.0
	s_and_b32 s0, s0, s1
	s_and_b32 vcc_lo, exec_lo, s0
	s_cbranch_vccnz .LBB28_23
; %bb.5:
	s_load_dwordx2 s[0:1], s[4:5], 0x0
	v_lshrrev_b32_e32 v1, 5, v0
	v_lshl_or_b32 v1, s6, 2, v1
	s_waitcnt lgkmcnt(0)
	v_cmp_gt_i32_e32 vcc_lo, s0, v1
	s_and_saveexec_b32 s0, vcc_lo
	s_cbranch_execz .LBB28_23
; %bb.6:
	s_load_dwordx8 s[8:15], s[4:5], 0x10
	v_ashrrev_i32_e32 v2, 31, v1
	v_and_b32_e32 v0, 31, v0
	s_cmp_lg_u32 s1, 0
	v_lshlrev_b64 v[2:3], 2, v[1:2]
	s_waitcnt lgkmcnt(0)
	v_add_co_u32 v2, vcc_lo, s8, v2
	v_add_co_ci_u32_e64 v3, null, s9, v3, vcc_lo
	global_load_dwordx2 v[2:3], v[2:3], off
	s_waitcnt vmcnt(0)
	v_subrev_nc_u32_e32 v2, s18, v2
	v_subrev_nc_u32_e32 v11, s18, v3
	v_add_nc_u32_e32 v2, v2, v0
	v_cmp_lt_i32_e64 s0, v2, v11
	s_cbranch_scc0 .LBB28_12
; %bb.7:
	v_mov_b32_e32 v9, 0
	v_mov_b32_e32 v10, 0
	s_and_saveexec_b32 s1, s0
	s_cbranch_execz .LBB28_11
; %bb.8:
	v_mad_u64_u32 v[3:4], null, v2, 14, 12
	v_mov_b32_e32 v6, 0
	v_mov_b32_e32 v7, v2
	v_mov_b32_e32 v9, 0
	v_mov_b32_e32 v10, 0
	s_mov_b32 s3, 0
.LBB28_9:                               ; =>This Inner Loop Header: Depth=1
	v_ashrrev_i32_e32 v8, 31, v7
	v_mov_b32_e32 v13, v6
	v_lshlrev_b64 v[4:5], 2, v[7:8]
	v_add_nc_u32_e32 v7, 32, v7
	v_add_co_u32 v4, vcc_lo, s10, v4
	v_add_co_ci_u32_e64 v5, null, s11, v5, vcc_lo
	global_load_dword v8, v[4:5], off
	v_add_nc_u32_e32 v5, -12, v3
	v_mov_b32_e32 v4, v6
	v_lshlrev_b64 v[14:15], 2, v[5:6]
	v_add_nc_u32_e32 v5, -10, v3
	v_lshlrev_b64 v[16:17], 2, v[3:4]
	v_lshlrev_b64 v[4:5], 2, v[5:6]
	v_add_co_u32 v14, vcc_lo, s12, v14
	v_add_co_ci_u32_e64 v15, null, s13, v15, vcc_lo
	v_add_co_u32 v16, vcc_lo, s12, v16
	v_add_co_ci_u32_e64 v17, null, s13, v17, vcc_lo
	;; [unrolled: 2-line block ×3, first 2 shown]
	s_clause 0x1
	global_load_dwordx2 v[14:15], v[14:15], off
	global_load_dwordx2 v[18:19], v[4:5], off
	s_waitcnt vmcnt(2)
	v_subrev_nc_u32_e32 v4, s18, v8
	v_mul_lo_u32 v12, v4, 7
	v_add_nc_u32_e32 v5, 1, v12
	v_lshlrev_b64 v[20:21], 2, v[12:13]
	v_lshlrev_b64 v[22:23], 2, v[5:6]
	v_add_nc_u32_e32 v5, -8, v3
	v_add_co_u32 v20, vcc_lo, s14, v20
	v_add_co_ci_u32_e64 v21, null, s15, v21, vcc_lo
	v_add_co_u32 v22, vcc_lo, s14, v22
	v_lshlrev_b64 v[24:25], 2, v[5:6]
	v_add_nc_u32_e32 v5, 2, v12
	v_add_co_ci_u32_e64 v23, null, s15, v23, vcc_lo
	s_clause 0x1
	global_load_dword v8, v[20:21], off
	global_load_dword v32, v[22:23], off
	v_lshlrev_b64 v[20:21], 2, v[5:6]
	v_add_nc_u32_e32 v5, -6, v3
	v_add_co_u32 v22, vcc_lo, s12, v24
	v_add_co_ci_u32_e64 v23, null, s13, v25, vcc_lo
	v_lshlrev_b64 v[24:25], 2, v[5:6]
	v_add_nc_u32_e32 v5, 3, v12
	v_add_co_u32 v20, vcc_lo, s14, v20
	v_add_co_ci_u32_e64 v21, null, s15, v21, vcc_lo
	v_lshlrev_b64 v[26:27], 2, v[5:6]
	v_add_nc_u32_e32 v5, -4, v3
	global_load_dwordx2 v[22:23], v[22:23], off
	global_load_dword v33, v[20:21], off
	v_add_co_u32 v20, vcc_lo, s12, v24
	v_add_co_ci_u32_e64 v21, null, s13, v25, vcc_lo
	v_lshlrev_b64 v[24:25], 2, v[5:6]
	v_add_nc_u32_e32 v5, 4, v12
	v_add_co_u32 v26, vcc_lo, s14, v26
	v_add_co_ci_u32_e64 v27, null, s15, v27, vcc_lo
	v_lshlrev_b64 v[28:29], 2, v[5:6]
	v_add_co_u32 v24, vcc_lo, s12, v24
	v_add_co_ci_u32_e64 v25, null, s13, v25, vcc_lo
	v_add_nc_u32_e32 v5, -2, v3
	v_add_co_u32 v28, vcc_lo, s14, v28
	v_add_co_ci_u32_e64 v29, null, s15, v29, vcc_lo
	global_load_dword v34, v[26:27], off
	s_clause 0x1
	global_load_dwordx2 v[24:25], v[24:25], off
	global_load_dwordx2 v[20:21], v[20:21], off
	global_load_dword v28, v[28:29], off
	v_lshlrev_b64 v[26:27], 2, v[5:6]
	v_add_nc_u32_e32 v5, 5, v12
	v_add_nc_u32_e32 v3, 0x1c0, v3
	v_lshlrev_b64 v[30:31], 2, v[5:6]
	v_add_nc_u32_e32 v5, 6, v12
	v_add_co_u32 v12, vcc_lo, s12, v26
	v_add_co_ci_u32_e64 v13, null, s13, v27, vcc_lo
	v_lshlrev_b64 v[4:5], 2, v[5:6]
	v_add_co_u32 v26, vcc_lo, s14, v30
	v_add_co_ci_u32_e64 v27, null, s15, v31, vcc_lo
	global_load_dwordx2 v[12:13], v[12:13], off
	global_load_dword v26, v[26:27], off
	v_add_co_u32 v4, vcc_lo, s14, v4
	v_add_co_ci_u32_e64 v5, null, s15, v5, vcc_lo
	global_load_dwordx2 v[16:17], v[16:17], off
	global_load_dword v4, v[4:5], off
	v_cmp_ge_i32_e32 vcc_lo, v7, v11
	s_or_b32 s3, vcc_lo, s3
	s_waitcnt vmcnt(11)
	v_fmac_f32_e32 v9, v14, v8
	v_fmac_f32_e32 v10, v15, v8
	s_waitcnt vmcnt(10)
	v_fmac_f32_e32 v9, v18, v32
	v_fmac_f32_e32 v10, v19, v32
	;; [unrolled: 3-line block ×7, first 2 shown]
	s_andn2_b32 exec_lo, exec_lo, s3
	s_cbranch_execnz .LBB28_9
; %bb.10:
	s_or_b32 exec_lo, exec_lo, s3
.LBB28_11:
	s_or_b32 exec_lo, exec_lo, s1
	s_cbranch_execz .LBB28_13
	s_branch .LBB28_18
.LBB28_12:
                                        ; implicit-def: $vgpr9
                                        ; implicit-def: $vgpr10
.LBB28_13:
	v_mov_b32_e32 v9, 0
	v_mov_b32_e32 v10, 0
	s_and_saveexec_b32 s1, s0
	s_cbranch_execz .LBB28_17
; %bb.14:
	v_mad_u64_u32 v[4:5], null, v2, 14, 13
	v_mov_b32_e32 v7, 0
	v_mov_b32_e32 v9, 0
	;; [unrolled: 1-line block ×3, first 2 shown]
	s_mov_b32 s0, 0
.LBB28_15:                              ; =>This Inner Loop Header: Depth=1
	v_ashrrev_i32_e32 v3, 31, v2
	v_add_nc_u32_e32 v12, -6, v4
	v_mov_b32_e32 v13, v7
	v_mov_b32_e32 v14, v7
	v_lshlrev_b64 v[5:6], 2, v[2:3]
	v_add_nc_u32_e32 v2, 32, v2
	v_lshlrev_b64 v[12:13], 2, v[12:13]
	v_add_co_u32 v5, vcc_lo, s10, v5
	v_add_co_ci_u32_e64 v6, null, s11, v6, vcc_lo
	global_load_dword v3, v[5:6], off
	v_add_nc_u32_e32 v6, -13, v4
	v_mov_b32_e32 v5, v7
	v_lshlrev_b64 v[15:16], 2, v[6:7]
	v_lshlrev_b64 v[5:6], 2, v[4:5]
	v_add_co_u32 v15, vcc_lo, s12, v15
	v_add_co_ci_u32_e64 v16, null, s13, v16, vcc_lo
	v_add_co_u32 v12, vcc_lo, s12, v12
	v_add_co_ci_u32_e64 v13, null, s13, v13, vcc_lo
	s_clause 0x1
	global_load_dwordx2 v[15:16], v[15:16], off
	global_load_dword v8, v[12:13], off
	v_add_co_u32 v17, vcc_lo, s12, v5
	v_add_co_ci_u32_e64 v18, null, s13, v6, vcc_lo
	s_waitcnt vmcnt(2)
	v_subrev_nc_u32_e32 v3, s18, v3
	v_mul_lo_u32 v13, v3, 7
	v_add_nc_u32_e32 v6, 1, v13
	v_lshlrev_b64 v[19:20], 2, v[13:14]
	v_lshlrev_b64 v[21:22], 2, v[6:7]
	v_add_nc_u32_e32 v6, -5, v4
	v_add_co_u32 v19, vcc_lo, s14, v19
	v_add_co_ci_u32_e64 v20, null, s15, v20, vcc_lo
	v_lshlrev_b64 v[23:24], 2, v[6:7]
	v_add_nc_u32_e32 v6, -11, v4
	global_load_dword v3, v[19:20], off
	v_add_co_u32 v19, vcc_lo, s14, v21
	v_add_co_ci_u32_e64 v20, null, s15, v22, vcc_lo
	v_lshlrev_b64 v[21:22], 2, v[6:7]
	v_add_nc_u32_e32 v6, 2, v13
	v_add_co_u32 v23, vcc_lo, s12, v23
	v_add_co_ci_u32_e64 v24, null, s13, v24, vcc_lo
	global_load_dword v14, v[19:20], off
	v_lshlrev_b64 v[19:20], 2, v[6:7]
	v_add_co_u32 v21, vcc_lo, s12, v21
	v_add_nc_u32_e32 v6, -4, v4
	v_add_co_ci_u32_e64 v22, null, s13, v22, vcc_lo
	v_add_co_u32 v19, vcc_lo, s14, v19
	s_clause 0x1
	global_load_dword v25, v[23:24], off
	global_load_dword v26, v[21:22], off
	v_lshlrev_b64 v[23:24], 2, v[6:7]
	v_add_co_ci_u32_e64 v20, null, s15, v20, vcc_lo
	v_add_nc_u32_e32 v6, -10, v4
	global_load_dword v27, v[19:20], off
	v_add_co_u32 v19, vcc_lo, s12, v23
	v_add_co_ci_u32_e64 v20, null, s13, v24, vcc_lo
	global_load_dword v28, v[19:20], off
	v_lshlrev_b64 v[21:22], 2, v[6:7]
	v_add_nc_u32_e32 v6, 3, v13
	v_lshlrev_b64 v[23:24], 2, v[6:7]
	v_add_nc_u32_e32 v6, -3, v4
	v_add_co_u32 v21, vcc_lo, s12, v21
	v_add_co_ci_u32_e64 v22, null, s13, v22, vcc_lo
	v_lshlrev_b64 v[19:20], 2, v[6:7]
	v_add_nc_u32_e32 v6, -9, v4
	global_load_dword v29, v[21:22], off
	v_add_co_u32 v21, vcc_lo, s14, v23
	v_add_co_ci_u32_e64 v22, null, s15, v24, vcc_lo
	v_lshlrev_b64 v[23:24], 2, v[6:7]
	v_add_nc_u32_e32 v6, 4, v13
	v_add_co_u32 v19, vcc_lo, s12, v19
	v_add_co_ci_u32_e64 v20, null, s13, v20, vcc_lo
	global_load_dword v30, v[21:22], off
	v_lshlrev_b64 v[21:22], 2, v[6:7]
	v_add_nc_u32_e32 v6, -2, v4
	global_load_dword v31, v[19:20], off
	v_add_co_u32 v19, vcc_lo, s12, v23
	v_add_co_ci_u32_e64 v20, null, s13, v24, vcc_lo
	v_lshlrev_b64 v[23:24], 2, v[6:7]
	v_add_nc_u32_e32 v6, -8, v4
	v_add_co_u32 v21, vcc_lo, s14, v21
	v_add_co_ci_u32_e64 v22, null, s15, v22, vcc_lo
	global_load_dword v32, v[19:20], off
	v_lshlrev_b64 v[19:20], 2, v[6:7]
	v_add_nc_u32_e32 v6, 5, v13
	global_load_dword v33, v[21:22], off
	v_add_co_u32 v21, vcc_lo, s12, v23
	v_add_co_ci_u32_e64 v22, null, s13, v24, vcc_lo
	v_add_co_u32 v19, vcc_lo, s12, v19
	v_lshlrev_b64 v[23:24], 2, v[6:7]
	v_add_nc_u32_e32 v6, -1, v4
	v_add_co_ci_u32_e64 v20, null, s13, v20, vcc_lo
	s_clause 0x1
	global_load_dword v34, v[21:22], off
	global_load_dword v35, v[19:20], off
	v_lshlrev_b64 v[21:22], 2, v[6:7]
	v_add_nc_u32_e32 v6, -7, v4
	v_add_co_u32 v19, vcc_lo, s14, v23
	v_add_co_ci_u32_e64 v20, null, s15, v24, vcc_lo
	v_lshlrev_b64 v[23:24], 2, v[6:7]
	v_add_nc_u32_e32 v6, 6, v13
	v_add_co_u32 v12, vcc_lo, s12, v21
	v_add_co_ci_u32_e64 v13, null, s13, v22, vcc_lo
	v_lshlrev_b64 v[5:6], 2, v[6:7]
	global_load_dword v19, v[19:20], off
	v_add_nc_u32_e32 v4, 0x1c0, v4
	global_load_dword v20, v[12:13], off
	v_add_co_u32 v12, vcc_lo, s12, v23
	v_add_co_ci_u32_e64 v13, null, s13, v24, vcc_lo
	v_add_co_u32 v5, vcc_lo, s14, v5
	v_add_co_ci_u32_e64 v6, null, s15, v6, vcc_lo
	s_clause 0x1
	global_load_dword v17, v[17:18], off
	global_load_dword v12, v[12:13], off
	;; [unrolled: 1-line block ×3, first 2 shown]
	v_cmp_ge_i32_e32 vcc_lo, v2, v11
	s_or_b32 s0, vcc_lo, s0
	s_waitcnt vmcnt(17)
	v_fmac_f32_e32 v9, v15, v3
	v_fmac_f32_e32 v10, v8, v3
	s_waitcnt vmcnt(16)
	v_fmac_f32_e32 v9, v16, v14
	s_waitcnt vmcnt(15)
	;; [unrolled: 2-line block ×11, first 2 shown]
	v_fmac_f32_e32 v9, v12, v5
	v_fmac_f32_e32 v10, v17, v5
	s_andn2_b32 exec_lo, exec_lo, s0
	s_cbranch_execnz .LBB28_15
; %bb.16:
	s_or_b32 exec_lo, exec_lo, s0
.LBB28_17:
	s_or_b32 exec_lo, exec_lo, s1
.LBB28_18:
	v_mbcnt_lo_u32_b32 v2, -1, 0
	s_mov_b32 s3, -1
	v_xor_b32_e32 v3, 16, v2
	v_xor_b32_e32 v5, 8, v2
	;; [unrolled: 1-line block ×3, first 2 shown]
	v_cmp_gt_i32_e32 vcc_lo, 32, v3
	v_cndmask_b32_e32 v3, v2, v3, vcc_lo
	v_cmp_gt_i32_e32 vcc_lo, 32, v5
	v_lshlrev_b32_e32 v3, 2, v3
	v_cndmask_b32_e32 v5, v2, v5, vcc_lo
	v_cmp_gt_i32_e32 vcc_lo, 32, v7
	ds_bpermute_b32 v4, v3, v9
	ds_bpermute_b32 v3, v3, v10
	v_lshlrev_b32_e32 v5, 2, v5
	v_cndmask_b32_e32 v7, v2, v7, vcc_lo
	v_lshlrev_b32_e32 v7, 2, v7
	s_waitcnt lgkmcnt(1)
	v_add_f32_e32 v4, v9, v4
	s_waitcnt lgkmcnt(0)
	v_add_f32_e32 v3, v10, v3
	ds_bpermute_b32 v6, v5, v4
	ds_bpermute_b32 v5, v5, v3
	s_waitcnt lgkmcnt(1)
	v_add_f32_e32 v4, v4, v6
	s_waitcnt lgkmcnt(0)
	v_add_f32_e32 v3, v3, v5
	ds_bpermute_b32 v5, v7, v4
	ds_bpermute_b32 v6, v7, v3
	v_xor_b32_e32 v7, 2, v2
	v_cmp_gt_i32_e32 vcc_lo, 32, v7
	v_cndmask_b32_e32 v7, v2, v7, vcc_lo
	v_lshlrev_b32_e32 v7, 2, v7
	s_waitcnt lgkmcnt(1)
	v_add_f32_e32 v4, v4, v5
	s_waitcnt lgkmcnt(0)
	v_add_f32_e32 v3, v3, v6
	ds_bpermute_b32 v5, v7, v4
	ds_bpermute_b32 v6, v7, v3
	v_xor_b32_e32 v7, 1, v2
	v_cmp_gt_i32_e32 vcc_lo, 32, v7
	v_cndmask_b32_e32 v2, v2, v7, vcc_lo
	v_cmp_eq_u32_e32 vcc_lo, 31, v0
	v_lshlrev_b32_e32 v7, 2, v2
	s_waitcnt lgkmcnt(1)
	v_add_f32_e32 v2, v4, v5
	s_waitcnt lgkmcnt(0)
	v_add_f32_e32 v3, v3, v6
	ds_bpermute_b32 v4, v7, v2
	ds_bpermute_b32 v5, v7, v3
	s_and_b32 exec_lo, exec_lo, vcc_lo
	s_cbranch_execz .LBB28_23
; %bb.19:
	s_load_dwordx2 s[0:1], s[4:5], 0x38
	s_waitcnt lgkmcnt(0)
	v_add_f32_e32 v0, v2, v4
	v_add_f32_e32 v3, v3, v5
	v_cmp_eq_f32_e64 s4, s2, 0
	v_mul_f32_e32 v2, s16, v0
	v_mul_f32_e32 v3, s16, v3
	v_lshlrev_b32_e32 v0, 1, v1
	s_and_b32 vcc_lo, exec_lo, s4
	s_cbranch_vccz .LBB28_21
; %bb.20:
	v_ashrrev_i32_e32 v1, 31, v0
	s_mov_b32 s3, 0
	v_lshlrev_b64 v[4:5], 2, v[0:1]
	v_add_co_u32 v4, vcc_lo, s0, v4
	v_add_co_ci_u32_e64 v5, null, s1, v5, vcc_lo
	global_store_dwordx2 v[4:5], v[2:3], off
.LBB28_21:
	s_andn2_b32 vcc_lo, exec_lo, s3
	s_cbranch_vccnz .LBB28_23
; %bb.22:
	v_ashrrev_i32_e32 v1, 31, v0
	v_lshlrev_b64 v[0:1], 2, v[0:1]
	v_add_co_u32 v0, vcc_lo, s0, v0
	v_add_co_ci_u32_e64 v1, null, s1, v1, vcc_lo
	global_load_dwordx2 v[4:5], v[0:1], off
	s_waitcnt vmcnt(0)
	v_fmac_f32_e32 v2, s2, v4
	v_fmac_f32_e32 v3, s2, v5
	global_store_dwordx2 v[0:1], v[2:3], off
.LBB28_23:
	s_endpgm
	.section	.rodata,"a",@progbits
	.p2align	6, 0x0
	.amdhsa_kernel _ZN9rocsparseL19gebsrmvn_2xn_kernelILj128ELj7ELj32EfEEvi20rocsparse_direction_NS_24const_host_device_scalarIT2_EEPKiS6_PKS3_S8_S4_PS3_21rocsparse_index_base_b
		.amdhsa_group_segment_fixed_size 0
		.amdhsa_private_segment_fixed_size 0
		.amdhsa_kernarg_size 72
		.amdhsa_user_sgpr_count 6
		.amdhsa_user_sgpr_private_segment_buffer 1
		.amdhsa_user_sgpr_dispatch_ptr 0
		.amdhsa_user_sgpr_queue_ptr 0
		.amdhsa_user_sgpr_kernarg_segment_ptr 1
		.amdhsa_user_sgpr_dispatch_id 0
		.amdhsa_user_sgpr_flat_scratch_init 0
		.amdhsa_user_sgpr_private_segment_size 0
		.amdhsa_wavefront_size32 1
		.amdhsa_uses_dynamic_stack 0
		.amdhsa_system_sgpr_private_segment_wavefront_offset 0
		.amdhsa_system_sgpr_workgroup_id_x 1
		.amdhsa_system_sgpr_workgroup_id_y 0
		.amdhsa_system_sgpr_workgroup_id_z 0
		.amdhsa_system_sgpr_workgroup_info 0
		.amdhsa_system_vgpr_workitem_id 0
		.amdhsa_next_free_vgpr 36
		.amdhsa_next_free_sgpr 20
		.amdhsa_reserve_vcc 1
		.amdhsa_reserve_flat_scratch 0
		.amdhsa_float_round_mode_32 0
		.amdhsa_float_round_mode_16_64 0
		.amdhsa_float_denorm_mode_32 3
		.amdhsa_float_denorm_mode_16_64 3
		.amdhsa_dx10_clamp 1
		.amdhsa_ieee_mode 1
		.amdhsa_fp16_overflow 0
		.amdhsa_workgroup_processor_mode 1
		.amdhsa_memory_ordered 1
		.amdhsa_forward_progress 1
		.amdhsa_shared_vgpr_count 0
		.amdhsa_exception_fp_ieee_invalid_op 0
		.amdhsa_exception_fp_denorm_src 0
		.amdhsa_exception_fp_ieee_div_zero 0
		.amdhsa_exception_fp_ieee_overflow 0
		.amdhsa_exception_fp_ieee_underflow 0
		.amdhsa_exception_fp_ieee_inexact 0
		.amdhsa_exception_int_div_zero 0
	.end_amdhsa_kernel
	.section	.text._ZN9rocsparseL19gebsrmvn_2xn_kernelILj128ELj7ELj32EfEEvi20rocsparse_direction_NS_24const_host_device_scalarIT2_EEPKiS6_PKS3_S8_S4_PS3_21rocsparse_index_base_b,"axG",@progbits,_ZN9rocsparseL19gebsrmvn_2xn_kernelILj128ELj7ELj32EfEEvi20rocsparse_direction_NS_24const_host_device_scalarIT2_EEPKiS6_PKS3_S8_S4_PS3_21rocsparse_index_base_b,comdat
.Lfunc_end28:
	.size	_ZN9rocsparseL19gebsrmvn_2xn_kernelILj128ELj7ELj32EfEEvi20rocsparse_direction_NS_24const_host_device_scalarIT2_EEPKiS6_PKS3_S8_S4_PS3_21rocsparse_index_base_b, .Lfunc_end28-_ZN9rocsparseL19gebsrmvn_2xn_kernelILj128ELj7ELj32EfEEvi20rocsparse_direction_NS_24const_host_device_scalarIT2_EEPKiS6_PKS3_S8_S4_PS3_21rocsparse_index_base_b
                                        ; -- End function
	.set _ZN9rocsparseL19gebsrmvn_2xn_kernelILj128ELj7ELj32EfEEvi20rocsparse_direction_NS_24const_host_device_scalarIT2_EEPKiS6_PKS3_S8_S4_PS3_21rocsparse_index_base_b.num_vgpr, 36
	.set _ZN9rocsparseL19gebsrmvn_2xn_kernelILj128ELj7ELj32EfEEvi20rocsparse_direction_NS_24const_host_device_scalarIT2_EEPKiS6_PKS3_S8_S4_PS3_21rocsparse_index_base_b.num_agpr, 0
	.set _ZN9rocsparseL19gebsrmvn_2xn_kernelILj128ELj7ELj32EfEEvi20rocsparse_direction_NS_24const_host_device_scalarIT2_EEPKiS6_PKS3_S8_S4_PS3_21rocsparse_index_base_b.numbered_sgpr, 20
	.set _ZN9rocsparseL19gebsrmvn_2xn_kernelILj128ELj7ELj32EfEEvi20rocsparse_direction_NS_24const_host_device_scalarIT2_EEPKiS6_PKS3_S8_S4_PS3_21rocsparse_index_base_b.num_named_barrier, 0
	.set _ZN9rocsparseL19gebsrmvn_2xn_kernelILj128ELj7ELj32EfEEvi20rocsparse_direction_NS_24const_host_device_scalarIT2_EEPKiS6_PKS3_S8_S4_PS3_21rocsparse_index_base_b.private_seg_size, 0
	.set _ZN9rocsparseL19gebsrmvn_2xn_kernelILj128ELj7ELj32EfEEvi20rocsparse_direction_NS_24const_host_device_scalarIT2_EEPKiS6_PKS3_S8_S4_PS3_21rocsparse_index_base_b.uses_vcc, 1
	.set _ZN9rocsparseL19gebsrmvn_2xn_kernelILj128ELj7ELj32EfEEvi20rocsparse_direction_NS_24const_host_device_scalarIT2_EEPKiS6_PKS3_S8_S4_PS3_21rocsparse_index_base_b.uses_flat_scratch, 0
	.set _ZN9rocsparseL19gebsrmvn_2xn_kernelILj128ELj7ELj32EfEEvi20rocsparse_direction_NS_24const_host_device_scalarIT2_EEPKiS6_PKS3_S8_S4_PS3_21rocsparse_index_base_b.has_dyn_sized_stack, 0
	.set _ZN9rocsparseL19gebsrmvn_2xn_kernelILj128ELj7ELj32EfEEvi20rocsparse_direction_NS_24const_host_device_scalarIT2_EEPKiS6_PKS3_S8_S4_PS3_21rocsparse_index_base_b.has_recursion, 0
	.set _ZN9rocsparseL19gebsrmvn_2xn_kernelILj128ELj7ELj32EfEEvi20rocsparse_direction_NS_24const_host_device_scalarIT2_EEPKiS6_PKS3_S8_S4_PS3_21rocsparse_index_base_b.has_indirect_call, 0
	.section	.AMDGPU.csdata,"",@progbits
; Kernel info:
; codeLenInByte = 2344
; TotalNumSgprs: 22
; NumVgprs: 36
; ScratchSize: 0
; MemoryBound: 0
; FloatMode: 240
; IeeeMode: 1
; LDSByteSize: 0 bytes/workgroup (compile time only)
; SGPRBlocks: 0
; VGPRBlocks: 4
; NumSGPRsForWavesPerEU: 22
; NumVGPRsForWavesPerEU: 36
; Occupancy: 16
; WaveLimiterHint : 1
; COMPUTE_PGM_RSRC2:SCRATCH_EN: 0
; COMPUTE_PGM_RSRC2:USER_SGPR: 6
; COMPUTE_PGM_RSRC2:TRAP_HANDLER: 0
; COMPUTE_PGM_RSRC2:TGID_X_EN: 1
; COMPUTE_PGM_RSRC2:TGID_Y_EN: 0
; COMPUTE_PGM_RSRC2:TGID_Z_EN: 0
; COMPUTE_PGM_RSRC2:TIDIG_COMP_CNT: 0
	.section	.text._ZN9rocsparseL19gebsrmvn_2xn_kernelILj128ELj7ELj64EfEEvi20rocsparse_direction_NS_24const_host_device_scalarIT2_EEPKiS6_PKS3_S8_S4_PS3_21rocsparse_index_base_b,"axG",@progbits,_ZN9rocsparseL19gebsrmvn_2xn_kernelILj128ELj7ELj64EfEEvi20rocsparse_direction_NS_24const_host_device_scalarIT2_EEPKiS6_PKS3_S8_S4_PS3_21rocsparse_index_base_b,comdat
	.globl	_ZN9rocsparseL19gebsrmvn_2xn_kernelILj128ELj7ELj64EfEEvi20rocsparse_direction_NS_24const_host_device_scalarIT2_EEPKiS6_PKS3_S8_S4_PS3_21rocsparse_index_base_b ; -- Begin function _ZN9rocsparseL19gebsrmvn_2xn_kernelILj128ELj7ELj64EfEEvi20rocsparse_direction_NS_24const_host_device_scalarIT2_EEPKiS6_PKS3_S8_S4_PS3_21rocsparse_index_base_b
	.p2align	8
	.type	_ZN9rocsparseL19gebsrmvn_2xn_kernelILj128ELj7ELj64EfEEvi20rocsparse_direction_NS_24const_host_device_scalarIT2_EEPKiS6_PKS3_S8_S4_PS3_21rocsparse_index_base_b,@function
_ZN9rocsparseL19gebsrmvn_2xn_kernelILj128ELj7ELj64EfEEvi20rocsparse_direction_NS_24const_host_device_scalarIT2_EEPKiS6_PKS3_S8_S4_PS3_21rocsparse_index_base_b: ; @_ZN9rocsparseL19gebsrmvn_2xn_kernelILj128ELj7ELj64EfEEvi20rocsparse_direction_NS_24const_host_device_scalarIT2_EEPKiS6_PKS3_S8_S4_PS3_21rocsparse_index_base_b
; %bb.0:
	s_clause 0x2
	s_load_dwordx2 s[18:19], s[4:5], 0x40
	s_load_dwordx2 s[16:17], s[4:5], 0x8
	;; [unrolled: 1-line block ×3, first 2 shown]
	s_waitcnt lgkmcnt(0)
	s_bitcmp1_b32 s19, 0
	s_cselect_b32 s0, -1, 0
	s_and_b32 vcc_lo, exec_lo, s0
	s_xor_b32 s0, s0, -1
	s_cbranch_vccnz .LBB29_2
; %bb.1:
	s_load_dword s16, s[16:17], 0x0
.LBB29_2:
	s_andn2_b32 vcc_lo, exec_lo, s0
	s_cbranch_vccnz .LBB29_4
; %bb.3:
	s_load_dword s2, s[2:3], 0x0
.LBB29_4:
	s_waitcnt lgkmcnt(0)
	v_cmp_eq_f32_e64 s0, s16, 0
	v_cmp_eq_f32_e64 s1, s2, 1.0
	s_and_b32 s0, s0, s1
	s_and_b32 vcc_lo, exec_lo, s0
	s_cbranch_vccnz .LBB29_23
; %bb.5:
	s_load_dwordx2 s[0:1], s[4:5], 0x0
	v_lshrrev_b32_e32 v1, 6, v0
	v_lshl_or_b32 v1, s6, 1, v1
	s_waitcnt lgkmcnt(0)
	v_cmp_gt_i32_e32 vcc_lo, s0, v1
	s_and_saveexec_b32 s0, vcc_lo
	s_cbranch_execz .LBB29_23
; %bb.6:
	s_load_dwordx8 s[8:15], s[4:5], 0x10
	v_ashrrev_i32_e32 v2, 31, v1
	v_and_b32_e32 v0, 63, v0
	s_cmp_lg_u32 s1, 0
	v_lshlrev_b64 v[2:3], 2, v[1:2]
	s_waitcnt lgkmcnt(0)
	v_add_co_u32 v2, vcc_lo, s8, v2
	v_add_co_ci_u32_e64 v3, null, s9, v3, vcc_lo
	global_load_dwordx2 v[2:3], v[2:3], off
	s_waitcnt vmcnt(0)
	v_subrev_nc_u32_e32 v2, s18, v2
	v_subrev_nc_u32_e32 v11, s18, v3
	v_add_nc_u32_e32 v2, v2, v0
	v_cmp_lt_i32_e64 s0, v2, v11
	s_cbranch_scc0 .LBB29_12
; %bb.7:
	v_mov_b32_e32 v9, 0
	v_mov_b32_e32 v10, 0
	s_and_saveexec_b32 s1, s0
	s_cbranch_execz .LBB29_11
; %bb.8:
	v_mad_u64_u32 v[3:4], null, v2, 14, 12
	v_mov_b32_e32 v6, 0
	v_mov_b32_e32 v7, v2
	v_mov_b32_e32 v9, 0
	v_mov_b32_e32 v10, 0
	s_mov_b32 s3, 0
.LBB29_9:                               ; =>This Inner Loop Header: Depth=1
	v_ashrrev_i32_e32 v8, 31, v7
	v_mov_b32_e32 v13, v6
	v_lshlrev_b64 v[4:5], 2, v[7:8]
	v_add_nc_u32_e32 v7, 64, v7
	v_add_co_u32 v4, vcc_lo, s10, v4
	v_add_co_ci_u32_e64 v5, null, s11, v5, vcc_lo
	global_load_dword v8, v[4:5], off
	v_add_nc_u32_e32 v5, -12, v3
	v_mov_b32_e32 v4, v6
	v_lshlrev_b64 v[14:15], 2, v[5:6]
	v_add_nc_u32_e32 v5, -10, v3
	v_lshlrev_b64 v[16:17], 2, v[3:4]
	v_lshlrev_b64 v[4:5], 2, v[5:6]
	v_add_co_u32 v14, vcc_lo, s12, v14
	v_add_co_ci_u32_e64 v15, null, s13, v15, vcc_lo
	v_add_co_u32 v16, vcc_lo, s12, v16
	v_add_co_ci_u32_e64 v17, null, s13, v17, vcc_lo
	;; [unrolled: 2-line block ×3, first 2 shown]
	s_clause 0x1
	global_load_dwordx2 v[14:15], v[14:15], off
	global_load_dwordx2 v[18:19], v[4:5], off
	s_waitcnt vmcnt(2)
	v_subrev_nc_u32_e32 v4, s18, v8
	v_mul_lo_u32 v12, v4, 7
	v_add_nc_u32_e32 v5, 1, v12
	v_lshlrev_b64 v[20:21], 2, v[12:13]
	v_lshlrev_b64 v[22:23], 2, v[5:6]
	v_add_nc_u32_e32 v5, -8, v3
	v_add_co_u32 v20, vcc_lo, s14, v20
	v_add_co_ci_u32_e64 v21, null, s15, v21, vcc_lo
	v_add_co_u32 v22, vcc_lo, s14, v22
	v_lshlrev_b64 v[24:25], 2, v[5:6]
	v_add_nc_u32_e32 v5, 2, v12
	v_add_co_ci_u32_e64 v23, null, s15, v23, vcc_lo
	s_clause 0x1
	global_load_dword v8, v[20:21], off
	global_load_dword v32, v[22:23], off
	v_lshlrev_b64 v[20:21], 2, v[5:6]
	v_add_nc_u32_e32 v5, -6, v3
	v_add_co_u32 v22, vcc_lo, s12, v24
	v_add_co_ci_u32_e64 v23, null, s13, v25, vcc_lo
	v_lshlrev_b64 v[24:25], 2, v[5:6]
	v_add_nc_u32_e32 v5, 3, v12
	v_add_co_u32 v20, vcc_lo, s14, v20
	v_add_co_ci_u32_e64 v21, null, s15, v21, vcc_lo
	v_lshlrev_b64 v[26:27], 2, v[5:6]
	v_add_nc_u32_e32 v5, -4, v3
	global_load_dwordx2 v[22:23], v[22:23], off
	global_load_dword v33, v[20:21], off
	v_add_co_u32 v20, vcc_lo, s12, v24
	v_add_co_ci_u32_e64 v21, null, s13, v25, vcc_lo
	v_lshlrev_b64 v[24:25], 2, v[5:6]
	v_add_nc_u32_e32 v5, 4, v12
	v_add_co_u32 v26, vcc_lo, s14, v26
	v_add_co_ci_u32_e64 v27, null, s15, v27, vcc_lo
	v_lshlrev_b64 v[28:29], 2, v[5:6]
	v_add_co_u32 v24, vcc_lo, s12, v24
	v_add_co_ci_u32_e64 v25, null, s13, v25, vcc_lo
	v_add_nc_u32_e32 v5, -2, v3
	v_add_co_u32 v28, vcc_lo, s14, v28
	v_add_co_ci_u32_e64 v29, null, s15, v29, vcc_lo
	global_load_dword v34, v[26:27], off
	s_clause 0x1
	global_load_dwordx2 v[24:25], v[24:25], off
	global_load_dwordx2 v[20:21], v[20:21], off
	global_load_dword v28, v[28:29], off
	v_lshlrev_b64 v[26:27], 2, v[5:6]
	v_add_nc_u32_e32 v5, 5, v12
	v_add_nc_u32_e32 v3, 0x380, v3
	v_lshlrev_b64 v[30:31], 2, v[5:6]
	v_add_nc_u32_e32 v5, 6, v12
	v_add_co_u32 v12, vcc_lo, s12, v26
	v_add_co_ci_u32_e64 v13, null, s13, v27, vcc_lo
	v_lshlrev_b64 v[4:5], 2, v[5:6]
	v_add_co_u32 v26, vcc_lo, s14, v30
	v_add_co_ci_u32_e64 v27, null, s15, v31, vcc_lo
	global_load_dwordx2 v[12:13], v[12:13], off
	global_load_dword v26, v[26:27], off
	v_add_co_u32 v4, vcc_lo, s14, v4
	v_add_co_ci_u32_e64 v5, null, s15, v5, vcc_lo
	global_load_dwordx2 v[16:17], v[16:17], off
	global_load_dword v4, v[4:5], off
	v_cmp_ge_i32_e32 vcc_lo, v7, v11
	s_or_b32 s3, vcc_lo, s3
	s_waitcnt vmcnt(11)
	v_fmac_f32_e32 v9, v14, v8
	v_fmac_f32_e32 v10, v15, v8
	s_waitcnt vmcnt(10)
	v_fmac_f32_e32 v9, v18, v32
	v_fmac_f32_e32 v10, v19, v32
	;; [unrolled: 3-line block ×7, first 2 shown]
	s_andn2_b32 exec_lo, exec_lo, s3
	s_cbranch_execnz .LBB29_9
; %bb.10:
	s_or_b32 exec_lo, exec_lo, s3
.LBB29_11:
	s_or_b32 exec_lo, exec_lo, s1
	s_cbranch_execz .LBB29_13
	s_branch .LBB29_18
.LBB29_12:
                                        ; implicit-def: $vgpr9
                                        ; implicit-def: $vgpr10
.LBB29_13:
	v_mov_b32_e32 v9, 0
	v_mov_b32_e32 v10, 0
	s_and_saveexec_b32 s1, s0
	s_cbranch_execz .LBB29_17
; %bb.14:
	v_mad_u64_u32 v[4:5], null, v2, 14, 13
	v_mov_b32_e32 v7, 0
	v_mov_b32_e32 v9, 0
	;; [unrolled: 1-line block ×3, first 2 shown]
	s_mov_b32 s0, 0
.LBB29_15:                              ; =>This Inner Loop Header: Depth=1
	v_ashrrev_i32_e32 v3, 31, v2
	v_add_nc_u32_e32 v12, -6, v4
	v_mov_b32_e32 v13, v7
	v_mov_b32_e32 v14, v7
	v_lshlrev_b64 v[5:6], 2, v[2:3]
	v_add_nc_u32_e32 v2, 64, v2
	v_lshlrev_b64 v[12:13], 2, v[12:13]
	v_add_co_u32 v5, vcc_lo, s10, v5
	v_add_co_ci_u32_e64 v6, null, s11, v6, vcc_lo
	global_load_dword v3, v[5:6], off
	v_add_nc_u32_e32 v6, -13, v4
	v_mov_b32_e32 v5, v7
	v_lshlrev_b64 v[15:16], 2, v[6:7]
	v_lshlrev_b64 v[5:6], 2, v[4:5]
	v_add_co_u32 v15, vcc_lo, s12, v15
	v_add_co_ci_u32_e64 v16, null, s13, v16, vcc_lo
	v_add_co_u32 v12, vcc_lo, s12, v12
	v_add_co_ci_u32_e64 v13, null, s13, v13, vcc_lo
	s_clause 0x1
	global_load_dwordx2 v[15:16], v[15:16], off
	global_load_dword v8, v[12:13], off
	v_add_co_u32 v17, vcc_lo, s12, v5
	v_add_co_ci_u32_e64 v18, null, s13, v6, vcc_lo
	s_waitcnt vmcnt(2)
	v_subrev_nc_u32_e32 v3, s18, v3
	v_mul_lo_u32 v13, v3, 7
	v_add_nc_u32_e32 v6, 1, v13
	v_lshlrev_b64 v[19:20], 2, v[13:14]
	v_lshlrev_b64 v[21:22], 2, v[6:7]
	v_add_nc_u32_e32 v6, -5, v4
	v_add_co_u32 v19, vcc_lo, s14, v19
	v_add_co_ci_u32_e64 v20, null, s15, v20, vcc_lo
	v_lshlrev_b64 v[23:24], 2, v[6:7]
	v_add_nc_u32_e32 v6, -11, v4
	global_load_dword v3, v[19:20], off
	v_add_co_u32 v19, vcc_lo, s14, v21
	v_add_co_ci_u32_e64 v20, null, s15, v22, vcc_lo
	v_lshlrev_b64 v[21:22], 2, v[6:7]
	v_add_nc_u32_e32 v6, 2, v13
	v_add_co_u32 v23, vcc_lo, s12, v23
	v_add_co_ci_u32_e64 v24, null, s13, v24, vcc_lo
	global_load_dword v14, v[19:20], off
	v_lshlrev_b64 v[19:20], 2, v[6:7]
	v_add_co_u32 v21, vcc_lo, s12, v21
	v_add_nc_u32_e32 v6, -4, v4
	v_add_co_ci_u32_e64 v22, null, s13, v22, vcc_lo
	v_add_co_u32 v19, vcc_lo, s14, v19
	s_clause 0x1
	global_load_dword v25, v[23:24], off
	global_load_dword v26, v[21:22], off
	v_lshlrev_b64 v[23:24], 2, v[6:7]
	v_add_co_ci_u32_e64 v20, null, s15, v20, vcc_lo
	v_add_nc_u32_e32 v6, -10, v4
	global_load_dword v27, v[19:20], off
	v_add_co_u32 v19, vcc_lo, s12, v23
	v_add_co_ci_u32_e64 v20, null, s13, v24, vcc_lo
	global_load_dword v28, v[19:20], off
	v_lshlrev_b64 v[21:22], 2, v[6:7]
	v_add_nc_u32_e32 v6, 3, v13
	v_lshlrev_b64 v[23:24], 2, v[6:7]
	v_add_nc_u32_e32 v6, -3, v4
	v_add_co_u32 v21, vcc_lo, s12, v21
	v_add_co_ci_u32_e64 v22, null, s13, v22, vcc_lo
	v_lshlrev_b64 v[19:20], 2, v[6:7]
	v_add_nc_u32_e32 v6, -9, v4
	global_load_dword v29, v[21:22], off
	v_add_co_u32 v21, vcc_lo, s14, v23
	v_add_co_ci_u32_e64 v22, null, s15, v24, vcc_lo
	v_lshlrev_b64 v[23:24], 2, v[6:7]
	v_add_nc_u32_e32 v6, 4, v13
	v_add_co_u32 v19, vcc_lo, s12, v19
	v_add_co_ci_u32_e64 v20, null, s13, v20, vcc_lo
	global_load_dword v30, v[21:22], off
	v_lshlrev_b64 v[21:22], 2, v[6:7]
	v_add_nc_u32_e32 v6, -2, v4
	global_load_dword v31, v[19:20], off
	v_add_co_u32 v19, vcc_lo, s12, v23
	v_add_co_ci_u32_e64 v20, null, s13, v24, vcc_lo
	v_lshlrev_b64 v[23:24], 2, v[6:7]
	v_add_nc_u32_e32 v6, -8, v4
	v_add_co_u32 v21, vcc_lo, s14, v21
	v_add_co_ci_u32_e64 v22, null, s15, v22, vcc_lo
	global_load_dword v32, v[19:20], off
	v_lshlrev_b64 v[19:20], 2, v[6:7]
	v_add_nc_u32_e32 v6, 5, v13
	global_load_dword v33, v[21:22], off
	v_add_co_u32 v21, vcc_lo, s12, v23
	v_add_co_ci_u32_e64 v22, null, s13, v24, vcc_lo
	v_add_co_u32 v19, vcc_lo, s12, v19
	v_lshlrev_b64 v[23:24], 2, v[6:7]
	v_add_nc_u32_e32 v6, -1, v4
	v_add_co_ci_u32_e64 v20, null, s13, v20, vcc_lo
	s_clause 0x1
	global_load_dword v34, v[21:22], off
	global_load_dword v35, v[19:20], off
	v_lshlrev_b64 v[21:22], 2, v[6:7]
	v_add_nc_u32_e32 v6, -7, v4
	v_add_co_u32 v19, vcc_lo, s14, v23
	v_add_co_ci_u32_e64 v20, null, s15, v24, vcc_lo
	v_lshlrev_b64 v[23:24], 2, v[6:7]
	v_add_nc_u32_e32 v6, 6, v13
	v_add_co_u32 v12, vcc_lo, s12, v21
	v_add_co_ci_u32_e64 v13, null, s13, v22, vcc_lo
	v_lshlrev_b64 v[5:6], 2, v[6:7]
	global_load_dword v19, v[19:20], off
	v_add_nc_u32_e32 v4, 0x380, v4
	global_load_dword v20, v[12:13], off
	v_add_co_u32 v12, vcc_lo, s12, v23
	v_add_co_ci_u32_e64 v13, null, s13, v24, vcc_lo
	v_add_co_u32 v5, vcc_lo, s14, v5
	v_add_co_ci_u32_e64 v6, null, s15, v6, vcc_lo
	s_clause 0x1
	global_load_dword v17, v[17:18], off
	global_load_dword v12, v[12:13], off
	;; [unrolled: 1-line block ×3, first 2 shown]
	v_cmp_ge_i32_e32 vcc_lo, v2, v11
	s_or_b32 s0, vcc_lo, s0
	s_waitcnt vmcnt(17)
	v_fmac_f32_e32 v9, v15, v3
	v_fmac_f32_e32 v10, v8, v3
	s_waitcnt vmcnt(16)
	v_fmac_f32_e32 v9, v16, v14
	s_waitcnt vmcnt(15)
	;; [unrolled: 2-line block ×11, first 2 shown]
	v_fmac_f32_e32 v9, v12, v5
	v_fmac_f32_e32 v10, v17, v5
	s_andn2_b32 exec_lo, exec_lo, s0
	s_cbranch_execnz .LBB29_15
; %bb.16:
	s_or_b32 exec_lo, exec_lo, s0
.LBB29_17:
	s_or_b32 exec_lo, exec_lo, s1
.LBB29_18:
	v_mbcnt_lo_u32_b32 v2, -1, 0
	s_mov_b32 s3, -1
	v_or_b32_e32 v3, 32, v2
	v_xor_b32_e32 v5, 16, v2
	v_xor_b32_e32 v7, 8, v2
	v_cmp_gt_i32_e32 vcc_lo, 32, v3
	v_cndmask_b32_e32 v3, v2, v3, vcc_lo
	v_cmp_gt_i32_e32 vcc_lo, 32, v5
	v_lshlrev_b32_e32 v3, 2, v3
	v_cndmask_b32_e32 v5, v2, v5, vcc_lo
	v_cmp_gt_i32_e32 vcc_lo, 32, v7
	ds_bpermute_b32 v4, v3, v9
	ds_bpermute_b32 v3, v3, v10
	v_lshlrev_b32_e32 v5, 2, v5
	v_cndmask_b32_e32 v7, v2, v7, vcc_lo
	v_lshlrev_b32_e32 v7, 2, v7
	s_waitcnt lgkmcnt(1)
	v_add_f32_e32 v4, v9, v4
	s_waitcnt lgkmcnt(0)
	v_add_f32_e32 v3, v10, v3
	ds_bpermute_b32 v6, v5, v4
	ds_bpermute_b32 v5, v5, v3
	s_waitcnt lgkmcnt(1)
	v_add_f32_e32 v4, v4, v6
	s_waitcnt lgkmcnt(0)
	v_add_f32_e32 v3, v3, v5
	ds_bpermute_b32 v5, v7, v4
	ds_bpermute_b32 v6, v7, v3
	v_xor_b32_e32 v7, 4, v2
	v_cmp_gt_i32_e32 vcc_lo, 32, v7
	v_cndmask_b32_e32 v7, v2, v7, vcc_lo
	v_lshlrev_b32_e32 v7, 2, v7
	s_waitcnt lgkmcnt(1)
	v_add_f32_e32 v4, v4, v5
	s_waitcnt lgkmcnt(0)
	v_add_f32_e32 v3, v3, v6
	ds_bpermute_b32 v5, v7, v4
	ds_bpermute_b32 v6, v7, v3
	v_xor_b32_e32 v7, 2, v2
	v_cmp_gt_i32_e32 vcc_lo, 32, v7
	v_cndmask_b32_e32 v7, v2, v7, vcc_lo
	v_lshlrev_b32_e32 v7, 2, v7
	s_waitcnt lgkmcnt(1)
	v_add_f32_e32 v4, v4, v5
	s_waitcnt lgkmcnt(0)
	v_add_f32_e32 v3, v3, v6
	ds_bpermute_b32 v5, v7, v4
	ds_bpermute_b32 v6, v7, v3
	v_xor_b32_e32 v7, 1, v2
	v_cmp_gt_i32_e32 vcc_lo, 32, v7
	v_cndmask_b32_e32 v2, v2, v7, vcc_lo
	v_cmp_eq_u32_e32 vcc_lo, 63, v0
	v_lshlrev_b32_e32 v7, 2, v2
	s_waitcnt lgkmcnt(1)
	v_add_f32_e32 v2, v4, v5
	s_waitcnt lgkmcnt(0)
	v_add_f32_e32 v3, v3, v6
	ds_bpermute_b32 v4, v7, v2
	ds_bpermute_b32 v5, v7, v3
	s_and_b32 exec_lo, exec_lo, vcc_lo
	s_cbranch_execz .LBB29_23
; %bb.19:
	s_load_dwordx2 s[0:1], s[4:5], 0x38
	s_waitcnt lgkmcnt(0)
	v_add_f32_e32 v0, v2, v4
	v_add_f32_e32 v3, v3, v5
	v_cmp_eq_f32_e64 s4, s2, 0
	v_mul_f32_e32 v2, s16, v0
	v_mul_f32_e32 v3, s16, v3
	v_lshlrev_b32_e32 v0, 1, v1
	s_and_b32 vcc_lo, exec_lo, s4
	s_cbranch_vccz .LBB29_21
; %bb.20:
	v_ashrrev_i32_e32 v1, 31, v0
	s_mov_b32 s3, 0
	v_lshlrev_b64 v[4:5], 2, v[0:1]
	v_add_co_u32 v4, vcc_lo, s0, v4
	v_add_co_ci_u32_e64 v5, null, s1, v5, vcc_lo
	global_store_dwordx2 v[4:5], v[2:3], off
.LBB29_21:
	s_andn2_b32 vcc_lo, exec_lo, s3
	s_cbranch_vccnz .LBB29_23
; %bb.22:
	v_ashrrev_i32_e32 v1, 31, v0
	v_lshlrev_b64 v[0:1], 2, v[0:1]
	v_add_co_u32 v0, vcc_lo, s0, v0
	v_add_co_ci_u32_e64 v1, null, s1, v1, vcc_lo
	global_load_dwordx2 v[4:5], v[0:1], off
	s_waitcnt vmcnt(0)
	v_fmac_f32_e32 v2, s2, v4
	v_fmac_f32_e32 v3, s2, v5
	global_store_dwordx2 v[0:1], v[2:3], off
.LBB29_23:
	s_endpgm
	.section	.rodata,"a",@progbits
	.p2align	6, 0x0
	.amdhsa_kernel _ZN9rocsparseL19gebsrmvn_2xn_kernelILj128ELj7ELj64EfEEvi20rocsparse_direction_NS_24const_host_device_scalarIT2_EEPKiS6_PKS3_S8_S4_PS3_21rocsparse_index_base_b
		.amdhsa_group_segment_fixed_size 0
		.amdhsa_private_segment_fixed_size 0
		.amdhsa_kernarg_size 72
		.amdhsa_user_sgpr_count 6
		.amdhsa_user_sgpr_private_segment_buffer 1
		.amdhsa_user_sgpr_dispatch_ptr 0
		.amdhsa_user_sgpr_queue_ptr 0
		.amdhsa_user_sgpr_kernarg_segment_ptr 1
		.amdhsa_user_sgpr_dispatch_id 0
		.amdhsa_user_sgpr_flat_scratch_init 0
		.amdhsa_user_sgpr_private_segment_size 0
		.amdhsa_wavefront_size32 1
		.amdhsa_uses_dynamic_stack 0
		.amdhsa_system_sgpr_private_segment_wavefront_offset 0
		.amdhsa_system_sgpr_workgroup_id_x 1
		.amdhsa_system_sgpr_workgroup_id_y 0
		.amdhsa_system_sgpr_workgroup_id_z 0
		.amdhsa_system_sgpr_workgroup_info 0
		.amdhsa_system_vgpr_workitem_id 0
		.amdhsa_next_free_vgpr 36
		.amdhsa_next_free_sgpr 20
		.amdhsa_reserve_vcc 1
		.amdhsa_reserve_flat_scratch 0
		.amdhsa_float_round_mode_32 0
		.amdhsa_float_round_mode_16_64 0
		.amdhsa_float_denorm_mode_32 3
		.amdhsa_float_denorm_mode_16_64 3
		.amdhsa_dx10_clamp 1
		.amdhsa_ieee_mode 1
		.amdhsa_fp16_overflow 0
		.amdhsa_workgroup_processor_mode 1
		.amdhsa_memory_ordered 1
		.amdhsa_forward_progress 1
		.amdhsa_shared_vgpr_count 0
		.amdhsa_exception_fp_ieee_invalid_op 0
		.amdhsa_exception_fp_denorm_src 0
		.amdhsa_exception_fp_ieee_div_zero 0
		.amdhsa_exception_fp_ieee_overflow 0
		.amdhsa_exception_fp_ieee_underflow 0
		.amdhsa_exception_fp_ieee_inexact 0
		.amdhsa_exception_int_div_zero 0
	.end_amdhsa_kernel
	.section	.text._ZN9rocsparseL19gebsrmvn_2xn_kernelILj128ELj7ELj64EfEEvi20rocsparse_direction_NS_24const_host_device_scalarIT2_EEPKiS6_PKS3_S8_S4_PS3_21rocsparse_index_base_b,"axG",@progbits,_ZN9rocsparseL19gebsrmvn_2xn_kernelILj128ELj7ELj64EfEEvi20rocsparse_direction_NS_24const_host_device_scalarIT2_EEPKiS6_PKS3_S8_S4_PS3_21rocsparse_index_base_b,comdat
.Lfunc_end29:
	.size	_ZN9rocsparseL19gebsrmvn_2xn_kernelILj128ELj7ELj64EfEEvi20rocsparse_direction_NS_24const_host_device_scalarIT2_EEPKiS6_PKS3_S8_S4_PS3_21rocsparse_index_base_b, .Lfunc_end29-_ZN9rocsparseL19gebsrmvn_2xn_kernelILj128ELj7ELj64EfEEvi20rocsparse_direction_NS_24const_host_device_scalarIT2_EEPKiS6_PKS3_S8_S4_PS3_21rocsparse_index_base_b
                                        ; -- End function
	.set _ZN9rocsparseL19gebsrmvn_2xn_kernelILj128ELj7ELj64EfEEvi20rocsparse_direction_NS_24const_host_device_scalarIT2_EEPKiS6_PKS3_S8_S4_PS3_21rocsparse_index_base_b.num_vgpr, 36
	.set _ZN9rocsparseL19gebsrmvn_2xn_kernelILj128ELj7ELj64EfEEvi20rocsparse_direction_NS_24const_host_device_scalarIT2_EEPKiS6_PKS3_S8_S4_PS3_21rocsparse_index_base_b.num_agpr, 0
	.set _ZN9rocsparseL19gebsrmvn_2xn_kernelILj128ELj7ELj64EfEEvi20rocsparse_direction_NS_24const_host_device_scalarIT2_EEPKiS6_PKS3_S8_S4_PS3_21rocsparse_index_base_b.numbered_sgpr, 20
	.set _ZN9rocsparseL19gebsrmvn_2xn_kernelILj128ELj7ELj64EfEEvi20rocsparse_direction_NS_24const_host_device_scalarIT2_EEPKiS6_PKS3_S8_S4_PS3_21rocsparse_index_base_b.num_named_barrier, 0
	.set _ZN9rocsparseL19gebsrmvn_2xn_kernelILj128ELj7ELj64EfEEvi20rocsparse_direction_NS_24const_host_device_scalarIT2_EEPKiS6_PKS3_S8_S4_PS3_21rocsparse_index_base_b.private_seg_size, 0
	.set _ZN9rocsparseL19gebsrmvn_2xn_kernelILj128ELj7ELj64EfEEvi20rocsparse_direction_NS_24const_host_device_scalarIT2_EEPKiS6_PKS3_S8_S4_PS3_21rocsparse_index_base_b.uses_vcc, 1
	.set _ZN9rocsparseL19gebsrmvn_2xn_kernelILj128ELj7ELj64EfEEvi20rocsparse_direction_NS_24const_host_device_scalarIT2_EEPKiS6_PKS3_S8_S4_PS3_21rocsparse_index_base_b.uses_flat_scratch, 0
	.set _ZN9rocsparseL19gebsrmvn_2xn_kernelILj128ELj7ELj64EfEEvi20rocsparse_direction_NS_24const_host_device_scalarIT2_EEPKiS6_PKS3_S8_S4_PS3_21rocsparse_index_base_b.has_dyn_sized_stack, 0
	.set _ZN9rocsparseL19gebsrmvn_2xn_kernelILj128ELj7ELj64EfEEvi20rocsparse_direction_NS_24const_host_device_scalarIT2_EEPKiS6_PKS3_S8_S4_PS3_21rocsparse_index_base_b.has_recursion, 0
	.set _ZN9rocsparseL19gebsrmvn_2xn_kernelILj128ELj7ELj64EfEEvi20rocsparse_direction_NS_24const_host_device_scalarIT2_EEPKiS6_PKS3_S8_S4_PS3_21rocsparse_index_base_b.has_indirect_call, 0
	.section	.AMDGPU.csdata,"",@progbits
; Kernel info:
; codeLenInByte = 2392
; TotalNumSgprs: 22
; NumVgprs: 36
; ScratchSize: 0
; MemoryBound: 0
; FloatMode: 240
; IeeeMode: 1
; LDSByteSize: 0 bytes/workgroup (compile time only)
; SGPRBlocks: 0
; VGPRBlocks: 4
; NumSGPRsForWavesPerEU: 22
; NumVGPRsForWavesPerEU: 36
; Occupancy: 16
; WaveLimiterHint : 1
; COMPUTE_PGM_RSRC2:SCRATCH_EN: 0
; COMPUTE_PGM_RSRC2:USER_SGPR: 6
; COMPUTE_PGM_RSRC2:TRAP_HANDLER: 0
; COMPUTE_PGM_RSRC2:TGID_X_EN: 1
; COMPUTE_PGM_RSRC2:TGID_Y_EN: 0
; COMPUTE_PGM_RSRC2:TGID_Z_EN: 0
; COMPUTE_PGM_RSRC2:TIDIG_COMP_CNT: 0
	.section	.text._ZN9rocsparseL19gebsrmvn_2xn_kernelILj128ELj8ELj4EfEEvi20rocsparse_direction_NS_24const_host_device_scalarIT2_EEPKiS6_PKS3_S8_S4_PS3_21rocsparse_index_base_b,"axG",@progbits,_ZN9rocsparseL19gebsrmvn_2xn_kernelILj128ELj8ELj4EfEEvi20rocsparse_direction_NS_24const_host_device_scalarIT2_EEPKiS6_PKS3_S8_S4_PS3_21rocsparse_index_base_b,comdat
	.globl	_ZN9rocsparseL19gebsrmvn_2xn_kernelILj128ELj8ELj4EfEEvi20rocsparse_direction_NS_24const_host_device_scalarIT2_EEPKiS6_PKS3_S8_S4_PS3_21rocsparse_index_base_b ; -- Begin function _ZN9rocsparseL19gebsrmvn_2xn_kernelILj128ELj8ELj4EfEEvi20rocsparse_direction_NS_24const_host_device_scalarIT2_EEPKiS6_PKS3_S8_S4_PS3_21rocsparse_index_base_b
	.p2align	8
	.type	_ZN9rocsparseL19gebsrmvn_2xn_kernelILj128ELj8ELj4EfEEvi20rocsparse_direction_NS_24const_host_device_scalarIT2_EEPKiS6_PKS3_S8_S4_PS3_21rocsparse_index_base_b,@function
_ZN9rocsparseL19gebsrmvn_2xn_kernelILj128ELj8ELj4EfEEvi20rocsparse_direction_NS_24const_host_device_scalarIT2_EEPKiS6_PKS3_S8_S4_PS3_21rocsparse_index_base_b: ; @_ZN9rocsparseL19gebsrmvn_2xn_kernelILj128ELj8ELj4EfEEvi20rocsparse_direction_NS_24const_host_device_scalarIT2_EEPKiS6_PKS3_S8_S4_PS3_21rocsparse_index_base_b
; %bb.0:
	s_clause 0x2
	s_load_dwordx2 s[18:19], s[4:5], 0x40
	s_load_dwordx2 s[16:17], s[4:5], 0x8
	;; [unrolled: 1-line block ×3, first 2 shown]
	s_waitcnt lgkmcnt(0)
	s_bitcmp1_b32 s19, 0
	s_cselect_b32 s0, -1, 0
	s_and_b32 vcc_lo, exec_lo, s0
	s_xor_b32 s0, s0, -1
	s_cbranch_vccnz .LBB30_2
; %bb.1:
	s_load_dword s16, s[16:17], 0x0
.LBB30_2:
	s_andn2_b32 vcc_lo, exec_lo, s0
	s_cbranch_vccnz .LBB30_4
; %bb.3:
	s_load_dword s2, s[2:3], 0x0
.LBB30_4:
	s_waitcnt lgkmcnt(0)
	v_cmp_eq_f32_e64 s0, s16, 0
	v_cmp_eq_f32_e64 s1, s2, 1.0
	s_and_b32 s0, s0, s1
	s_and_b32 vcc_lo, exec_lo, s0
	s_cbranch_vccnz .LBB30_23
; %bb.5:
	s_load_dwordx2 s[0:1], s[4:5], 0x0
	v_lshrrev_b32_e32 v1, 2, v0
	v_lshl_or_b32 v1, s6, 5, v1
	s_waitcnt lgkmcnt(0)
	v_cmp_gt_i32_e32 vcc_lo, s0, v1
	s_and_saveexec_b32 s0, vcc_lo
	s_cbranch_execz .LBB30_23
; %bb.6:
	s_load_dwordx8 s[8:15], s[4:5], 0x10
	v_ashrrev_i32_e32 v2, 31, v1
	v_and_b32_e32 v0, 3, v0
	s_cmp_lg_u32 s1, 0
	v_lshlrev_b64 v[2:3], 2, v[1:2]
	s_waitcnt lgkmcnt(0)
	v_add_co_u32 v2, vcc_lo, s8, v2
	v_add_co_ci_u32_e64 v3, null, s9, v3, vcc_lo
	global_load_dwordx2 v[2:3], v[2:3], off
	s_waitcnt vmcnt(0)
	v_subrev_nc_u32_e32 v2, s18, v2
	v_subrev_nc_u32_e32 v9, s18, v3
	v_add_nc_u32_e32 v2, v2, v0
	v_cmp_lt_i32_e64 s0, v2, v9
	s_cbranch_scc0 .LBB30_12
; %bb.7:
	v_mov_b32_e32 v7, 0
	v_mov_b32_e32 v8, 0
	s_and_saveexec_b32 s1, s0
	s_cbranch_execz .LBB30_11
; %bb.8:
	v_mov_b32_e32 v4, 0
	v_lshlrev_b32_e32 v3, 4, v2
	v_mov_b32_e32 v5, v2
	s_mov_b32 s3, 0
	v_mov_b32_e32 v7, v4
	v_mov_b32_e32 v8, v4
.LBB30_9:                               ; =>This Inner Loop Header: Depth=1
	v_ashrrev_i32_e32 v6, 31, v5
	v_mov_b32_e32 v13, v4
	v_lshlrev_b64 v[10:11], 2, v[5:6]
	v_add_nc_u32_e32 v5, 4, v5
	v_add_co_u32 v10, vcc_lo, s10, v10
	v_add_co_ci_u32_e64 v11, null, s11, v11, vcc_lo
	global_load_dword v6, v[10:11], off
	v_lshlrev_b64 v[10:11], 2, v[3:4]
	v_add_nc_u32_e32 v3, 64, v3
	v_add_co_u32 v30, vcc_lo, s12, v10
	v_add_co_ci_u32_e64 v31, null, s13, v11, vcc_lo
	s_waitcnt vmcnt(0)
	v_subrev_nc_u32_e32 v6, s18, v6
	v_lshlrev_b32_e32 v12, 3, v6
	v_lshlrev_b64 v[12:13], 2, v[12:13]
	v_add_co_u32 v22, vcc_lo, s14, v12
	v_add_co_ci_u32_e64 v23, null, s15, v13, vcc_lo
	v_cmp_ge_i32_e32 vcc_lo, v5, v9
	s_clause 0x1
	global_load_dwordx4 v[10:13], v[30:31], off offset:16
	global_load_dwordx4 v[14:17], v[30:31], off
	s_clause 0x1
	global_load_dwordx4 v[18:21], v[22:23], off
	global_load_dwordx4 v[22:25], v[22:23], off offset:16
	s_clause 0x1
	global_load_dwordx4 v[26:29], v[30:31], off offset:32
	global_load_dwordx4 v[30:33], v[30:31], off offset:48
	s_or_b32 s3, vcc_lo, s3
	s_waitcnt vmcnt(3)
	v_fmac_f32_e32 v7, v14, v18
	v_fmac_f32_e32 v8, v15, v18
	;; [unrolled: 1-line block ×8, first 2 shown]
	s_waitcnt vmcnt(1)
	v_fmac_f32_e32 v7, v26, v22
	v_fmac_f32_e32 v8, v27, v22
	v_fmac_f32_e32 v7, v28, v23
	v_fmac_f32_e32 v8, v29, v23
	s_waitcnt vmcnt(0)
	v_fmac_f32_e32 v7, v30, v24
	v_fmac_f32_e32 v8, v31, v24
	;; [unrolled: 1-line block ×4, first 2 shown]
	s_andn2_b32 exec_lo, exec_lo, s3
	s_cbranch_execnz .LBB30_9
; %bb.10:
	s_or_b32 exec_lo, exec_lo, s3
.LBB30_11:
	s_or_b32 exec_lo, exec_lo, s1
	s_cbranch_execz .LBB30_13
	s_branch .LBB30_18
.LBB30_12:
                                        ; implicit-def: $vgpr7
                                        ; implicit-def: $vgpr8
.LBB30_13:
	v_mov_b32_e32 v7, 0
	v_mov_b32_e32 v8, 0
	s_and_saveexec_b32 s1, s0
	s_cbranch_execz .LBB30_17
; %bb.14:
	v_mov_b32_e32 v5, 0
	v_lshlrev_b32_e32 v4, 4, v2
	s_mov_b32 s0, 0
	v_mov_b32_e32 v7, v5
	v_mov_b32_e32 v8, v5
.LBB30_15:                              ; =>This Inner Loop Header: Depth=1
	v_ashrrev_i32_e32 v3, 31, v2
	v_mov_b32_e32 v13, v5
	v_lshlrev_b64 v[10:11], 2, v[2:3]
	v_add_nc_u32_e32 v2, 4, v2
	v_add_co_u32 v10, vcc_lo, s10, v10
	v_add_co_ci_u32_e64 v11, null, s11, v11, vcc_lo
	global_load_dword v3, v[10:11], off
	v_lshlrev_b64 v[10:11], 2, v[4:5]
	v_add_nc_u32_e32 v4, 64, v4
	v_add_co_u32 v22, vcc_lo, s12, v10
	v_add_co_ci_u32_e64 v23, null, s13, v11, vcc_lo
	s_waitcnt vmcnt(0)
	v_subrev_nc_u32_e32 v3, s18, v3
	v_lshlrev_b32_e32 v12, 3, v3
	v_lshlrev_b64 v[14:15], 2, v[12:13]
	global_load_dwordx4 v[10:13], v[22:23], off offset:48
	v_add_co_u32 v30, vcc_lo, s14, v14
	v_add_co_ci_u32_e64 v31, null, s15, v15, vcc_lo
	s_clause 0x2
	global_load_dwordx4 v[14:17], v[22:23], off offset:32
	global_load_dwordx4 v[18:21], v[22:23], off offset:16
	global_load_dwordx4 v[22:25], v[22:23], off
	s_clause 0x1
	global_load_dwordx4 v[26:29], v[30:31], off
	global_load_dwordx4 v[30:33], v[30:31], off offset:16
	v_cmp_ge_i32_e32 vcc_lo, v2, v9
	s_or_b32 s0, vcc_lo, s0
	s_waitcnt vmcnt(1)
	v_fmac_f32_e32 v7, v22, v26
	v_fmac_f32_e32 v8, v14, v26
	v_fmac_f32_e32 v7, v23, v27
	v_fmac_f32_e32 v8, v15, v27
	v_fmac_f32_e32 v7, v24, v28
	v_fmac_f32_e32 v8, v16, v28
	v_fmac_f32_e32 v7, v25, v29
	v_fmac_f32_e32 v8, v17, v29
	s_waitcnt vmcnt(0)
	v_fmac_f32_e32 v7, v18, v30
	v_fmac_f32_e32 v8, v10, v30
	;; [unrolled: 1-line block ×8, first 2 shown]
	s_andn2_b32 exec_lo, exec_lo, s0
	s_cbranch_execnz .LBB30_15
; %bb.16:
	s_or_b32 exec_lo, exec_lo, s0
.LBB30_17:
	s_or_b32 exec_lo, exec_lo, s1
.LBB30_18:
	v_mbcnt_lo_u32_b32 v2, -1, 0
	s_mov_b32 s3, -1
	v_xor_b32_e32 v3, 2, v2
	v_xor_b32_e32 v5, 1, v2
	v_cmp_gt_i32_e32 vcc_lo, 32, v3
	v_cndmask_b32_e32 v3, v2, v3, vcc_lo
	v_cmp_gt_i32_e32 vcc_lo, 32, v5
	v_lshlrev_b32_e32 v3, 2, v3
	v_cndmask_b32_e32 v2, v2, v5, vcc_lo
	v_cmp_eq_u32_e32 vcc_lo, 3, v0
	ds_bpermute_b32 v4, v3, v7
	ds_bpermute_b32 v3, v3, v8
	v_lshlrev_b32_e32 v5, 2, v2
	s_waitcnt lgkmcnt(1)
	v_add_f32_e32 v2, v7, v4
	s_waitcnt lgkmcnt(0)
	v_add_f32_e32 v3, v8, v3
	ds_bpermute_b32 v4, v5, v2
	ds_bpermute_b32 v5, v5, v3
	s_and_b32 exec_lo, exec_lo, vcc_lo
	s_cbranch_execz .LBB30_23
; %bb.19:
	s_load_dwordx2 s[0:1], s[4:5], 0x38
	s_waitcnt lgkmcnt(0)
	v_add_f32_e32 v0, v2, v4
	v_add_f32_e32 v3, v3, v5
	v_cmp_eq_f32_e64 s4, s2, 0
	v_mul_f32_e32 v2, s16, v0
	v_mul_f32_e32 v3, s16, v3
	v_lshlrev_b32_e32 v0, 1, v1
	s_and_b32 vcc_lo, exec_lo, s4
	s_cbranch_vccz .LBB30_21
; %bb.20:
	v_ashrrev_i32_e32 v1, 31, v0
	s_mov_b32 s3, 0
	v_lshlrev_b64 v[4:5], 2, v[0:1]
	v_add_co_u32 v4, vcc_lo, s0, v4
	v_add_co_ci_u32_e64 v5, null, s1, v5, vcc_lo
	global_store_dwordx2 v[4:5], v[2:3], off
.LBB30_21:
	s_andn2_b32 vcc_lo, exec_lo, s3
	s_cbranch_vccnz .LBB30_23
; %bb.22:
	v_ashrrev_i32_e32 v1, 31, v0
	v_lshlrev_b64 v[0:1], 2, v[0:1]
	v_add_co_u32 v0, vcc_lo, s0, v0
	v_add_co_ci_u32_e64 v1, null, s1, v1, vcc_lo
	global_load_dwordx2 v[4:5], v[0:1], off
	s_waitcnt vmcnt(0)
	v_fmac_f32_e32 v2, s2, v4
	v_fmac_f32_e32 v3, s2, v5
	global_store_dwordx2 v[0:1], v[2:3], off
.LBB30_23:
	s_endpgm
	.section	.rodata,"a",@progbits
	.p2align	6, 0x0
	.amdhsa_kernel _ZN9rocsparseL19gebsrmvn_2xn_kernelILj128ELj8ELj4EfEEvi20rocsparse_direction_NS_24const_host_device_scalarIT2_EEPKiS6_PKS3_S8_S4_PS3_21rocsparse_index_base_b
		.amdhsa_group_segment_fixed_size 0
		.amdhsa_private_segment_fixed_size 0
		.amdhsa_kernarg_size 72
		.amdhsa_user_sgpr_count 6
		.amdhsa_user_sgpr_private_segment_buffer 1
		.amdhsa_user_sgpr_dispatch_ptr 0
		.amdhsa_user_sgpr_queue_ptr 0
		.amdhsa_user_sgpr_kernarg_segment_ptr 1
		.amdhsa_user_sgpr_dispatch_id 0
		.amdhsa_user_sgpr_flat_scratch_init 0
		.amdhsa_user_sgpr_private_segment_size 0
		.amdhsa_wavefront_size32 1
		.amdhsa_uses_dynamic_stack 0
		.amdhsa_system_sgpr_private_segment_wavefront_offset 0
		.amdhsa_system_sgpr_workgroup_id_x 1
		.amdhsa_system_sgpr_workgroup_id_y 0
		.amdhsa_system_sgpr_workgroup_id_z 0
		.amdhsa_system_sgpr_workgroup_info 0
		.amdhsa_system_vgpr_workitem_id 0
		.amdhsa_next_free_vgpr 34
		.amdhsa_next_free_sgpr 20
		.amdhsa_reserve_vcc 1
		.amdhsa_reserve_flat_scratch 0
		.amdhsa_float_round_mode_32 0
		.amdhsa_float_round_mode_16_64 0
		.amdhsa_float_denorm_mode_32 3
		.amdhsa_float_denorm_mode_16_64 3
		.amdhsa_dx10_clamp 1
		.amdhsa_ieee_mode 1
		.amdhsa_fp16_overflow 0
		.amdhsa_workgroup_processor_mode 1
		.amdhsa_memory_ordered 1
		.amdhsa_forward_progress 1
		.amdhsa_shared_vgpr_count 0
		.amdhsa_exception_fp_ieee_invalid_op 0
		.amdhsa_exception_fp_denorm_src 0
		.amdhsa_exception_fp_ieee_div_zero 0
		.amdhsa_exception_fp_ieee_overflow 0
		.amdhsa_exception_fp_ieee_underflow 0
		.amdhsa_exception_fp_ieee_inexact 0
		.amdhsa_exception_int_div_zero 0
	.end_amdhsa_kernel
	.section	.text._ZN9rocsparseL19gebsrmvn_2xn_kernelILj128ELj8ELj4EfEEvi20rocsparse_direction_NS_24const_host_device_scalarIT2_EEPKiS6_PKS3_S8_S4_PS3_21rocsparse_index_base_b,"axG",@progbits,_ZN9rocsparseL19gebsrmvn_2xn_kernelILj128ELj8ELj4EfEEvi20rocsparse_direction_NS_24const_host_device_scalarIT2_EEPKiS6_PKS3_S8_S4_PS3_21rocsparse_index_base_b,comdat
.Lfunc_end30:
	.size	_ZN9rocsparseL19gebsrmvn_2xn_kernelILj128ELj8ELj4EfEEvi20rocsparse_direction_NS_24const_host_device_scalarIT2_EEPKiS6_PKS3_S8_S4_PS3_21rocsparse_index_base_b, .Lfunc_end30-_ZN9rocsparseL19gebsrmvn_2xn_kernelILj128ELj8ELj4EfEEvi20rocsparse_direction_NS_24const_host_device_scalarIT2_EEPKiS6_PKS3_S8_S4_PS3_21rocsparse_index_base_b
                                        ; -- End function
	.set _ZN9rocsparseL19gebsrmvn_2xn_kernelILj128ELj8ELj4EfEEvi20rocsparse_direction_NS_24const_host_device_scalarIT2_EEPKiS6_PKS3_S8_S4_PS3_21rocsparse_index_base_b.num_vgpr, 34
	.set _ZN9rocsparseL19gebsrmvn_2xn_kernelILj128ELj8ELj4EfEEvi20rocsparse_direction_NS_24const_host_device_scalarIT2_EEPKiS6_PKS3_S8_S4_PS3_21rocsparse_index_base_b.num_agpr, 0
	.set _ZN9rocsparseL19gebsrmvn_2xn_kernelILj128ELj8ELj4EfEEvi20rocsparse_direction_NS_24const_host_device_scalarIT2_EEPKiS6_PKS3_S8_S4_PS3_21rocsparse_index_base_b.numbered_sgpr, 20
	.set _ZN9rocsparseL19gebsrmvn_2xn_kernelILj128ELj8ELj4EfEEvi20rocsparse_direction_NS_24const_host_device_scalarIT2_EEPKiS6_PKS3_S8_S4_PS3_21rocsparse_index_base_b.num_named_barrier, 0
	.set _ZN9rocsparseL19gebsrmvn_2xn_kernelILj128ELj8ELj4EfEEvi20rocsparse_direction_NS_24const_host_device_scalarIT2_EEPKiS6_PKS3_S8_S4_PS3_21rocsparse_index_base_b.private_seg_size, 0
	.set _ZN9rocsparseL19gebsrmvn_2xn_kernelILj128ELj8ELj4EfEEvi20rocsparse_direction_NS_24const_host_device_scalarIT2_EEPKiS6_PKS3_S8_S4_PS3_21rocsparse_index_base_b.uses_vcc, 1
	.set _ZN9rocsparseL19gebsrmvn_2xn_kernelILj128ELj8ELj4EfEEvi20rocsparse_direction_NS_24const_host_device_scalarIT2_EEPKiS6_PKS3_S8_S4_PS3_21rocsparse_index_base_b.uses_flat_scratch, 0
	.set _ZN9rocsparseL19gebsrmvn_2xn_kernelILj128ELj8ELj4EfEEvi20rocsparse_direction_NS_24const_host_device_scalarIT2_EEPKiS6_PKS3_S8_S4_PS3_21rocsparse_index_base_b.has_dyn_sized_stack, 0
	.set _ZN9rocsparseL19gebsrmvn_2xn_kernelILj128ELj8ELj4EfEEvi20rocsparse_direction_NS_24const_host_device_scalarIT2_EEPKiS6_PKS3_S8_S4_PS3_21rocsparse_index_base_b.has_recursion, 0
	.set _ZN9rocsparseL19gebsrmvn_2xn_kernelILj128ELj8ELj4EfEEvi20rocsparse_direction_NS_24const_host_device_scalarIT2_EEPKiS6_PKS3_S8_S4_PS3_21rocsparse_index_base_b.has_indirect_call, 0
	.section	.AMDGPU.csdata,"",@progbits
; Kernel info:
; codeLenInByte = 1100
; TotalNumSgprs: 22
; NumVgprs: 34
; ScratchSize: 0
; MemoryBound: 0
; FloatMode: 240
; IeeeMode: 1
; LDSByteSize: 0 bytes/workgroup (compile time only)
; SGPRBlocks: 0
; VGPRBlocks: 4
; NumSGPRsForWavesPerEU: 22
; NumVGPRsForWavesPerEU: 34
; Occupancy: 16
; WaveLimiterHint : 1
; COMPUTE_PGM_RSRC2:SCRATCH_EN: 0
; COMPUTE_PGM_RSRC2:USER_SGPR: 6
; COMPUTE_PGM_RSRC2:TRAP_HANDLER: 0
; COMPUTE_PGM_RSRC2:TGID_X_EN: 1
; COMPUTE_PGM_RSRC2:TGID_Y_EN: 0
; COMPUTE_PGM_RSRC2:TGID_Z_EN: 0
; COMPUTE_PGM_RSRC2:TIDIG_COMP_CNT: 0
	.section	.text._ZN9rocsparseL19gebsrmvn_2xn_kernelILj128ELj8ELj8EfEEvi20rocsparse_direction_NS_24const_host_device_scalarIT2_EEPKiS6_PKS3_S8_S4_PS3_21rocsparse_index_base_b,"axG",@progbits,_ZN9rocsparseL19gebsrmvn_2xn_kernelILj128ELj8ELj8EfEEvi20rocsparse_direction_NS_24const_host_device_scalarIT2_EEPKiS6_PKS3_S8_S4_PS3_21rocsparse_index_base_b,comdat
	.globl	_ZN9rocsparseL19gebsrmvn_2xn_kernelILj128ELj8ELj8EfEEvi20rocsparse_direction_NS_24const_host_device_scalarIT2_EEPKiS6_PKS3_S8_S4_PS3_21rocsparse_index_base_b ; -- Begin function _ZN9rocsparseL19gebsrmvn_2xn_kernelILj128ELj8ELj8EfEEvi20rocsparse_direction_NS_24const_host_device_scalarIT2_EEPKiS6_PKS3_S8_S4_PS3_21rocsparse_index_base_b
	.p2align	8
	.type	_ZN9rocsparseL19gebsrmvn_2xn_kernelILj128ELj8ELj8EfEEvi20rocsparse_direction_NS_24const_host_device_scalarIT2_EEPKiS6_PKS3_S8_S4_PS3_21rocsparse_index_base_b,@function
_ZN9rocsparseL19gebsrmvn_2xn_kernelILj128ELj8ELj8EfEEvi20rocsparse_direction_NS_24const_host_device_scalarIT2_EEPKiS6_PKS3_S8_S4_PS3_21rocsparse_index_base_b: ; @_ZN9rocsparseL19gebsrmvn_2xn_kernelILj128ELj8ELj8EfEEvi20rocsparse_direction_NS_24const_host_device_scalarIT2_EEPKiS6_PKS3_S8_S4_PS3_21rocsparse_index_base_b
; %bb.0:
	s_clause 0x2
	s_load_dwordx2 s[18:19], s[4:5], 0x40
	s_load_dwordx2 s[16:17], s[4:5], 0x8
	;; [unrolled: 1-line block ×3, first 2 shown]
	s_waitcnt lgkmcnt(0)
	s_bitcmp1_b32 s19, 0
	s_cselect_b32 s0, -1, 0
	s_and_b32 vcc_lo, exec_lo, s0
	s_xor_b32 s0, s0, -1
	s_cbranch_vccnz .LBB31_2
; %bb.1:
	s_load_dword s16, s[16:17], 0x0
.LBB31_2:
	s_andn2_b32 vcc_lo, exec_lo, s0
	s_cbranch_vccnz .LBB31_4
; %bb.3:
	s_load_dword s2, s[2:3], 0x0
.LBB31_4:
	s_waitcnt lgkmcnt(0)
	v_cmp_eq_f32_e64 s0, s16, 0
	v_cmp_eq_f32_e64 s1, s2, 1.0
	s_and_b32 s0, s0, s1
	s_and_b32 vcc_lo, exec_lo, s0
	s_cbranch_vccnz .LBB31_23
; %bb.5:
	s_load_dwordx2 s[0:1], s[4:5], 0x0
	v_lshrrev_b32_e32 v1, 3, v0
	v_lshl_or_b32 v1, s6, 4, v1
	s_waitcnt lgkmcnt(0)
	v_cmp_gt_i32_e32 vcc_lo, s0, v1
	s_and_saveexec_b32 s0, vcc_lo
	s_cbranch_execz .LBB31_23
; %bb.6:
	s_load_dwordx8 s[8:15], s[4:5], 0x10
	v_ashrrev_i32_e32 v2, 31, v1
	v_and_b32_e32 v0, 7, v0
	s_cmp_lg_u32 s1, 0
	v_lshlrev_b64 v[2:3], 2, v[1:2]
	s_waitcnt lgkmcnt(0)
	v_add_co_u32 v2, vcc_lo, s8, v2
	v_add_co_ci_u32_e64 v3, null, s9, v3, vcc_lo
	global_load_dwordx2 v[2:3], v[2:3], off
	s_waitcnt vmcnt(0)
	v_subrev_nc_u32_e32 v2, s18, v2
	v_subrev_nc_u32_e32 v9, s18, v3
	v_add_nc_u32_e32 v2, v2, v0
	v_cmp_lt_i32_e64 s0, v2, v9
	s_cbranch_scc0 .LBB31_12
; %bb.7:
	v_mov_b32_e32 v7, 0
	v_mov_b32_e32 v8, 0
	s_and_saveexec_b32 s1, s0
	s_cbranch_execz .LBB31_11
; %bb.8:
	v_mov_b32_e32 v4, 0
	v_lshlrev_b32_e32 v3, 4, v2
	v_mov_b32_e32 v5, v2
	s_mov_b32 s3, 0
	v_mov_b32_e32 v7, v4
	v_mov_b32_e32 v8, v4
.LBB31_9:                               ; =>This Inner Loop Header: Depth=1
	v_ashrrev_i32_e32 v6, 31, v5
	v_mov_b32_e32 v13, v4
	v_lshlrev_b64 v[10:11], 2, v[5:6]
	v_add_nc_u32_e32 v5, 8, v5
	v_add_co_u32 v10, vcc_lo, s10, v10
	v_add_co_ci_u32_e64 v11, null, s11, v11, vcc_lo
	global_load_dword v6, v[10:11], off
	v_lshlrev_b64 v[10:11], 2, v[3:4]
	v_add_nc_u32_e32 v3, 0x80, v3
	v_add_co_u32 v30, vcc_lo, s12, v10
	v_add_co_ci_u32_e64 v31, null, s13, v11, vcc_lo
	s_waitcnt vmcnt(0)
	v_subrev_nc_u32_e32 v6, s18, v6
	v_lshlrev_b32_e32 v12, 3, v6
	v_lshlrev_b64 v[12:13], 2, v[12:13]
	v_add_co_u32 v22, vcc_lo, s14, v12
	v_add_co_ci_u32_e64 v23, null, s15, v13, vcc_lo
	v_cmp_ge_i32_e32 vcc_lo, v5, v9
	s_clause 0x1
	global_load_dwordx4 v[10:13], v[30:31], off offset:16
	global_load_dwordx4 v[14:17], v[30:31], off
	s_clause 0x1
	global_load_dwordx4 v[18:21], v[22:23], off
	global_load_dwordx4 v[22:25], v[22:23], off offset:16
	s_clause 0x1
	global_load_dwordx4 v[26:29], v[30:31], off offset:32
	global_load_dwordx4 v[30:33], v[30:31], off offset:48
	s_or_b32 s3, vcc_lo, s3
	s_waitcnt vmcnt(3)
	v_fmac_f32_e32 v7, v14, v18
	v_fmac_f32_e32 v8, v15, v18
	;; [unrolled: 1-line block ×8, first 2 shown]
	s_waitcnt vmcnt(1)
	v_fmac_f32_e32 v7, v26, v22
	v_fmac_f32_e32 v8, v27, v22
	;; [unrolled: 1-line block ×4, first 2 shown]
	s_waitcnt vmcnt(0)
	v_fmac_f32_e32 v7, v30, v24
	v_fmac_f32_e32 v8, v31, v24
	;; [unrolled: 1-line block ×4, first 2 shown]
	s_andn2_b32 exec_lo, exec_lo, s3
	s_cbranch_execnz .LBB31_9
; %bb.10:
	s_or_b32 exec_lo, exec_lo, s3
.LBB31_11:
	s_or_b32 exec_lo, exec_lo, s1
	s_cbranch_execz .LBB31_13
	s_branch .LBB31_18
.LBB31_12:
                                        ; implicit-def: $vgpr7
                                        ; implicit-def: $vgpr8
.LBB31_13:
	v_mov_b32_e32 v7, 0
	v_mov_b32_e32 v8, 0
	s_and_saveexec_b32 s1, s0
	s_cbranch_execz .LBB31_17
; %bb.14:
	v_mov_b32_e32 v5, 0
	v_lshlrev_b32_e32 v4, 4, v2
	s_mov_b32 s0, 0
	v_mov_b32_e32 v7, v5
	v_mov_b32_e32 v8, v5
.LBB31_15:                              ; =>This Inner Loop Header: Depth=1
	v_ashrrev_i32_e32 v3, 31, v2
	v_mov_b32_e32 v13, v5
	v_lshlrev_b64 v[10:11], 2, v[2:3]
	v_add_nc_u32_e32 v2, 8, v2
	v_add_co_u32 v10, vcc_lo, s10, v10
	v_add_co_ci_u32_e64 v11, null, s11, v11, vcc_lo
	global_load_dword v3, v[10:11], off
	v_lshlrev_b64 v[10:11], 2, v[4:5]
	v_add_nc_u32_e32 v4, 0x80, v4
	v_add_co_u32 v22, vcc_lo, s12, v10
	v_add_co_ci_u32_e64 v23, null, s13, v11, vcc_lo
	s_waitcnt vmcnt(0)
	v_subrev_nc_u32_e32 v3, s18, v3
	v_lshlrev_b32_e32 v12, 3, v3
	v_lshlrev_b64 v[14:15], 2, v[12:13]
	global_load_dwordx4 v[10:13], v[22:23], off offset:48
	v_add_co_u32 v30, vcc_lo, s14, v14
	v_add_co_ci_u32_e64 v31, null, s15, v15, vcc_lo
	s_clause 0x2
	global_load_dwordx4 v[14:17], v[22:23], off offset:32
	global_load_dwordx4 v[18:21], v[22:23], off offset:16
	global_load_dwordx4 v[22:25], v[22:23], off
	s_clause 0x1
	global_load_dwordx4 v[26:29], v[30:31], off
	global_load_dwordx4 v[30:33], v[30:31], off offset:16
	v_cmp_ge_i32_e32 vcc_lo, v2, v9
	s_or_b32 s0, vcc_lo, s0
	s_waitcnt vmcnt(1)
	v_fmac_f32_e32 v7, v22, v26
	v_fmac_f32_e32 v8, v14, v26
	;; [unrolled: 1-line block ×8, first 2 shown]
	s_waitcnt vmcnt(0)
	v_fmac_f32_e32 v7, v18, v30
	v_fmac_f32_e32 v8, v10, v30
	;; [unrolled: 1-line block ×8, first 2 shown]
	s_andn2_b32 exec_lo, exec_lo, s0
	s_cbranch_execnz .LBB31_15
; %bb.16:
	s_or_b32 exec_lo, exec_lo, s0
.LBB31_17:
	s_or_b32 exec_lo, exec_lo, s1
.LBB31_18:
	v_mbcnt_lo_u32_b32 v2, -1, 0
	s_mov_b32 s3, -1
	v_xor_b32_e32 v3, 4, v2
	v_xor_b32_e32 v5, 2, v2
	v_cmp_gt_i32_e32 vcc_lo, 32, v3
	v_cndmask_b32_e32 v3, v2, v3, vcc_lo
	v_cmp_gt_i32_e32 vcc_lo, 32, v5
	v_lshlrev_b32_e32 v3, 2, v3
	v_cndmask_b32_e32 v5, v2, v5, vcc_lo
	ds_bpermute_b32 v4, v3, v7
	ds_bpermute_b32 v3, v3, v8
	v_lshlrev_b32_e32 v5, 2, v5
	s_waitcnt lgkmcnt(1)
	v_add_f32_e32 v4, v7, v4
	s_waitcnt lgkmcnt(0)
	v_add_f32_e32 v3, v8, v3
	v_xor_b32_e32 v7, 1, v2
	ds_bpermute_b32 v6, v5, v4
	ds_bpermute_b32 v5, v5, v3
	v_cmp_gt_i32_e32 vcc_lo, 32, v7
	v_cndmask_b32_e32 v2, v2, v7, vcc_lo
	v_cmp_eq_u32_e32 vcc_lo, 7, v0
	v_lshlrev_b32_e32 v7, 2, v2
	s_waitcnt lgkmcnt(1)
	v_add_f32_e32 v2, v4, v6
	s_waitcnt lgkmcnt(0)
	v_add_f32_e32 v3, v3, v5
	ds_bpermute_b32 v4, v7, v2
	ds_bpermute_b32 v5, v7, v3
	s_and_b32 exec_lo, exec_lo, vcc_lo
	s_cbranch_execz .LBB31_23
; %bb.19:
	s_load_dwordx2 s[0:1], s[4:5], 0x38
	s_waitcnt lgkmcnt(0)
	v_add_f32_e32 v0, v2, v4
	v_add_f32_e32 v3, v3, v5
	v_cmp_eq_f32_e64 s4, s2, 0
	v_mul_f32_e32 v2, s16, v0
	v_mul_f32_e32 v3, s16, v3
	v_lshlrev_b32_e32 v0, 1, v1
	s_and_b32 vcc_lo, exec_lo, s4
	s_cbranch_vccz .LBB31_21
; %bb.20:
	v_ashrrev_i32_e32 v1, 31, v0
	s_mov_b32 s3, 0
	v_lshlrev_b64 v[4:5], 2, v[0:1]
	v_add_co_u32 v4, vcc_lo, s0, v4
	v_add_co_ci_u32_e64 v5, null, s1, v5, vcc_lo
	global_store_dwordx2 v[4:5], v[2:3], off
.LBB31_21:
	s_andn2_b32 vcc_lo, exec_lo, s3
	s_cbranch_vccnz .LBB31_23
; %bb.22:
	v_ashrrev_i32_e32 v1, 31, v0
	v_lshlrev_b64 v[0:1], 2, v[0:1]
	v_add_co_u32 v0, vcc_lo, s0, v0
	v_add_co_ci_u32_e64 v1, null, s1, v1, vcc_lo
	global_load_dwordx2 v[4:5], v[0:1], off
	s_waitcnt vmcnt(0)
	v_fmac_f32_e32 v2, s2, v4
	v_fmac_f32_e32 v3, s2, v5
	global_store_dwordx2 v[0:1], v[2:3], off
.LBB31_23:
	s_endpgm
	.section	.rodata,"a",@progbits
	.p2align	6, 0x0
	.amdhsa_kernel _ZN9rocsparseL19gebsrmvn_2xn_kernelILj128ELj8ELj8EfEEvi20rocsparse_direction_NS_24const_host_device_scalarIT2_EEPKiS6_PKS3_S8_S4_PS3_21rocsparse_index_base_b
		.amdhsa_group_segment_fixed_size 0
		.amdhsa_private_segment_fixed_size 0
		.amdhsa_kernarg_size 72
		.amdhsa_user_sgpr_count 6
		.amdhsa_user_sgpr_private_segment_buffer 1
		.amdhsa_user_sgpr_dispatch_ptr 0
		.amdhsa_user_sgpr_queue_ptr 0
		.amdhsa_user_sgpr_kernarg_segment_ptr 1
		.amdhsa_user_sgpr_dispatch_id 0
		.amdhsa_user_sgpr_flat_scratch_init 0
		.amdhsa_user_sgpr_private_segment_size 0
		.amdhsa_wavefront_size32 1
		.amdhsa_uses_dynamic_stack 0
		.amdhsa_system_sgpr_private_segment_wavefront_offset 0
		.amdhsa_system_sgpr_workgroup_id_x 1
		.amdhsa_system_sgpr_workgroup_id_y 0
		.amdhsa_system_sgpr_workgroup_id_z 0
		.amdhsa_system_sgpr_workgroup_info 0
		.amdhsa_system_vgpr_workitem_id 0
		.amdhsa_next_free_vgpr 34
		.amdhsa_next_free_sgpr 20
		.amdhsa_reserve_vcc 1
		.amdhsa_reserve_flat_scratch 0
		.amdhsa_float_round_mode_32 0
		.amdhsa_float_round_mode_16_64 0
		.amdhsa_float_denorm_mode_32 3
		.amdhsa_float_denorm_mode_16_64 3
		.amdhsa_dx10_clamp 1
		.amdhsa_ieee_mode 1
		.amdhsa_fp16_overflow 0
		.amdhsa_workgroup_processor_mode 1
		.amdhsa_memory_ordered 1
		.amdhsa_forward_progress 1
		.amdhsa_shared_vgpr_count 0
		.amdhsa_exception_fp_ieee_invalid_op 0
		.amdhsa_exception_fp_denorm_src 0
		.amdhsa_exception_fp_ieee_div_zero 0
		.amdhsa_exception_fp_ieee_overflow 0
		.amdhsa_exception_fp_ieee_underflow 0
		.amdhsa_exception_fp_ieee_inexact 0
		.amdhsa_exception_int_div_zero 0
	.end_amdhsa_kernel
	.section	.text._ZN9rocsparseL19gebsrmvn_2xn_kernelILj128ELj8ELj8EfEEvi20rocsparse_direction_NS_24const_host_device_scalarIT2_EEPKiS6_PKS3_S8_S4_PS3_21rocsparse_index_base_b,"axG",@progbits,_ZN9rocsparseL19gebsrmvn_2xn_kernelILj128ELj8ELj8EfEEvi20rocsparse_direction_NS_24const_host_device_scalarIT2_EEPKiS6_PKS3_S8_S4_PS3_21rocsparse_index_base_b,comdat
.Lfunc_end31:
	.size	_ZN9rocsparseL19gebsrmvn_2xn_kernelILj128ELj8ELj8EfEEvi20rocsparse_direction_NS_24const_host_device_scalarIT2_EEPKiS6_PKS3_S8_S4_PS3_21rocsparse_index_base_b, .Lfunc_end31-_ZN9rocsparseL19gebsrmvn_2xn_kernelILj128ELj8ELj8EfEEvi20rocsparse_direction_NS_24const_host_device_scalarIT2_EEPKiS6_PKS3_S8_S4_PS3_21rocsparse_index_base_b
                                        ; -- End function
	.set _ZN9rocsparseL19gebsrmvn_2xn_kernelILj128ELj8ELj8EfEEvi20rocsparse_direction_NS_24const_host_device_scalarIT2_EEPKiS6_PKS3_S8_S4_PS3_21rocsparse_index_base_b.num_vgpr, 34
	.set _ZN9rocsparseL19gebsrmvn_2xn_kernelILj128ELj8ELj8EfEEvi20rocsparse_direction_NS_24const_host_device_scalarIT2_EEPKiS6_PKS3_S8_S4_PS3_21rocsparse_index_base_b.num_agpr, 0
	.set _ZN9rocsparseL19gebsrmvn_2xn_kernelILj128ELj8ELj8EfEEvi20rocsparse_direction_NS_24const_host_device_scalarIT2_EEPKiS6_PKS3_S8_S4_PS3_21rocsparse_index_base_b.numbered_sgpr, 20
	.set _ZN9rocsparseL19gebsrmvn_2xn_kernelILj128ELj8ELj8EfEEvi20rocsparse_direction_NS_24const_host_device_scalarIT2_EEPKiS6_PKS3_S8_S4_PS3_21rocsparse_index_base_b.num_named_barrier, 0
	.set _ZN9rocsparseL19gebsrmvn_2xn_kernelILj128ELj8ELj8EfEEvi20rocsparse_direction_NS_24const_host_device_scalarIT2_EEPKiS6_PKS3_S8_S4_PS3_21rocsparse_index_base_b.private_seg_size, 0
	.set _ZN9rocsparseL19gebsrmvn_2xn_kernelILj128ELj8ELj8EfEEvi20rocsparse_direction_NS_24const_host_device_scalarIT2_EEPKiS6_PKS3_S8_S4_PS3_21rocsparse_index_base_b.uses_vcc, 1
	.set _ZN9rocsparseL19gebsrmvn_2xn_kernelILj128ELj8ELj8EfEEvi20rocsparse_direction_NS_24const_host_device_scalarIT2_EEPKiS6_PKS3_S8_S4_PS3_21rocsparse_index_base_b.uses_flat_scratch, 0
	.set _ZN9rocsparseL19gebsrmvn_2xn_kernelILj128ELj8ELj8EfEEvi20rocsparse_direction_NS_24const_host_device_scalarIT2_EEPKiS6_PKS3_S8_S4_PS3_21rocsparse_index_base_b.has_dyn_sized_stack, 0
	.set _ZN9rocsparseL19gebsrmvn_2xn_kernelILj128ELj8ELj8EfEEvi20rocsparse_direction_NS_24const_host_device_scalarIT2_EEPKiS6_PKS3_S8_S4_PS3_21rocsparse_index_base_b.has_recursion, 0
	.set _ZN9rocsparseL19gebsrmvn_2xn_kernelILj128ELj8ELj8EfEEvi20rocsparse_direction_NS_24const_host_device_scalarIT2_EEPKiS6_PKS3_S8_S4_PS3_21rocsparse_index_base_b.has_indirect_call, 0
	.section	.AMDGPU.csdata,"",@progbits
; Kernel info:
; codeLenInByte = 1156
; TotalNumSgprs: 22
; NumVgprs: 34
; ScratchSize: 0
; MemoryBound: 0
; FloatMode: 240
; IeeeMode: 1
; LDSByteSize: 0 bytes/workgroup (compile time only)
; SGPRBlocks: 0
; VGPRBlocks: 4
; NumSGPRsForWavesPerEU: 22
; NumVGPRsForWavesPerEU: 34
; Occupancy: 16
; WaveLimiterHint : 1
; COMPUTE_PGM_RSRC2:SCRATCH_EN: 0
; COMPUTE_PGM_RSRC2:USER_SGPR: 6
; COMPUTE_PGM_RSRC2:TRAP_HANDLER: 0
; COMPUTE_PGM_RSRC2:TGID_X_EN: 1
; COMPUTE_PGM_RSRC2:TGID_Y_EN: 0
; COMPUTE_PGM_RSRC2:TGID_Z_EN: 0
; COMPUTE_PGM_RSRC2:TIDIG_COMP_CNT: 0
	.section	.text._ZN9rocsparseL19gebsrmvn_2xn_kernelILj128ELj8ELj16EfEEvi20rocsparse_direction_NS_24const_host_device_scalarIT2_EEPKiS6_PKS3_S8_S4_PS3_21rocsparse_index_base_b,"axG",@progbits,_ZN9rocsparseL19gebsrmvn_2xn_kernelILj128ELj8ELj16EfEEvi20rocsparse_direction_NS_24const_host_device_scalarIT2_EEPKiS6_PKS3_S8_S4_PS3_21rocsparse_index_base_b,comdat
	.globl	_ZN9rocsparseL19gebsrmvn_2xn_kernelILj128ELj8ELj16EfEEvi20rocsparse_direction_NS_24const_host_device_scalarIT2_EEPKiS6_PKS3_S8_S4_PS3_21rocsparse_index_base_b ; -- Begin function _ZN9rocsparseL19gebsrmvn_2xn_kernelILj128ELj8ELj16EfEEvi20rocsparse_direction_NS_24const_host_device_scalarIT2_EEPKiS6_PKS3_S8_S4_PS3_21rocsparse_index_base_b
	.p2align	8
	.type	_ZN9rocsparseL19gebsrmvn_2xn_kernelILj128ELj8ELj16EfEEvi20rocsparse_direction_NS_24const_host_device_scalarIT2_EEPKiS6_PKS3_S8_S4_PS3_21rocsparse_index_base_b,@function
_ZN9rocsparseL19gebsrmvn_2xn_kernelILj128ELj8ELj16EfEEvi20rocsparse_direction_NS_24const_host_device_scalarIT2_EEPKiS6_PKS3_S8_S4_PS3_21rocsparse_index_base_b: ; @_ZN9rocsparseL19gebsrmvn_2xn_kernelILj128ELj8ELj16EfEEvi20rocsparse_direction_NS_24const_host_device_scalarIT2_EEPKiS6_PKS3_S8_S4_PS3_21rocsparse_index_base_b
; %bb.0:
	s_clause 0x2
	s_load_dwordx2 s[18:19], s[4:5], 0x40
	s_load_dwordx2 s[16:17], s[4:5], 0x8
	;; [unrolled: 1-line block ×3, first 2 shown]
	s_waitcnt lgkmcnt(0)
	s_bitcmp1_b32 s19, 0
	s_cselect_b32 s0, -1, 0
	s_and_b32 vcc_lo, exec_lo, s0
	s_xor_b32 s0, s0, -1
	s_cbranch_vccnz .LBB32_2
; %bb.1:
	s_load_dword s16, s[16:17], 0x0
.LBB32_2:
	s_andn2_b32 vcc_lo, exec_lo, s0
	s_cbranch_vccnz .LBB32_4
; %bb.3:
	s_load_dword s2, s[2:3], 0x0
.LBB32_4:
	s_waitcnt lgkmcnt(0)
	v_cmp_eq_f32_e64 s0, s16, 0
	v_cmp_eq_f32_e64 s1, s2, 1.0
	s_and_b32 s0, s0, s1
	s_and_b32 vcc_lo, exec_lo, s0
	s_cbranch_vccnz .LBB32_23
; %bb.5:
	s_load_dwordx2 s[0:1], s[4:5], 0x0
	v_lshrrev_b32_e32 v1, 4, v0
	v_lshl_or_b32 v1, s6, 3, v1
	s_waitcnt lgkmcnt(0)
	v_cmp_gt_i32_e32 vcc_lo, s0, v1
	s_and_saveexec_b32 s0, vcc_lo
	s_cbranch_execz .LBB32_23
; %bb.6:
	s_load_dwordx8 s[8:15], s[4:5], 0x10
	v_ashrrev_i32_e32 v2, 31, v1
	v_and_b32_e32 v0, 15, v0
	s_cmp_lg_u32 s1, 0
	v_lshlrev_b64 v[2:3], 2, v[1:2]
	s_waitcnt lgkmcnt(0)
	v_add_co_u32 v2, vcc_lo, s8, v2
	v_add_co_ci_u32_e64 v3, null, s9, v3, vcc_lo
	global_load_dwordx2 v[2:3], v[2:3], off
	s_waitcnt vmcnt(0)
	v_subrev_nc_u32_e32 v2, s18, v2
	v_subrev_nc_u32_e32 v9, s18, v3
	v_add_nc_u32_e32 v2, v2, v0
	v_cmp_lt_i32_e64 s0, v2, v9
	s_cbranch_scc0 .LBB32_12
; %bb.7:
	v_mov_b32_e32 v7, 0
	v_mov_b32_e32 v8, 0
	s_and_saveexec_b32 s1, s0
	s_cbranch_execz .LBB32_11
; %bb.8:
	v_mov_b32_e32 v4, 0
	v_lshlrev_b32_e32 v3, 4, v2
	v_mov_b32_e32 v5, v2
	s_mov_b32 s3, 0
	v_mov_b32_e32 v7, v4
	v_mov_b32_e32 v8, v4
.LBB32_9:                               ; =>This Inner Loop Header: Depth=1
	v_ashrrev_i32_e32 v6, 31, v5
	v_mov_b32_e32 v13, v4
	v_lshlrev_b64 v[10:11], 2, v[5:6]
	v_add_nc_u32_e32 v5, 16, v5
	v_add_co_u32 v10, vcc_lo, s10, v10
	v_add_co_ci_u32_e64 v11, null, s11, v11, vcc_lo
	global_load_dword v6, v[10:11], off
	v_lshlrev_b64 v[10:11], 2, v[3:4]
	v_add_nc_u32_e32 v3, 0x100, v3
	v_add_co_u32 v30, vcc_lo, s12, v10
	v_add_co_ci_u32_e64 v31, null, s13, v11, vcc_lo
	s_waitcnt vmcnt(0)
	v_subrev_nc_u32_e32 v6, s18, v6
	v_lshlrev_b32_e32 v12, 3, v6
	v_lshlrev_b64 v[12:13], 2, v[12:13]
	v_add_co_u32 v22, vcc_lo, s14, v12
	v_add_co_ci_u32_e64 v23, null, s15, v13, vcc_lo
	v_cmp_ge_i32_e32 vcc_lo, v5, v9
	s_clause 0x1
	global_load_dwordx4 v[10:13], v[30:31], off offset:16
	global_load_dwordx4 v[14:17], v[30:31], off
	s_clause 0x1
	global_load_dwordx4 v[18:21], v[22:23], off
	global_load_dwordx4 v[22:25], v[22:23], off offset:16
	s_clause 0x1
	global_load_dwordx4 v[26:29], v[30:31], off offset:32
	global_load_dwordx4 v[30:33], v[30:31], off offset:48
	s_or_b32 s3, vcc_lo, s3
	s_waitcnt vmcnt(3)
	v_fmac_f32_e32 v7, v14, v18
	v_fmac_f32_e32 v8, v15, v18
	;; [unrolled: 1-line block ×8, first 2 shown]
	s_waitcnt vmcnt(1)
	v_fmac_f32_e32 v7, v26, v22
	v_fmac_f32_e32 v8, v27, v22
	;; [unrolled: 1-line block ×4, first 2 shown]
	s_waitcnt vmcnt(0)
	v_fmac_f32_e32 v7, v30, v24
	v_fmac_f32_e32 v8, v31, v24
	;; [unrolled: 1-line block ×4, first 2 shown]
	s_andn2_b32 exec_lo, exec_lo, s3
	s_cbranch_execnz .LBB32_9
; %bb.10:
	s_or_b32 exec_lo, exec_lo, s3
.LBB32_11:
	s_or_b32 exec_lo, exec_lo, s1
	s_cbranch_execz .LBB32_13
	s_branch .LBB32_18
.LBB32_12:
                                        ; implicit-def: $vgpr7
                                        ; implicit-def: $vgpr8
.LBB32_13:
	v_mov_b32_e32 v7, 0
	v_mov_b32_e32 v8, 0
	s_and_saveexec_b32 s1, s0
	s_cbranch_execz .LBB32_17
; %bb.14:
	v_mov_b32_e32 v5, 0
	v_lshlrev_b32_e32 v4, 4, v2
	s_mov_b32 s0, 0
	v_mov_b32_e32 v7, v5
	v_mov_b32_e32 v8, v5
.LBB32_15:                              ; =>This Inner Loop Header: Depth=1
	v_ashrrev_i32_e32 v3, 31, v2
	v_mov_b32_e32 v13, v5
	v_lshlrev_b64 v[10:11], 2, v[2:3]
	v_add_nc_u32_e32 v2, 16, v2
	v_add_co_u32 v10, vcc_lo, s10, v10
	v_add_co_ci_u32_e64 v11, null, s11, v11, vcc_lo
	global_load_dword v3, v[10:11], off
	v_lshlrev_b64 v[10:11], 2, v[4:5]
	v_add_nc_u32_e32 v4, 0x100, v4
	v_add_co_u32 v22, vcc_lo, s12, v10
	v_add_co_ci_u32_e64 v23, null, s13, v11, vcc_lo
	s_waitcnt vmcnt(0)
	v_subrev_nc_u32_e32 v3, s18, v3
	v_lshlrev_b32_e32 v12, 3, v3
	v_lshlrev_b64 v[14:15], 2, v[12:13]
	global_load_dwordx4 v[10:13], v[22:23], off offset:48
	v_add_co_u32 v30, vcc_lo, s14, v14
	v_add_co_ci_u32_e64 v31, null, s15, v15, vcc_lo
	s_clause 0x2
	global_load_dwordx4 v[14:17], v[22:23], off offset:32
	global_load_dwordx4 v[18:21], v[22:23], off offset:16
	global_load_dwordx4 v[22:25], v[22:23], off
	s_clause 0x1
	global_load_dwordx4 v[26:29], v[30:31], off
	global_load_dwordx4 v[30:33], v[30:31], off offset:16
	v_cmp_ge_i32_e32 vcc_lo, v2, v9
	s_or_b32 s0, vcc_lo, s0
	s_waitcnt vmcnt(1)
	v_fmac_f32_e32 v7, v22, v26
	v_fmac_f32_e32 v8, v14, v26
	;; [unrolled: 1-line block ×8, first 2 shown]
	s_waitcnt vmcnt(0)
	v_fmac_f32_e32 v7, v18, v30
	v_fmac_f32_e32 v8, v10, v30
	;; [unrolled: 1-line block ×8, first 2 shown]
	s_andn2_b32 exec_lo, exec_lo, s0
	s_cbranch_execnz .LBB32_15
; %bb.16:
	s_or_b32 exec_lo, exec_lo, s0
.LBB32_17:
	s_or_b32 exec_lo, exec_lo, s1
.LBB32_18:
	v_mbcnt_lo_u32_b32 v2, -1, 0
	s_mov_b32 s3, -1
	v_xor_b32_e32 v3, 8, v2
	v_xor_b32_e32 v5, 4, v2
	v_cmp_gt_i32_e32 vcc_lo, 32, v3
	v_cndmask_b32_e32 v3, v2, v3, vcc_lo
	v_cmp_gt_i32_e32 vcc_lo, 32, v5
	v_lshlrev_b32_e32 v3, 2, v3
	v_cndmask_b32_e32 v5, v2, v5, vcc_lo
	ds_bpermute_b32 v4, v3, v7
	ds_bpermute_b32 v3, v3, v8
	v_lshlrev_b32_e32 v5, 2, v5
	s_waitcnt lgkmcnt(1)
	v_add_f32_e32 v4, v7, v4
	s_waitcnt lgkmcnt(0)
	v_add_f32_e32 v3, v8, v3
	v_xor_b32_e32 v7, 2, v2
	ds_bpermute_b32 v6, v5, v4
	ds_bpermute_b32 v5, v5, v3
	v_cmp_gt_i32_e32 vcc_lo, 32, v7
	v_cndmask_b32_e32 v7, v2, v7, vcc_lo
	v_lshlrev_b32_e32 v7, 2, v7
	s_waitcnt lgkmcnt(1)
	v_add_f32_e32 v4, v4, v6
	s_waitcnt lgkmcnt(0)
	v_add_f32_e32 v3, v3, v5
	ds_bpermute_b32 v5, v7, v4
	ds_bpermute_b32 v6, v7, v3
	v_xor_b32_e32 v7, 1, v2
	v_cmp_gt_i32_e32 vcc_lo, 32, v7
	v_cndmask_b32_e32 v2, v2, v7, vcc_lo
	v_cmp_eq_u32_e32 vcc_lo, 15, v0
	v_lshlrev_b32_e32 v7, 2, v2
	s_waitcnt lgkmcnt(1)
	v_add_f32_e32 v2, v4, v5
	s_waitcnt lgkmcnt(0)
	v_add_f32_e32 v3, v3, v6
	ds_bpermute_b32 v4, v7, v2
	ds_bpermute_b32 v5, v7, v3
	s_and_b32 exec_lo, exec_lo, vcc_lo
	s_cbranch_execz .LBB32_23
; %bb.19:
	s_load_dwordx2 s[0:1], s[4:5], 0x38
	s_waitcnt lgkmcnt(0)
	v_add_f32_e32 v0, v2, v4
	v_add_f32_e32 v3, v3, v5
	v_cmp_eq_f32_e64 s4, s2, 0
	v_mul_f32_e32 v2, s16, v0
	v_mul_f32_e32 v3, s16, v3
	v_lshlrev_b32_e32 v0, 1, v1
	s_and_b32 vcc_lo, exec_lo, s4
	s_cbranch_vccz .LBB32_21
; %bb.20:
	v_ashrrev_i32_e32 v1, 31, v0
	s_mov_b32 s3, 0
	v_lshlrev_b64 v[4:5], 2, v[0:1]
	v_add_co_u32 v4, vcc_lo, s0, v4
	v_add_co_ci_u32_e64 v5, null, s1, v5, vcc_lo
	global_store_dwordx2 v[4:5], v[2:3], off
.LBB32_21:
	s_andn2_b32 vcc_lo, exec_lo, s3
	s_cbranch_vccnz .LBB32_23
; %bb.22:
	v_ashrrev_i32_e32 v1, 31, v0
	v_lshlrev_b64 v[0:1], 2, v[0:1]
	v_add_co_u32 v0, vcc_lo, s0, v0
	v_add_co_ci_u32_e64 v1, null, s1, v1, vcc_lo
	global_load_dwordx2 v[4:5], v[0:1], off
	s_waitcnt vmcnt(0)
	v_fmac_f32_e32 v2, s2, v4
	v_fmac_f32_e32 v3, s2, v5
	global_store_dwordx2 v[0:1], v[2:3], off
.LBB32_23:
	s_endpgm
	.section	.rodata,"a",@progbits
	.p2align	6, 0x0
	.amdhsa_kernel _ZN9rocsparseL19gebsrmvn_2xn_kernelILj128ELj8ELj16EfEEvi20rocsparse_direction_NS_24const_host_device_scalarIT2_EEPKiS6_PKS3_S8_S4_PS3_21rocsparse_index_base_b
		.amdhsa_group_segment_fixed_size 0
		.amdhsa_private_segment_fixed_size 0
		.amdhsa_kernarg_size 72
		.amdhsa_user_sgpr_count 6
		.amdhsa_user_sgpr_private_segment_buffer 1
		.amdhsa_user_sgpr_dispatch_ptr 0
		.amdhsa_user_sgpr_queue_ptr 0
		.amdhsa_user_sgpr_kernarg_segment_ptr 1
		.amdhsa_user_sgpr_dispatch_id 0
		.amdhsa_user_sgpr_flat_scratch_init 0
		.amdhsa_user_sgpr_private_segment_size 0
		.amdhsa_wavefront_size32 1
		.amdhsa_uses_dynamic_stack 0
		.amdhsa_system_sgpr_private_segment_wavefront_offset 0
		.amdhsa_system_sgpr_workgroup_id_x 1
		.amdhsa_system_sgpr_workgroup_id_y 0
		.amdhsa_system_sgpr_workgroup_id_z 0
		.amdhsa_system_sgpr_workgroup_info 0
		.amdhsa_system_vgpr_workitem_id 0
		.amdhsa_next_free_vgpr 34
		.amdhsa_next_free_sgpr 20
		.amdhsa_reserve_vcc 1
		.amdhsa_reserve_flat_scratch 0
		.amdhsa_float_round_mode_32 0
		.amdhsa_float_round_mode_16_64 0
		.amdhsa_float_denorm_mode_32 3
		.amdhsa_float_denorm_mode_16_64 3
		.amdhsa_dx10_clamp 1
		.amdhsa_ieee_mode 1
		.amdhsa_fp16_overflow 0
		.amdhsa_workgroup_processor_mode 1
		.amdhsa_memory_ordered 1
		.amdhsa_forward_progress 1
		.amdhsa_shared_vgpr_count 0
		.amdhsa_exception_fp_ieee_invalid_op 0
		.amdhsa_exception_fp_denorm_src 0
		.amdhsa_exception_fp_ieee_div_zero 0
		.amdhsa_exception_fp_ieee_overflow 0
		.amdhsa_exception_fp_ieee_underflow 0
		.amdhsa_exception_fp_ieee_inexact 0
		.amdhsa_exception_int_div_zero 0
	.end_amdhsa_kernel
	.section	.text._ZN9rocsparseL19gebsrmvn_2xn_kernelILj128ELj8ELj16EfEEvi20rocsparse_direction_NS_24const_host_device_scalarIT2_EEPKiS6_PKS3_S8_S4_PS3_21rocsparse_index_base_b,"axG",@progbits,_ZN9rocsparseL19gebsrmvn_2xn_kernelILj128ELj8ELj16EfEEvi20rocsparse_direction_NS_24const_host_device_scalarIT2_EEPKiS6_PKS3_S8_S4_PS3_21rocsparse_index_base_b,comdat
.Lfunc_end32:
	.size	_ZN9rocsparseL19gebsrmvn_2xn_kernelILj128ELj8ELj16EfEEvi20rocsparse_direction_NS_24const_host_device_scalarIT2_EEPKiS6_PKS3_S8_S4_PS3_21rocsparse_index_base_b, .Lfunc_end32-_ZN9rocsparseL19gebsrmvn_2xn_kernelILj128ELj8ELj16EfEEvi20rocsparse_direction_NS_24const_host_device_scalarIT2_EEPKiS6_PKS3_S8_S4_PS3_21rocsparse_index_base_b
                                        ; -- End function
	.set _ZN9rocsparseL19gebsrmvn_2xn_kernelILj128ELj8ELj16EfEEvi20rocsparse_direction_NS_24const_host_device_scalarIT2_EEPKiS6_PKS3_S8_S4_PS3_21rocsparse_index_base_b.num_vgpr, 34
	.set _ZN9rocsparseL19gebsrmvn_2xn_kernelILj128ELj8ELj16EfEEvi20rocsparse_direction_NS_24const_host_device_scalarIT2_EEPKiS6_PKS3_S8_S4_PS3_21rocsparse_index_base_b.num_agpr, 0
	.set _ZN9rocsparseL19gebsrmvn_2xn_kernelILj128ELj8ELj16EfEEvi20rocsparse_direction_NS_24const_host_device_scalarIT2_EEPKiS6_PKS3_S8_S4_PS3_21rocsparse_index_base_b.numbered_sgpr, 20
	.set _ZN9rocsparseL19gebsrmvn_2xn_kernelILj128ELj8ELj16EfEEvi20rocsparse_direction_NS_24const_host_device_scalarIT2_EEPKiS6_PKS3_S8_S4_PS3_21rocsparse_index_base_b.num_named_barrier, 0
	.set _ZN9rocsparseL19gebsrmvn_2xn_kernelILj128ELj8ELj16EfEEvi20rocsparse_direction_NS_24const_host_device_scalarIT2_EEPKiS6_PKS3_S8_S4_PS3_21rocsparse_index_base_b.private_seg_size, 0
	.set _ZN9rocsparseL19gebsrmvn_2xn_kernelILj128ELj8ELj16EfEEvi20rocsparse_direction_NS_24const_host_device_scalarIT2_EEPKiS6_PKS3_S8_S4_PS3_21rocsparse_index_base_b.uses_vcc, 1
	.set _ZN9rocsparseL19gebsrmvn_2xn_kernelILj128ELj8ELj16EfEEvi20rocsparse_direction_NS_24const_host_device_scalarIT2_EEPKiS6_PKS3_S8_S4_PS3_21rocsparse_index_base_b.uses_flat_scratch, 0
	.set _ZN9rocsparseL19gebsrmvn_2xn_kernelILj128ELj8ELj16EfEEvi20rocsparse_direction_NS_24const_host_device_scalarIT2_EEPKiS6_PKS3_S8_S4_PS3_21rocsparse_index_base_b.has_dyn_sized_stack, 0
	.set _ZN9rocsparseL19gebsrmvn_2xn_kernelILj128ELj8ELj16EfEEvi20rocsparse_direction_NS_24const_host_device_scalarIT2_EEPKiS6_PKS3_S8_S4_PS3_21rocsparse_index_base_b.has_recursion, 0
	.set _ZN9rocsparseL19gebsrmvn_2xn_kernelILj128ELj8ELj16EfEEvi20rocsparse_direction_NS_24const_host_device_scalarIT2_EEPKiS6_PKS3_S8_S4_PS3_21rocsparse_index_base_b.has_indirect_call, 0
	.section	.AMDGPU.csdata,"",@progbits
; Kernel info:
; codeLenInByte = 1204
; TotalNumSgprs: 22
; NumVgprs: 34
; ScratchSize: 0
; MemoryBound: 0
; FloatMode: 240
; IeeeMode: 1
; LDSByteSize: 0 bytes/workgroup (compile time only)
; SGPRBlocks: 0
; VGPRBlocks: 4
; NumSGPRsForWavesPerEU: 22
; NumVGPRsForWavesPerEU: 34
; Occupancy: 16
; WaveLimiterHint : 1
; COMPUTE_PGM_RSRC2:SCRATCH_EN: 0
; COMPUTE_PGM_RSRC2:USER_SGPR: 6
; COMPUTE_PGM_RSRC2:TRAP_HANDLER: 0
; COMPUTE_PGM_RSRC2:TGID_X_EN: 1
; COMPUTE_PGM_RSRC2:TGID_Y_EN: 0
; COMPUTE_PGM_RSRC2:TGID_Z_EN: 0
; COMPUTE_PGM_RSRC2:TIDIG_COMP_CNT: 0
	.section	.text._ZN9rocsparseL19gebsrmvn_2xn_kernelILj128ELj8ELj32EfEEvi20rocsparse_direction_NS_24const_host_device_scalarIT2_EEPKiS6_PKS3_S8_S4_PS3_21rocsparse_index_base_b,"axG",@progbits,_ZN9rocsparseL19gebsrmvn_2xn_kernelILj128ELj8ELj32EfEEvi20rocsparse_direction_NS_24const_host_device_scalarIT2_EEPKiS6_PKS3_S8_S4_PS3_21rocsparse_index_base_b,comdat
	.globl	_ZN9rocsparseL19gebsrmvn_2xn_kernelILj128ELj8ELj32EfEEvi20rocsparse_direction_NS_24const_host_device_scalarIT2_EEPKiS6_PKS3_S8_S4_PS3_21rocsparse_index_base_b ; -- Begin function _ZN9rocsparseL19gebsrmvn_2xn_kernelILj128ELj8ELj32EfEEvi20rocsparse_direction_NS_24const_host_device_scalarIT2_EEPKiS6_PKS3_S8_S4_PS3_21rocsparse_index_base_b
	.p2align	8
	.type	_ZN9rocsparseL19gebsrmvn_2xn_kernelILj128ELj8ELj32EfEEvi20rocsparse_direction_NS_24const_host_device_scalarIT2_EEPKiS6_PKS3_S8_S4_PS3_21rocsparse_index_base_b,@function
_ZN9rocsparseL19gebsrmvn_2xn_kernelILj128ELj8ELj32EfEEvi20rocsparse_direction_NS_24const_host_device_scalarIT2_EEPKiS6_PKS3_S8_S4_PS3_21rocsparse_index_base_b: ; @_ZN9rocsparseL19gebsrmvn_2xn_kernelILj128ELj8ELj32EfEEvi20rocsparse_direction_NS_24const_host_device_scalarIT2_EEPKiS6_PKS3_S8_S4_PS3_21rocsparse_index_base_b
; %bb.0:
	s_clause 0x2
	s_load_dwordx2 s[18:19], s[4:5], 0x40
	s_load_dwordx2 s[16:17], s[4:5], 0x8
	;; [unrolled: 1-line block ×3, first 2 shown]
	s_waitcnt lgkmcnt(0)
	s_bitcmp1_b32 s19, 0
	s_cselect_b32 s0, -1, 0
	s_and_b32 vcc_lo, exec_lo, s0
	s_xor_b32 s0, s0, -1
	s_cbranch_vccnz .LBB33_2
; %bb.1:
	s_load_dword s16, s[16:17], 0x0
.LBB33_2:
	s_andn2_b32 vcc_lo, exec_lo, s0
	s_cbranch_vccnz .LBB33_4
; %bb.3:
	s_load_dword s2, s[2:3], 0x0
.LBB33_4:
	s_waitcnt lgkmcnt(0)
	v_cmp_eq_f32_e64 s0, s16, 0
	v_cmp_eq_f32_e64 s1, s2, 1.0
	s_and_b32 s0, s0, s1
	s_and_b32 vcc_lo, exec_lo, s0
	s_cbranch_vccnz .LBB33_23
; %bb.5:
	s_load_dwordx2 s[0:1], s[4:5], 0x0
	v_lshrrev_b32_e32 v1, 5, v0
	v_lshl_or_b32 v1, s6, 2, v1
	s_waitcnt lgkmcnt(0)
	v_cmp_gt_i32_e32 vcc_lo, s0, v1
	s_and_saveexec_b32 s0, vcc_lo
	s_cbranch_execz .LBB33_23
; %bb.6:
	s_load_dwordx8 s[8:15], s[4:5], 0x10
	v_ashrrev_i32_e32 v2, 31, v1
	v_and_b32_e32 v0, 31, v0
	s_cmp_lg_u32 s1, 0
	v_lshlrev_b64 v[2:3], 2, v[1:2]
	s_waitcnt lgkmcnt(0)
	v_add_co_u32 v2, vcc_lo, s8, v2
	v_add_co_ci_u32_e64 v3, null, s9, v3, vcc_lo
	global_load_dwordx2 v[2:3], v[2:3], off
	s_waitcnt vmcnt(0)
	v_subrev_nc_u32_e32 v2, s18, v2
	v_subrev_nc_u32_e32 v9, s18, v3
	v_add_nc_u32_e32 v2, v2, v0
	v_cmp_lt_i32_e64 s0, v2, v9
	s_cbranch_scc0 .LBB33_12
; %bb.7:
	v_mov_b32_e32 v7, 0
	v_mov_b32_e32 v8, 0
	s_and_saveexec_b32 s1, s0
	s_cbranch_execz .LBB33_11
; %bb.8:
	v_mov_b32_e32 v4, 0
	v_lshlrev_b32_e32 v3, 4, v2
	v_mov_b32_e32 v5, v2
	s_mov_b32 s3, 0
	v_mov_b32_e32 v7, v4
	v_mov_b32_e32 v8, v4
.LBB33_9:                               ; =>This Inner Loop Header: Depth=1
	v_ashrrev_i32_e32 v6, 31, v5
	v_mov_b32_e32 v13, v4
	v_lshlrev_b64 v[10:11], 2, v[5:6]
	v_add_nc_u32_e32 v5, 32, v5
	v_add_co_u32 v10, vcc_lo, s10, v10
	v_add_co_ci_u32_e64 v11, null, s11, v11, vcc_lo
	global_load_dword v6, v[10:11], off
	v_lshlrev_b64 v[10:11], 2, v[3:4]
	v_add_nc_u32_e32 v3, 0x200, v3
	v_add_co_u32 v30, vcc_lo, s12, v10
	v_add_co_ci_u32_e64 v31, null, s13, v11, vcc_lo
	s_waitcnt vmcnt(0)
	v_subrev_nc_u32_e32 v6, s18, v6
	v_lshlrev_b32_e32 v12, 3, v6
	v_lshlrev_b64 v[12:13], 2, v[12:13]
	v_add_co_u32 v22, vcc_lo, s14, v12
	v_add_co_ci_u32_e64 v23, null, s15, v13, vcc_lo
	v_cmp_ge_i32_e32 vcc_lo, v5, v9
	s_clause 0x1
	global_load_dwordx4 v[10:13], v[30:31], off offset:16
	global_load_dwordx4 v[14:17], v[30:31], off
	s_clause 0x1
	global_load_dwordx4 v[18:21], v[22:23], off
	global_load_dwordx4 v[22:25], v[22:23], off offset:16
	s_clause 0x1
	global_load_dwordx4 v[26:29], v[30:31], off offset:32
	global_load_dwordx4 v[30:33], v[30:31], off offset:48
	s_or_b32 s3, vcc_lo, s3
	s_waitcnt vmcnt(3)
	v_fmac_f32_e32 v7, v14, v18
	v_fmac_f32_e32 v8, v15, v18
	;; [unrolled: 1-line block ×8, first 2 shown]
	s_waitcnt vmcnt(1)
	v_fmac_f32_e32 v7, v26, v22
	v_fmac_f32_e32 v8, v27, v22
	;; [unrolled: 1-line block ×4, first 2 shown]
	s_waitcnt vmcnt(0)
	v_fmac_f32_e32 v7, v30, v24
	v_fmac_f32_e32 v8, v31, v24
	;; [unrolled: 1-line block ×4, first 2 shown]
	s_andn2_b32 exec_lo, exec_lo, s3
	s_cbranch_execnz .LBB33_9
; %bb.10:
	s_or_b32 exec_lo, exec_lo, s3
.LBB33_11:
	s_or_b32 exec_lo, exec_lo, s1
	s_cbranch_execz .LBB33_13
	s_branch .LBB33_18
.LBB33_12:
                                        ; implicit-def: $vgpr7
                                        ; implicit-def: $vgpr8
.LBB33_13:
	v_mov_b32_e32 v7, 0
	v_mov_b32_e32 v8, 0
	s_and_saveexec_b32 s1, s0
	s_cbranch_execz .LBB33_17
; %bb.14:
	v_mov_b32_e32 v5, 0
	v_lshlrev_b32_e32 v4, 4, v2
	s_mov_b32 s0, 0
	v_mov_b32_e32 v7, v5
	v_mov_b32_e32 v8, v5
.LBB33_15:                              ; =>This Inner Loop Header: Depth=1
	v_ashrrev_i32_e32 v3, 31, v2
	v_mov_b32_e32 v13, v5
	v_lshlrev_b64 v[10:11], 2, v[2:3]
	v_add_nc_u32_e32 v2, 32, v2
	v_add_co_u32 v10, vcc_lo, s10, v10
	v_add_co_ci_u32_e64 v11, null, s11, v11, vcc_lo
	global_load_dword v3, v[10:11], off
	v_lshlrev_b64 v[10:11], 2, v[4:5]
	v_add_nc_u32_e32 v4, 0x200, v4
	v_add_co_u32 v22, vcc_lo, s12, v10
	v_add_co_ci_u32_e64 v23, null, s13, v11, vcc_lo
	s_waitcnt vmcnt(0)
	v_subrev_nc_u32_e32 v3, s18, v3
	v_lshlrev_b32_e32 v12, 3, v3
	v_lshlrev_b64 v[14:15], 2, v[12:13]
	global_load_dwordx4 v[10:13], v[22:23], off offset:48
	v_add_co_u32 v30, vcc_lo, s14, v14
	v_add_co_ci_u32_e64 v31, null, s15, v15, vcc_lo
	s_clause 0x2
	global_load_dwordx4 v[14:17], v[22:23], off offset:32
	global_load_dwordx4 v[18:21], v[22:23], off offset:16
	global_load_dwordx4 v[22:25], v[22:23], off
	s_clause 0x1
	global_load_dwordx4 v[26:29], v[30:31], off
	global_load_dwordx4 v[30:33], v[30:31], off offset:16
	v_cmp_ge_i32_e32 vcc_lo, v2, v9
	s_or_b32 s0, vcc_lo, s0
	s_waitcnt vmcnt(1)
	v_fmac_f32_e32 v7, v22, v26
	v_fmac_f32_e32 v8, v14, v26
	;; [unrolled: 1-line block ×8, first 2 shown]
	s_waitcnt vmcnt(0)
	v_fmac_f32_e32 v7, v18, v30
	v_fmac_f32_e32 v8, v10, v30
	;; [unrolled: 1-line block ×8, first 2 shown]
	s_andn2_b32 exec_lo, exec_lo, s0
	s_cbranch_execnz .LBB33_15
; %bb.16:
	s_or_b32 exec_lo, exec_lo, s0
.LBB33_17:
	s_or_b32 exec_lo, exec_lo, s1
.LBB33_18:
	v_mbcnt_lo_u32_b32 v2, -1, 0
	s_mov_b32 s3, -1
	v_xor_b32_e32 v3, 16, v2
	v_xor_b32_e32 v5, 8, v2
	v_cmp_gt_i32_e32 vcc_lo, 32, v3
	v_cndmask_b32_e32 v3, v2, v3, vcc_lo
	v_cmp_gt_i32_e32 vcc_lo, 32, v5
	v_lshlrev_b32_e32 v3, 2, v3
	v_cndmask_b32_e32 v5, v2, v5, vcc_lo
	ds_bpermute_b32 v4, v3, v7
	ds_bpermute_b32 v3, v3, v8
	v_lshlrev_b32_e32 v5, 2, v5
	s_waitcnt lgkmcnt(1)
	v_add_f32_e32 v4, v7, v4
	s_waitcnt lgkmcnt(0)
	v_add_f32_e32 v3, v8, v3
	v_xor_b32_e32 v7, 4, v2
	ds_bpermute_b32 v6, v5, v4
	ds_bpermute_b32 v5, v5, v3
	v_cmp_gt_i32_e32 vcc_lo, 32, v7
	v_cndmask_b32_e32 v7, v2, v7, vcc_lo
	v_lshlrev_b32_e32 v7, 2, v7
	s_waitcnt lgkmcnt(1)
	v_add_f32_e32 v4, v4, v6
	s_waitcnt lgkmcnt(0)
	v_add_f32_e32 v3, v3, v5
	ds_bpermute_b32 v5, v7, v4
	ds_bpermute_b32 v6, v7, v3
	v_xor_b32_e32 v7, 2, v2
	v_cmp_gt_i32_e32 vcc_lo, 32, v7
	v_cndmask_b32_e32 v7, v2, v7, vcc_lo
	v_lshlrev_b32_e32 v7, 2, v7
	s_waitcnt lgkmcnt(1)
	v_add_f32_e32 v4, v4, v5
	s_waitcnt lgkmcnt(0)
	v_add_f32_e32 v3, v3, v6
	ds_bpermute_b32 v5, v7, v4
	ds_bpermute_b32 v6, v7, v3
	v_xor_b32_e32 v7, 1, v2
	v_cmp_gt_i32_e32 vcc_lo, 32, v7
	v_cndmask_b32_e32 v2, v2, v7, vcc_lo
	v_cmp_eq_u32_e32 vcc_lo, 31, v0
	v_lshlrev_b32_e32 v7, 2, v2
	s_waitcnt lgkmcnt(1)
	v_add_f32_e32 v2, v4, v5
	s_waitcnt lgkmcnt(0)
	v_add_f32_e32 v3, v3, v6
	ds_bpermute_b32 v4, v7, v2
	ds_bpermute_b32 v5, v7, v3
	s_and_b32 exec_lo, exec_lo, vcc_lo
	s_cbranch_execz .LBB33_23
; %bb.19:
	s_load_dwordx2 s[0:1], s[4:5], 0x38
	s_waitcnt lgkmcnt(0)
	v_add_f32_e32 v0, v2, v4
	v_add_f32_e32 v3, v3, v5
	v_cmp_eq_f32_e64 s4, s2, 0
	v_mul_f32_e32 v2, s16, v0
	v_mul_f32_e32 v3, s16, v3
	v_lshlrev_b32_e32 v0, 1, v1
	s_and_b32 vcc_lo, exec_lo, s4
	s_cbranch_vccz .LBB33_21
; %bb.20:
	v_ashrrev_i32_e32 v1, 31, v0
	s_mov_b32 s3, 0
	v_lshlrev_b64 v[4:5], 2, v[0:1]
	v_add_co_u32 v4, vcc_lo, s0, v4
	v_add_co_ci_u32_e64 v5, null, s1, v5, vcc_lo
	global_store_dwordx2 v[4:5], v[2:3], off
.LBB33_21:
	s_andn2_b32 vcc_lo, exec_lo, s3
	s_cbranch_vccnz .LBB33_23
; %bb.22:
	v_ashrrev_i32_e32 v1, 31, v0
	v_lshlrev_b64 v[0:1], 2, v[0:1]
	v_add_co_u32 v0, vcc_lo, s0, v0
	v_add_co_ci_u32_e64 v1, null, s1, v1, vcc_lo
	global_load_dwordx2 v[4:5], v[0:1], off
	s_waitcnt vmcnt(0)
	v_fmac_f32_e32 v2, s2, v4
	v_fmac_f32_e32 v3, s2, v5
	global_store_dwordx2 v[0:1], v[2:3], off
.LBB33_23:
	s_endpgm
	.section	.rodata,"a",@progbits
	.p2align	6, 0x0
	.amdhsa_kernel _ZN9rocsparseL19gebsrmvn_2xn_kernelILj128ELj8ELj32EfEEvi20rocsparse_direction_NS_24const_host_device_scalarIT2_EEPKiS6_PKS3_S8_S4_PS3_21rocsparse_index_base_b
		.amdhsa_group_segment_fixed_size 0
		.amdhsa_private_segment_fixed_size 0
		.amdhsa_kernarg_size 72
		.amdhsa_user_sgpr_count 6
		.amdhsa_user_sgpr_private_segment_buffer 1
		.amdhsa_user_sgpr_dispatch_ptr 0
		.amdhsa_user_sgpr_queue_ptr 0
		.amdhsa_user_sgpr_kernarg_segment_ptr 1
		.amdhsa_user_sgpr_dispatch_id 0
		.amdhsa_user_sgpr_flat_scratch_init 0
		.amdhsa_user_sgpr_private_segment_size 0
		.amdhsa_wavefront_size32 1
		.amdhsa_uses_dynamic_stack 0
		.amdhsa_system_sgpr_private_segment_wavefront_offset 0
		.amdhsa_system_sgpr_workgroup_id_x 1
		.amdhsa_system_sgpr_workgroup_id_y 0
		.amdhsa_system_sgpr_workgroup_id_z 0
		.amdhsa_system_sgpr_workgroup_info 0
		.amdhsa_system_vgpr_workitem_id 0
		.amdhsa_next_free_vgpr 34
		.amdhsa_next_free_sgpr 20
		.amdhsa_reserve_vcc 1
		.amdhsa_reserve_flat_scratch 0
		.amdhsa_float_round_mode_32 0
		.amdhsa_float_round_mode_16_64 0
		.amdhsa_float_denorm_mode_32 3
		.amdhsa_float_denorm_mode_16_64 3
		.amdhsa_dx10_clamp 1
		.amdhsa_ieee_mode 1
		.amdhsa_fp16_overflow 0
		.amdhsa_workgroup_processor_mode 1
		.amdhsa_memory_ordered 1
		.amdhsa_forward_progress 1
		.amdhsa_shared_vgpr_count 0
		.amdhsa_exception_fp_ieee_invalid_op 0
		.amdhsa_exception_fp_denorm_src 0
		.amdhsa_exception_fp_ieee_div_zero 0
		.amdhsa_exception_fp_ieee_overflow 0
		.amdhsa_exception_fp_ieee_underflow 0
		.amdhsa_exception_fp_ieee_inexact 0
		.amdhsa_exception_int_div_zero 0
	.end_amdhsa_kernel
	.section	.text._ZN9rocsparseL19gebsrmvn_2xn_kernelILj128ELj8ELj32EfEEvi20rocsparse_direction_NS_24const_host_device_scalarIT2_EEPKiS6_PKS3_S8_S4_PS3_21rocsparse_index_base_b,"axG",@progbits,_ZN9rocsparseL19gebsrmvn_2xn_kernelILj128ELj8ELj32EfEEvi20rocsparse_direction_NS_24const_host_device_scalarIT2_EEPKiS6_PKS3_S8_S4_PS3_21rocsparse_index_base_b,comdat
.Lfunc_end33:
	.size	_ZN9rocsparseL19gebsrmvn_2xn_kernelILj128ELj8ELj32EfEEvi20rocsparse_direction_NS_24const_host_device_scalarIT2_EEPKiS6_PKS3_S8_S4_PS3_21rocsparse_index_base_b, .Lfunc_end33-_ZN9rocsparseL19gebsrmvn_2xn_kernelILj128ELj8ELj32EfEEvi20rocsparse_direction_NS_24const_host_device_scalarIT2_EEPKiS6_PKS3_S8_S4_PS3_21rocsparse_index_base_b
                                        ; -- End function
	.set _ZN9rocsparseL19gebsrmvn_2xn_kernelILj128ELj8ELj32EfEEvi20rocsparse_direction_NS_24const_host_device_scalarIT2_EEPKiS6_PKS3_S8_S4_PS3_21rocsparse_index_base_b.num_vgpr, 34
	.set _ZN9rocsparseL19gebsrmvn_2xn_kernelILj128ELj8ELj32EfEEvi20rocsparse_direction_NS_24const_host_device_scalarIT2_EEPKiS6_PKS3_S8_S4_PS3_21rocsparse_index_base_b.num_agpr, 0
	.set _ZN9rocsparseL19gebsrmvn_2xn_kernelILj128ELj8ELj32EfEEvi20rocsparse_direction_NS_24const_host_device_scalarIT2_EEPKiS6_PKS3_S8_S4_PS3_21rocsparse_index_base_b.numbered_sgpr, 20
	.set _ZN9rocsparseL19gebsrmvn_2xn_kernelILj128ELj8ELj32EfEEvi20rocsparse_direction_NS_24const_host_device_scalarIT2_EEPKiS6_PKS3_S8_S4_PS3_21rocsparse_index_base_b.num_named_barrier, 0
	.set _ZN9rocsparseL19gebsrmvn_2xn_kernelILj128ELj8ELj32EfEEvi20rocsparse_direction_NS_24const_host_device_scalarIT2_EEPKiS6_PKS3_S8_S4_PS3_21rocsparse_index_base_b.private_seg_size, 0
	.set _ZN9rocsparseL19gebsrmvn_2xn_kernelILj128ELj8ELj32EfEEvi20rocsparse_direction_NS_24const_host_device_scalarIT2_EEPKiS6_PKS3_S8_S4_PS3_21rocsparse_index_base_b.uses_vcc, 1
	.set _ZN9rocsparseL19gebsrmvn_2xn_kernelILj128ELj8ELj32EfEEvi20rocsparse_direction_NS_24const_host_device_scalarIT2_EEPKiS6_PKS3_S8_S4_PS3_21rocsparse_index_base_b.uses_flat_scratch, 0
	.set _ZN9rocsparseL19gebsrmvn_2xn_kernelILj128ELj8ELj32EfEEvi20rocsparse_direction_NS_24const_host_device_scalarIT2_EEPKiS6_PKS3_S8_S4_PS3_21rocsparse_index_base_b.has_dyn_sized_stack, 0
	.set _ZN9rocsparseL19gebsrmvn_2xn_kernelILj128ELj8ELj32EfEEvi20rocsparse_direction_NS_24const_host_device_scalarIT2_EEPKiS6_PKS3_S8_S4_PS3_21rocsparse_index_base_b.has_recursion, 0
	.set _ZN9rocsparseL19gebsrmvn_2xn_kernelILj128ELj8ELj32EfEEvi20rocsparse_direction_NS_24const_host_device_scalarIT2_EEPKiS6_PKS3_S8_S4_PS3_21rocsparse_index_base_b.has_indirect_call, 0
	.section	.AMDGPU.csdata,"",@progbits
; Kernel info:
; codeLenInByte = 1252
; TotalNumSgprs: 22
; NumVgprs: 34
; ScratchSize: 0
; MemoryBound: 0
; FloatMode: 240
; IeeeMode: 1
; LDSByteSize: 0 bytes/workgroup (compile time only)
; SGPRBlocks: 0
; VGPRBlocks: 4
; NumSGPRsForWavesPerEU: 22
; NumVGPRsForWavesPerEU: 34
; Occupancy: 16
; WaveLimiterHint : 1
; COMPUTE_PGM_RSRC2:SCRATCH_EN: 0
; COMPUTE_PGM_RSRC2:USER_SGPR: 6
; COMPUTE_PGM_RSRC2:TRAP_HANDLER: 0
; COMPUTE_PGM_RSRC2:TGID_X_EN: 1
; COMPUTE_PGM_RSRC2:TGID_Y_EN: 0
; COMPUTE_PGM_RSRC2:TGID_Z_EN: 0
; COMPUTE_PGM_RSRC2:TIDIG_COMP_CNT: 0
	.section	.text._ZN9rocsparseL19gebsrmvn_2xn_kernelILj128ELj8ELj64EfEEvi20rocsparse_direction_NS_24const_host_device_scalarIT2_EEPKiS6_PKS3_S8_S4_PS3_21rocsparse_index_base_b,"axG",@progbits,_ZN9rocsparseL19gebsrmvn_2xn_kernelILj128ELj8ELj64EfEEvi20rocsparse_direction_NS_24const_host_device_scalarIT2_EEPKiS6_PKS3_S8_S4_PS3_21rocsparse_index_base_b,comdat
	.globl	_ZN9rocsparseL19gebsrmvn_2xn_kernelILj128ELj8ELj64EfEEvi20rocsparse_direction_NS_24const_host_device_scalarIT2_EEPKiS6_PKS3_S8_S4_PS3_21rocsparse_index_base_b ; -- Begin function _ZN9rocsparseL19gebsrmvn_2xn_kernelILj128ELj8ELj64EfEEvi20rocsparse_direction_NS_24const_host_device_scalarIT2_EEPKiS6_PKS3_S8_S4_PS3_21rocsparse_index_base_b
	.p2align	8
	.type	_ZN9rocsparseL19gebsrmvn_2xn_kernelILj128ELj8ELj64EfEEvi20rocsparse_direction_NS_24const_host_device_scalarIT2_EEPKiS6_PKS3_S8_S4_PS3_21rocsparse_index_base_b,@function
_ZN9rocsparseL19gebsrmvn_2xn_kernelILj128ELj8ELj64EfEEvi20rocsparse_direction_NS_24const_host_device_scalarIT2_EEPKiS6_PKS3_S8_S4_PS3_21rocsparse_index_base_b: ; @_ZN9rocsparseL19gebsrmvn_2xn_kernelILj128ELj8ELj64EfEEvi20rocsparse_direction_NS_24const_host_device_scalarIT2_EEPKiS6_PKS3_S8_S4_PS3_21rocsparse_index_base_b
; %bb.0:
	s_clause 0x2
	s_load_dwordx2 s[18:19], s[4:5], 0x40
	s_load_dwordx2 s[16:17], s[4:5], 0x8
	;; [unrolled: 1-line block ×3, first 2 shown]
	s_waitcnt lgkmcnt(0)
	s_bitcmp1_b32 s19, 0
	s_cselect_b32 s0, -1, 0
	s_and_b32 vcc_lo, exec_lo, s0
	s_xor_b32 s0, s0, -1
	s_cbranch_vccnz .LBB34_2
; %bb.1:
	s_load_dword s16, s[16:17], 0x0
.LBB34_2:
	s_andn2_b32 vcc_lo, exec_lo, s0
	s_cbranch_vccnz .LBB34_4
; %bb.3:
	s_load_dword s2, s[2:3], 0x0
.LBB34_4:
	s_waitcnt lgkmcnt(0)
	v_cmp_eq_f32_e64 s0, s16, 0
	v_cmp_eq_f32_e64 s1, s2, 1.0
	s_and_b32 s0, s0, s1
	s_and_b32 vcc_lo, exec_lo, s0
	s_cbranch_vccnz .LBB34_23
; %bb.5:
	s_load_dwordx2 s[0:1], s[4:5], 0x0
	v_lshrrev_b32_e32 v1, 6, v0
	v_lshl_or_b32 v1, s6, 1, v1
	s_waitcnt lgkmcnt(0)
	v_cmp_gt_i32_e32 vcc_lo, s0, v1
	s_and_saveexec_b32 s0, vcc_lo
	s_cbranch_execz .LBB34_23
; %bb.6:
	s_load_dwordx8 s[8:15], s[4:5], 0x10
	v_ashrrev_i32_e32 v2, 31, v1
	v_and_b32_e32 v0, 63, v0
	s_cmp_lg_u32 s1, 0
	v_lshlrev_b64 v[2:3], 2, v[1:2]
	s_waitcnt lgkmcnt(0)
	v_add_co_u32 v2, vcc_lo, s8, v2
	v_add_co_ci_u32_e64 v3, null, s9, v3, vcc_lo
	global_load_dwordx2 v[2:3], v[2:3], off
	s_waitcnt vmcnt(0)
	v_subrev_nc_u32_e32 v2, s18, v2
	v_subrev_nc_u32_e32 v9, s18, v3
	v_add_nc_u32_e32 v2, v2, v0
	v_cmp_lt_i32_e64 s0, v2, v9
	s_cbranch_scc0 .LBB34_12
; %bb.7:
	v_mov_b32_e32 v7, 0
	v_mov_b32_e32 v8, 0
	s_and_saveexec_b32 s1, s0
	s_cbranch_execz .LBB34_11
; %bb.8:
	v_mov_b32_e32 v4, 0
	v_lshlrev_b32_e32 v3, 4, v2
	v_mov_b32_e32 v5, v2
	s_mov_b32 s3, 0
	v_mov_b32_e32 v7, v4
	v_mov_b32_e32 v8, v4
.LBB34_9:                               ; =>This Inner Loop Header: Depth=1
	v_ashrrev_i32_e32 v6, 31, v5
	v_mov_b32_e32 v13, v4
	v_lshlrev_b64 v[10:11], 2, v[5:6]
	v_add_nc_u32_e32 v5, 64, v5
	v_add_co_u32 v10, vcc_lo, s10, v10
	v_add_co_ci_u32_e64 v11, null, s11, v11, vcc_lo
	global_load_dword v6, v[10:11], off
	v_lshlrev_b64 v[10:11], 2, v[3:4]
	v_add_nc_u32_e32 v3, 0x400, v3
	v_add_co_u32 v30, vcc_lo, s12, v10
	v_add_co_ci_u32_e64 v31, null, s13, v11, vcc_lo
	s_waitcnt vmcnt(0)
	v_subrev_nc_u32_e32 v6, s18, v6
	v_lshlrev_b32_e32 v12, 3, v6
	v_lshlrev_b64 v[12:13], 2, v[12:13]
	v_add_co_u32 v22, vcc_lo, s14, v12
	v_add_co_ci_u32_e64 v23, null, s15, v13, vcc_lo
	v_cmp_ge_i32_e32 vcc_lo, v5, v9
	s_clause 0x1
	global_load_dwordx4 v[10:13], v[30:31], off offset:16
	global_load_dwordx4 v[14:17], v[30:31], off
	s_clause 0x1
	global_load_dwordx4 v[18:21], v[22:23], off
	global_load_dwordx4 v[22:25], v[22:23], off offset:16
	s_clause 0x1
	global_load_dwordx4 v[26:29], v[30:31], off offset:32
	global_load_dwordx4 v[30:33], v[30:31], off offset:48
	s_or_b32 s3, vcc_lo, s3
	s_waitcnt vmcnt(3)
	v_fmac_f32_e32 v7, v14, v18
	v_fmac_f32_e32 v8, v15, v18
	v_fmac_f32_e32 v7, v16, v19
	v_fmac_f32_e32 v8, v17, v19
	v_fmac_f32_e32 v7, v10, v20
	v_fmac_f32_e32 v8, v11, v20
	v_fmac_f32_e32 v7, v12, v21
	v_fmac_f32_e32 v8, v13, v21
	s_waitcnt vmcnt(1)
	v_fmac_f32_e32 v7, v26, v22
	v_fmac_f32_e32 v8, v27, v22
	;; [unrolled: 1-line block ×4, first 2 shown]
	s_waitcnt vmcnt(0)
	v_fmac_f32_e32 v7, v30, v24
	v_fmac_f32_e32 v8, v31, v24
	;; [unrolled: 1-line block ×4, first 2 shown]
	s_andn2_b32 exec_lo, exec_lo, s3
	s_cbranch_execnz .LBB34_9
; %bb.10:
	s_or_b32 exec_lo, exec_lo, s3
.LBB34_11:
	s_or_b32 exec_lo, exec_lo, s1
	s_cbranch_execz .LBB34_13
	s_branch .LBB34_18
.LBB34_12:
                                        ; implicit-def: $vgpr7
                                        ; implicit-def: $vgpr8
.LBB34_13:
	v_mov_b32_e32 v7, 0
	v_mov_b32_e32 v8, 0
	s_and_saveexec_b32 s1, s0
	s_cbranch_execz .LBB34_17
; %bb.14:
	v_mov_b32_e32 v5, 0
	v_lshlrev_b32_e32 v4, 4, v2
	s_mov_b32 s0, 0
	v_mov_b32_e32 v7, v5
	v_mov_b32_e32 v8, v5
.LBB34_15:                              ; =>This Inner Loop Header: Depth=1
	v_ashrrev_i32_e32 v3, 31, v2
	v_mov_b32_e32 v13, v5
	v_lshlrev_b64 v[10:11], 2, v[2:3]
	v_add_nc_u32_e32 v2, 64, v2
	v_add_co_u32 v10, vcc_lo, s10, v10
	v_add_co_ci_u32_e64 v11, null, s11, v11, vcc_lo
	global_load_dword v3, v[10:11], off
	v_lshlrev_b64 v[10:11], 2, v[4:5]
	v_add_nc_u32_e32 v4, 0x400, v4
	v_add_co_u32 v22, vcc_lo, s12, v10
	v_add_co_ci_u32_e64 v23, null, s13, v11, vcc_lo
	s_waitcnt vmcnt(0)
	v_subrev_nc_u32_e32 v3, s18, v3
	v_lshlrev_b32_e32 v12, 3, v3
	v_lshlrev_b64 v[14:15], 2, v[12:13]
	global_load_dwordx4 v[10:13], v[22:23], off offset:48
	v_add_co_u32 v30, vcc_lo, s14, v14
	v_add_co_ci_u32_e64 v31, null, s15, v15, vcc_lo
	s_clause 0x2
	global_load_dwordx4 v[14:17], v[22:23], off offset:32
	global_load_dwordx4 v[18:21], v[22:23], off offset:16
	global_load_dwordx4 v[22:25], v[22:23], off
	s_clause 0x1
	global_load_dwordx4 v[26:29], v[30:31], off
	global_load_dwordx4 v[30:33], v[30:31], off offset:16
	v_cmp_ge_i32_e32 vcc_lo, v2, v9
	s_or_b32 s0, vcc_lo, s0
	s_waitcnt vmcnt(1)
	v_fmac_f32_e32 v7, v22, v26
	v_fmac_f32_e32 v8, v14, v26
	;; [unrolled: 1-line block ×8, first 2 shown]
	s_waitcnt vmcnt(0)
	v_fmac_f32_e32 v7, v18, v30
	v_fmac_f32_e32 v8, v10, v30
	;; [unrolled: 1-line block ×8, first 2 shown]
	s_andn2_b32 exec_lo, exec_lo, s0
	s_cbranch_execnz .LBB34_15
; %bb.16:
	s_or_b32 exec_lo, exec_lo, s0
.LBB34_17:
	s_or_b32 exec_lo, exec_lo, s1
.LBB34_18:
	v_mbcnt_lo_u32_b32 v2, -1, 0
	s_mov_b32 s3, -1
	v_or_b32_e32 v3, 32, v2
	v_xor_b32_e32 v5, 16, v2
	v_cmp_gt_i32_e32 vcc_lo, 32, v3
	v_cndmask_b32_e32 v3, v2, v3, vcc_lo
	v_cmp_gt_i32_e32 vcc_lo, 32, v5
	v_lshlrev_b32_e32 v3, 2, v3
	v_cndmask_b32_e32 v5, v2, v5, vcc_lo
	ds_bpermute_b32 v4, v3, v7
	ds_bpermute_b32 v3, v3, v8
	v_lshlrev_b32_e32 v5, 2, v5
	s_waitcnt lgkmcnt(1)
	v_add_f32_e32 v4, v7, v4
	s_waitcnt lgkmcnt(0)
	v_add_f32_e32 v3, v8, v3
	v_xor_b32_e32 v7, 8, v2
	ds_bpermute_b32 v6, v5, v4
	ds_bpermute_b32 v5, v5, v3
	v_cmp_gt_i32_e32 vcc_lo, 32, v7
	v_cndmask_b32_e32 v7, v2, v7, vcc_lo
	v_lshlrev_b32_e32 v7, 2, v7
	s_waitcnt lgkmcnt(1)
	v_add_f32_e32 v4, v4, v6
	s_waitcnt lgkmcnt(0)
	v_add_f32_e32 v3, v3, v5
	ds_bpermute_b32 v5, v7, v4
	ds_bpermute_b32 v6, v7, v3
	v_xor_b32_e32 v7, 4, v2
	v_cmp_gt_i32_e32 vcc_lo, 32, v7
	v_cndmask_b32_e32 v7, v2, v7, vcc_lo
	v_lshlrev_b32_e32 v7, 2, v7
	s_waitcnt lgkmcnt(1)
	v_add_f32_e32 v4, v4, v5
	s_waitcnt lgkmcnt(0)
	v_add_f32_e32 v3, v3, v6
	ds_bpermute_b32 v5, v7, v4
	ds_bpermute_b32 v6, v7, v3
	v_xor_b32_e32 v7, 2, v2
	;; [unrolled: 10-line block ×3, first 2 shown]
	v_cmp_gt_i32_e32 vcc_lo, 32, v7
	v_cndmask_b32_e32 v2, v2, v7, vcc_lo
	v_cmp_eq_u32_e32 vcc_lo, 63, v0
	v_lshlrev_b32_e32 v7, 2, v2
	s_waitcnt lgkmcnt(1)
	v_add_f32_e32 v2, v4, v5
	s_waitcnt lgkmcnt(0)
	v_add_f32_e32 v3, v3, v6
	ds_bpermute_b32 v4, v7, v2
	ds_bpermute_b32 v5, v7, v3
	s_and_b32 exec_lo, exec_lo, vcc_lo
	s_cbranch_execz .LBB34_23
; %bb.19:
	s_load_dwordx2 s[0:1], s[4:5], 0x38
	s_waitcnt lgkmcnt(0)
	v_add_f32_e32 v0, v2, v4
	v_add_f32_e32 v3, v3, v5
	v_cmp_eq_f32_e64 s4, s2, 0
	v_mul_f32_e32 v2, s16, v0
	v_mul_f32_e32 v3, s16, v3
	v_lshlrev_b32_e32 v0, 1, v1
	s_and_b32 vcc_lo, exec_lo, s4
	s_cbranch_vccz .LBB34_21
; %bb.20:
	v_ashrrev_i32_e32 v1, 31, v0
	s_mov_b32 s3, 0
	v_lshlrev_b64 v[4:5], 2, v[0:1]
	v_add_co_u32 v4, vcc_lo, s0, v4
	v_add_co_ci_u32_e64 v5, null, s1, v5, vcc_lo
	global_store_dwordx2 v[4:5], v[2:3], off
.LBB34_21:
	s_andn2_b32 vcc_lo, exec_lo, s3
	s_cbranch_vccnz .LBB34_23
; %bb.22:
	v_ashrrev_i32_e32 v1, 31, v0
	v_lshlrev_b64 v[0:1], 2, v[0:1]
	v_add_co_u32 v0, vcc_lo, s0, v0
	v_add_co_ci_u32_e64 v1, null, s1, v1, vcc_lo
	global_load_dwordx2 v[4:5], v[0:1], off
	s_waitcnt vmcnt(0)
	v_fmac_f32_e32 v2, s2, v4
	v_fmac_f32_e32 v3, s2, v5
	global_store_dwordx2 v[0:1], v[2:3], off
.LBB34_23:
	s_endpgm
	.section	.rodata,"a",@progbits
	.p2align	6, 0x0
	.amdhsa_kernel _ZN9rocsparseL19gebsrmvn_2xn_kernelILj128ELj8ELj64EfEEvi20rocsparse_direction_NS_24const_host_device_scalarIT2_EEPKiS6_PKS3_S8_S4_PS3_21rocsparse_index_base_b
		.amdhsa_group_segment_fixed_size 0
		.amdhsa_private_segment_fixed_size 0
		.amdhsa_kernarg_size 72
		.amdhsa_user_sgpr_count 6
		.amdhsa_user_sgpr_private_segment_buffer 1
		.amdhsa_user_sgpr_dispatch_ptr 0
		.amdhsa_user_sgpr_queue_ptr 0
		.amdhsa_user_sgpr_kernarg_segment_ptr 1
		.amdhsa_user_sgpr_dispatch_id 0
		.amdhsa_user_sgpr_flat_scratch_init 0
		.amdhsa_user_sgpr_private_segment_size 0
		.amdhsa_wavefront_size32 1
		.amdhsa_uses_dynamic_stack 0
		.amdhsa_system_sgpr_private_segment_wavefront_offset 0
		.amdhsa_system_sgpr_workgroup_id_x 1
		.amdhsa_system_sgpr_workgroup_id_y 0
		.amdhsa_system_sgpr_workgroup_id_z 0
		.amdhsa_system_sgpr_workgroup_info 0
		.amdhsa_system_vgpr_workitem_id 0
		.amdhsa_next_free_vgpr 34
		.amdhsa_next_free_sgpr 20
		.amdhsa_reserve_vcc 1
		.amdhsa_reserve_flat_scratch 0
		.amdhsa_float_round_mode_32 0
		.amdhsa_float_round_mode_16_64 0
		.amdhsa_float_denorm_mode_32 3
		.amdhsa_float_denorm_mode_16_64 3
		.amdhsa_dx10_clamp 1
		.amdhsa_ieee_mode 1
		.amdhsa_fp16_overflow 0
		.amdhsa_workgroup_processor_mode 1
		.amdhsa_memory_ordered 1
		.amdhsa_forward_progress 1
		.amdhsa_shared_vgpr_count 0
		.amdhsa_exception_fp_ieee_invalid_op 0
		.amdhsa_exception_fp_denorm_src 0
		.amdhsa_exception_fp_ieee_div_zero 0
		.amdhsa_exception_fp_ieee_overflow 0
		.amdhsa_exception_fp_ieee_underflow 0
		.amdhsa_exception_fp_ieee_inexact 0
		.amdhsa_exception_int_div_zero 0
	.end_amdhsa_kernel
	.section	.text._ZN9rocsparseL19gebsrmvn_2xn_kernelILj128ELj8ELj64EfEEvi20rocsparse_direction_NS_24const_host_device_scalarIT2_EEPKiS6_PKS3_S8_S4_PS3_21rocsparse_index_base_b,"axG",@progbits,_ZN9rocsparseL19gebsrmvn_2xn_kernelILj128ELj8ELj64EfEEvi20rocsparse_direction_NS_24const_host_device_scalarIT2_EEPKiS6_PKS3_S8_S4_PS3_21rocsparse_index_base_b,comdat
.Lfunc_end34:
	.size	_ZN9rocsparseL19gebsrmvn_2xn_kernelILj128ELj8ELj64EfEEvi20rocsparse_direction_NS_24const_host_device_scalarIT2_EEPKiS6_PKS3_S8_S4_PS3_21rocsparse_index_base_b, .Lfunc_end34-_ZN9rocsparseL19gebsrmvn_2xn_kernelILj128ELj8ELj64EfEEvi20rocsparse_direction_NS_24const_host_device_scalarIT2_EEPKiS6_PKS3_S8_S4_PS3_21rocsparse_index_base_b
                                        ; -- End function
	.set _ZN9rocsparseL19gebsrmvn_2xn_kernelILj128ELj8ELj64EfEEvi20rocsparse_direction_NS_24const_host_device_scalarIT2_EEPKiS6_PKS3_S8_S4_PS3_21rocsparse_index_base_b.num_vgpr, 34
	.set _ZN9rocsparseL19gebsrmvn_2xn_kernelILj128ELj8ELj64EfEEvi20rocsparse_direction_NS_24const_host_device_scalarIT2_EEPKiS6_PKS3_S8_S4_PS3_21rocsparse_index_base_b.num_agpr, 0
	.set _ZN9rocsparseL19gebsrmvn_2xn_kernelILj128ELj8ELj64EfEEvi20rocsparse_direction_NS_24const_host_device_scalarIT2_EEPKiS6_PKS3_S8_S4_PS3_21rocsparse_index_base_b.numbered_sgpr, 20
	.set _ZN9rocsparseL19gebsrmvn_2xn_kernelILj128ELj8ELj64EfEEvi20rocsparse_direction_NS_24const_host_device_scalarIT2_EEPKiS6_PKS3_S8_S4_PS3_21rocsparse_index_base_b.num_named_barrier, 0
	.set _ZN9rocsparseL19gebsrmvn_2xn_kernelILj128ELj8ELj64EfEEvi20rocsparse_direction_NS_24const_host_device_scalarIT2_EEPKiS6_PKS3_S8_S4_PS3_21rocsparse_index_base_b.private_seg_size, 0
	.set _ZN9rocsparseL19gebsrmvn_2xn_kernelILj128ELj8ELj64EfEEvi20rocsparse_direction_NS_24const_host_device_scalarIT2_EEPKiS6_PKS3_S8_S4_PS3_21rocsparse_index_base_b.uses_vcc, 1
	.set _ZN9rocsparseL19gebsrmvn_2xn_kernelILj128ELj8ELj64EfEEvi20rocsparse_direction_NS_24const_host_device_scalarIT2_EEPKiS6_PKS3_S8_S4_PS3_21rocsparse_index_base_b.uses_flat_scratch, 0
	.set _ZN9rocsparseL19gebsrmvn_2xn_kernelILj128ELj8ELj64EfEEvi20rocsparse_direction_NS_24const_host_device_scalarIT2_EEPKiS6_PKS3_S8_S4_PS3_21rocsparse_index_base_b.has_dyn_sized_stack, 0
	.set _ZN9rocsparseL19gebsrmvn_2xn_kernelILj128ELj8ELj64EfEEvi20rocsparse_direction_NS_24const_host_device_scalarIT2_EEPKiS6_PKS3_S8_S4_PS3_21rocsparse_index_base_b.has_recursion, 0
	.set _ZN9rocsparseL19gebsrmvn_2xn_kernelILj128ELj8ELj64EfEEvi20rocsparse_direction_NS_24const_host_device_scalarIT2_EEPKiS6_PKS3_S8_S4_PS3_21rocsparse_index_base_b.has_indirect_call, 0
	.section	.AMDGPU.csdata,"",@progbits
; Kernel info:
; codeLenInByte = 1300
; TotalNumSgprs: 22
; NumVgprs: 34
; ScratchSize: 0
; MemoryBound: 0
; FloatMode: 240
; IeeeMode: 1
; LDSByteSize: 0 bytes/workgroup (compile time only)
; SGPRBlocks: 0
; VGPRBlocks: 4
; NumSGPRsForWavesPerEU: 22
; NumVGPRsForWavesPerEU: 34
; Occupancy: 16
; WaveLimiterHint : 1
; COMPUTE_PGM_RSRC2:SCRATCH_EN: 0
; COMPUTE_PGM_RSRC2:USER_SGPR: 6
; COMPUTE_PGM_RSRC2:TRAP_HANDLER: 0
; COMPUTE_PGM_RSRC2:TGID_X_EN: 1
; COMPUTE_PGM_RSRC2:TGID_Y_EN: 0
; COMPUTE_PGM_RSRC2:TGID_Z_EN: 0
; COMPUTE_PGM_RSRC2:TIDIG_COMP_CNT: 0
	.section	.text._ZN9rocsparseL19gebsrmvn_2xn_kernelILj128ELj9ELj4EfEEvi20rocsparse_direction_NS_24const_host_device_scalarIT2_EEPKiS6_PKS3_S8_S4_PS3_21rocsparse_index_base_b,"axG",@progbits,_ZN9rocsparseL19gebsrmvn_2xn_kernelILj128ELj9ELj4EfEEvi20rocsparse_direction_NS_24const_host_device_scalarIT2_EEPKiS6_PKS3_S8_S4_PS3_21rocsparse_index_base_b,comdat
	.globl	_ZN9rocsparseL19gebsrmvn_2xn_kernelILj128ELj9ELj4EfEEvi20rocsparse_direction_NS_24const_host_device_scalarIT2_EEPKiS6_PKS3_S8_S4_PS3_21rocsparse_index_base_b ; -- Begin function _ZN9rocsparseL19gebsrmvn_2xn_kernelILj128ELj9ELj4EfEEvi20rocsparse_direction_NS_24const_host_device_scalarIT2_EEPKiS6_PKS3_S8_S4_PS3_21rocsparse_index_base_b
	.p2align	8
	.type	_ZN9rocsparseL19gebsrmvn_2xn_kernelILj128ELj9ELj4EfEEvi20rocsparse_direction_NS_24const_host_device_scalarIT2_EEPKiS6_PKS3_S8_S4_PS3_21rocsparse_index_base_b,@function
_ZN9rocsparseL19gebsrmvn_2xn_kernelILj128ELj9ELj4EfEEvi20rocsparse_direction_NS_24const_host_device_scalarIT2_EEPKiS6_PKS3_S8_S4_PS3_21rocsparse_index_base_b: ; @_ZN9rocsparseL19gebsrmvn_2xn_kernelILj128ELj9ELj4EfEEvi20rocsparse_direction_NS_24const_host_device_scalarIT2_EEPKiS6_PKS3_S8_S4_PS3_21rocsparse_index_base_b
; %bb.0:
	s_clause 0x2
	s_load_dwordx2 s[18:19], s[4:5], 0x40
	s_load_dwordx2 s[16:17], s[4:5], 0x8
	;; [unrolled: 1-line block ×3, first 2 shown]
	s_waitcnt lgkmcnt(0)
	s_bitcmp1_b32 s19, 0
	s_cselect_b32 s0, -1, 0
	s_and_b32 vcc_lo, exec_lo, s0
	s_xor_b32 s0, s0, -1
	s_cbranch_vccnz .LBB35_2
; %bb.1:
	s_load_dword s16, s[16:17], 0x0
.LBB35_2:
	s_andn2_b32 vcc_lo, exec_lo, s0
	s_cbranch_vccnz .LBB35_4
; %bb.3:
	s_load_dword s2, s[2:3], 0x0
.LBB35_4:
	s_waitcnt lgkmcnt(0)
	v_cmp_eq_f32_e64 s0, s16, 0
	v_cmp_eq_f32_e64 s1, s2, 1.0
	s_and_b32 s0, s0, s1
	s_and_b32 vcc_lo, exec_lo, s0
	s_cbranch_vccnz .LBB35_23
; %bb.5:
	s_load_dwordx2 s[0:1], s[4:5], 0x0
	v_lshrrev_b32_e32 v1, 2, v0
	v_lshl_or_b32 v1, s6, 5, v1
	s_waitcnt lgkmcnt(0)
	v_cmp_gt_i32_e32 vcc_lo, s0, v1
	s_and_saveexec_b32 s0, vcc_lo
	s_cbranch_execz .LBB35_23
; %bb.6:
	s_load_dwordx8 s[8:15], s[4:5], 0x10
	v_ashrrev_i32_e32 v2, 31, v1
	v_and_b32_e32 v0, 3, v0
	s_cmp_lg_u32 s1, 0
	v_lshlrev_b64 v[2:3], 2, v[1:2]
	s_waitcnt lgkmcnt(0)
	v_add_co_u32 v2, vcc_lo, s8, v2
	v_add_co_ci_u32_e64 v3, null, s9, v3, vcc_lo
	global_load_dwordx2 v[2:3], v[2:3], off
	s_waitcnt vmcnt(0)
	v_subrev_nc_u32_e32 v2, s18, v2
	v_subrev_nc_u32_e32 v11, s18, v3
	v_add_nc_u32_e32 v2, v2, v0
	v_cmp_lt_i32_e64 s0, v2, v11
	s_cbranch_scc0 .LBB35_12
; %bb.7:
	v_mov_b32_e32 v9, 0
	v_mov_b32_e32 v10, 0
	s_and_saveexec_b32 s1, s0
	s_cbranch_execz .LBB35_11
; %bb.8:
	v_mad_u64_u32 v[3:4], null, v2, 18, 16
	v_mov_b32_e32 v6, 0
	v_mov_b32_e32 v7, v2
	;; [unrolled: 1-line block ×4, first 2 shown]
	s_mov_b32 s3, 0
.LBB35_9:                               ; =>This Inner Loop Header: Depth=1
	v_ashrrev_i32_e32 v8, 31, v7
	v_mov_b32_e32 v13, v6
	v_lshlrev_b64 v[4:5], 2, v[7:8]
	v_add_nc_u32_e32 v7, 4, v7
	v_add_co_u32 v4, vcc_lo, s10, v4
	v_add_co_ci_u32_e64 v5, null, s11, v5, vcc_lo
	global_load_dword v8, v[4:5], off
	v_add_nc_u32_e32 v5, -16, v3
	v_mov_b32_e32 v4, v6
	v_lshlrev_b64 v[14:15], 2, v[5:6]
	v_add_nc_u32_e32 v5, -14, v3
	v_lshlrev_b64 v[16:17], 2, v[3:4]
	v_lshlrev_b64 v[4:5], 2, v[5:6]
	v_add_co_u32 v14, vcc_lo, s12, v14
	v_add_co_ci_u32_e64 v15, null, s13, v15, vcc_lo
	v_add_co_u32 v16, vcc_lo, s12, v16
	v_add_co_ci_u32_e64 v17, null, s13, v17, vcc_lo
	;; [unrolled: 2-line block ×3, first 2 shown]
	s_clause 0x1
	global_load_dwordx2 v[14:15], v[14:15], off
	global_load_dwordx2 v[18:19], v[4:5], off
	s_waitcnt vmcnt(2)
	v_subrev_nc_u32_e32 v4, s18, v8
	v_lshl_add_u32 v12, v4, 3, v4
	v_add_nc_u32_e32 v5, 1, v12
	v_lshlrev_b64 v[20:21], 2, v[12:13]
	v_lshlrev_b64 v[22:23], 2, v[5:6]
	v_add_nc_u32_e32 v5, -12, v3
	v_add_co_u32 v20, vcc_lo, s14, v20
	v_add_co_ci_u32_e64 v21, null, s15, v21, vcc_lo
	v_add_co_u32 v22, vcc_lo, s14, v22
	v_lshlrev_b64 v[24:25], 2, v[5:6]
	v_add_nc_u32_e32 v5, 2, v12
	v_add_co_ci_u32_e64 v23, null, s15, v23, vcc_lo
	s_clause 0x1
	global_load_dword v8, v[20:21], off
	global_load_dword v36, v[22:23], off
	v_lshlrev_b64 v[20:21], 2, v[5:6]
	v_add_nc_u32_e32 v5, -10, v3
	v_add_co_u32 v22, vcc_lo, s12, v24
	v_add_co_ci_u32_e64 v23, null, s13, v25, vcc_lo
	v_lshlrev_b64 v[24:25], 2, v[5:6]
	v_add_nc_u32_e32 v5, 3, v12
	v_add_co_u32 v20, vcc_lo, s14, v20
	v_add_co_ci_u32_e64 v21, null, s15, v21, vcc_lo
	v_lshlrev_b64 v[26:27], 2, v[5:6]
	v_add_nc_u32_e32 v5, -8, v3
	global_load_dwordx2 v[22:23], v[22:23], off
	global_load_dword v37, v[20:21], off
	v_add_co_u32 v20, vcc_lo, s12, v24
	v_add_co_ci_u32_e64 v21, null, s13, v25, vcc_lo
	v_lshlrev_b64 v[24:25], 2, v[5:6]
	v_add_nc_u32_e32 v5, 4, v12
	v_add_co_u32 v26, vcc_lo, s14, v26
	v_add_co_ci_u32_e64 v27, null, s15, v27, vcc_lo
	v_lshlrev_b64 v[28:29], 2, v[5:6]
	v_add_co_u32 v24, vcc_lo, s12, v24
	v_add_co_ci_u32_e64 v25, null, s13, v25, vcc_lo
	v_add_nc_u32_e32 v5, -6, v3
	v_add_co_u32 v28, vcc_lo, s14, v28
	v_add_co_ci_u32_e64 v29, null, s15, v29, vcc_lo
	global_load_dword v38, v[26:27], off
	s_clause 0x1
	global_load_dwordx2 v[24:25], v[24:25], off
	global_load_dwordx2 v[20:21], v[20:21], off
	global_load_dword v39, v[28:29], off
	v_lshlrev_b64 v[26:27], 2, v[5:6]
	v_add_nc_u32_e32 v5, 5, v12
	v_lshlrev_b64 v[30:31], 2, v[5:6]
	v_add_nc_u32_e32 v5, -4, v3
	v_add_co_u32 v26, vcc_lo, s12, v26
	v_add_co_ci_u32_e64 v27, null, s13, v27, vcc_lo
	v_lshlrev_b64 v[28:29], 2, v[5:6]
	v_add_nc_u32_e32 v5, 6, v12
	v_add_co_u32 v30, vcc_lo, s14, v30
	v_add_co_ci_u32_e64 v31, null, s15, v31, vcc_lo
	v_lshlrev_b64 v[32:33], 2, v[5:6]
	v_add_co_u32 v28, vcc_lo, s12, v28
	v_add_co_ci_u32_e64 v29, null, s13, v29, vcc_lo
	v_add_nc_u32_e32 v5, -2, v3
	v_add_co_u32 v32, vcc_lo, s14, v32
	v_add_co_ci_u32_e64 v33, null, s15, v33, vcc_lo
	global_load_dword v40, v[30:31], off
	s_clause 0x1
	global_load_dwordx2 v[26:27], v[26:27], off
	global_load_dwordx2 v[28:29], v[28:29], off
	global_load_dword v32, v[32:33], off
	v_lshlrev_b64 v[30:31], 2, v[5:6]
	v_add_nc_u32_e32 v5, 7, v12
	v_add_nc_u32_e32 v3, 0x48, v3
	v_lshlrev_b64 v[34:35], 2, v[5:6]
	v_add_nc_u32_e32 v5, 8, v12
	v_add_co_u32 v12, vcc_lo, s12, v30
	v_add_co_ci_u32_e64 v13, null, s13, v31, vcc_lo
	v_lshlrev_b64 v[4:5], 2, v[5:6]
	v_add_co_u32 v30, vcc_lo, s14, v34
	v_add_co_ci_u32_e64 v31, null, s15, v35, vcc_lo
	global_load_dwordx2 v[12:13], v[12:13], off
	global_load_dword v30, v[30:31], off
	v_add_co_u32 v4, vcc_lo, s14, v4
	v_add_co_ci_u32_e64 v5, null, s15, v5, vcc_lo
	global_load_dwordx2 v[16:17], v[16:17], off
	global_load_dword v4, v[4:5], off
	v_cmp_ge_i32_e32 vcc_lo, v7, v11
	s_or_b32 s3, vcc_lo, s3
	s_waitcnt vmcnt(15)
	v_fmac_f32_e32 v9, v14, v8
	v_fmac_f32_e32 v10, v15, v8
	s_waitcnt vmcnt(14)
	v_fmac_f32_e32 v9, v18, v36
	v_fmac_f32_e32 v10, v19, v36
	s_waitcnt vmcnt(12)
	v_fmac_f32_e32 v9, v22, v37
	v_fmac_f32_e32 v10, v23, v37
	s_waitcnt vmcnt(9)
	v_fmac_f32_e32 v9, v20, v38
	v_fmac_f32_e32 v10, v21, v38
	s_waitcnt vmcnt(8)
	v_fmac_f32_e32 v9, v24, v39
	v_fmac_f32_e32 v10, v25, v39
	s_waitcnt vmcnt(6)
	v_fmac_f32_e32 v9, v26, v40
	v_fmac_f32_e32 v10, v27, v40
	s_waitcnt vmcnt(4)
	v_fmac_f32_e32 v9, v28, v32
	v_fmac_f32_e32 v10, v29, v32
	s_waitcnt vmcnt(2)
	v_fmac_f32_e32 v9, v12, v30
	v_fmac_f32_e32 v10, v13, v30
	s_waitcnt vmcnt(0)
	v_fmac_f32_e32 v9, v16, v4
	v_fmac_f32_e32 v10, v17, v4
	s_andn2_b32 exec_lo, exec_lo, s3
	s_cbranch_execnz .LBB35_9
; %bb.10:
	s_or_b32 exec_lo, exec_lo, s3
.LBB35_11:
	s_or_b32 exec_lo, exec_lo, s1
	s_cbranch_execz .LBB35_13
	s_branch .LBB35_18
.LBB35_12:
                                        ; implicit-def: $vgpr9
                                        ; implicit-def: $vgpr10
.LBB35_13:
	v_mov_b32_e32 v9, 0
	v_mov_b32_e32 v10, 0
	s_and_saveexec_b32 s1, s0
	s_cbranch_execz .LBB35_17
; %bb.14:
	v_mad_u64_u32 v[4:5], null, v2, 18, 17
	v_mov_b32_e32 v7, 0
	v_mov_b32_e32 v9, 0
	v_mov_b32_e32 v10, 0
	s_mov_b32 s0, 0
.LBB35_15:                              ; =>This Inner Loop Header: Depth=1
	v_ashrrev_i32_e32 v3, 31, v2
	v_add_nc_u32_e32 v12, -8, v4
	v_mov_b32_e32 v13, v7
	v_mov_b32_e32 v14, v7
	v_lshlrev_b64 v[5:6], 2, v[2:3]
	v_add_nc_u32_e32 v2, 4, v2
	v_lshlrev_b64 v[12:13], 2, v[12:13]
	v_add_co_u32 v5, vcc_lo, s10, v5
	v_add_co_ci_u32_e64 v6, null, s11, v6, vcc_lo
	global_load_dword v3, v[5:6], off
	v_subrev_nc_u32_e32 v6, 17, v4
	v_mov_b32_e32 v5, v7
	v_lshlrev_b64 v[15:16], 2, v[6:7]
	v_lshlrev_b64 v[5:6], 2, v[4:5]
	v_add_co_u32 v15, vcc_lo, s12, v15
	v_add_co_ci_u32_e64 v16, null, s13, v16, vcc_lo
	v_add_co_u32 v12, vcc_lo, s12, v12
	v_add_co_ci_u32_e64 v13, null, s13, v13, vcc_lo
	s_clause 0x1
	global_load_dwordx2 v[15:16], v[15:16], off
	global_load_dword v8, v[12:13], off
	v_add_co_u32 v17, vcc_lo, s12, v5
	v_add_co_ci_u32_e64 v18, null, s13, v6, vcc_lo
	s_waitcnt vmcnt(2)
	v_subrev_nc_u32_e32 v3, s18, v3
	v_lshl_add_u32 v13, v3, 3, v3
	v_add_nc_u32_e32 v6, 1, v13
	v_lshlrev_b64 v[19:20], 2, v[13:14]
	v_lshlrev_b64 v[21:22], 2, v[6:7]
	v_add_nc_u32_e32 v6, -7, v4
	v_add_co_u32 v19, vcc_lo, s14, v19
	v_add_co_ci_u32_e64 v20, null, s15, v20, vcc_lo
	v_lshlrev_b64 v[23:24], 2, v[6:7]
	v_add_nc_u32_e32 v6, -15, v4
	global_load_dword v3, v[19:20], off
	v_add_co_u32 v19, vcc_lo, s14, v21
	v_add_co_ci_u32_e64 v20, null, s15, v22, vcc_lo
	v_lshlrev_b64 v[21:22], 2, v[6:7]
	v_add_nc_u32_e32 v6, 2, v13
	v_add_co_u32 v23, vcc_lo, s12, v23
	v_add_co_ci_u32_e64 v24, null, s13, v24, vcc_lo
	global_load_dword v14, v[19:20], off
	v_lshlrev_b64 v[19:20], 2, v[6:7]
	v_add_co_u32 v21, vcc_lo, s12, v21
	v_add_nc_u32_e32 v6, -6, v4
	v_add_co_ci_u32_e64 v22, null, s13, v22, vcc_lo
	v_add_co_u32 v19, vcc_lo, s14, v19
	s_clause 0x1
	global_load_dword v25, v[23:24], off
	global_load_dword v26, v[21:22], off
	v_lshlrev_b64 v[23:24], 2, v[6:7]
	v_add_co_ci_u32_e64 v20, null, s15, v20, vcc_lo
	v_add_nc_u32_e32 v6, -14, v4
	global_load_dword v27, v[19:20], off
	v_add_co_u32 v19, vcc_lo, s12, v23
	v_add_co_ci_u32_e64 v20, null, s13, v24, vcc_lo
	global_load_dword v28, v[19:20], off
	v_lshlrev_b64 v[21:22], 2, v[6:7]
	v_add_nc_u32_e32 v6, 3, v13
	v_lshlrev_b64 v[23:24], 2, v[6:7]
	v_add_nc_u32_e32 v6, -5, v4
	v_add_co_u32 v21, vcc_lo, s12, v21
	v_add_co_ci_u32_e64 v22, null, s13, v22, vcc_lo
	v_lshlrev_b64 v[19:20], 2, v[6:7]
	v_add_nc_u32_e32 v6, -13, v4
	global_load_dword v29, v[21:22], off
	v_add_co_u32 v21, vcc_lo, s14, v23
	v_add_co_ci_u32_e64 v22, null, s15, v24, vcc_lo
	v_lshlrev_b64 v[23:24], 2, v[6:7]
	v_add_nc_u32_e32 v6, 4, v13
	v_add_co_u32 v19, vcc_lo, s12, v19
	v_add_co_ci_u32_e64 v20, null, s13, v20, vcc_lo
	global_load_dword v30, v[21:22], off
	v_lshlrev_b64 v[21:22], 2, v[6:7]
	v_add_nc_u32_e32 v6, -4, v4
	global_load_dword v31, v[19:20], off
	v_add_co_u32 v19, vcc_lo, s12, v23
	v_add_co_ci_u32_e64 v20, null, s13, v24, vcc_lo
	v_lshlrev_b64 v[23:24], 2, v[6:7]
	v_add_nc_u32_e32 v6, -12, v4
	v_add_co_u32 v21, vcc_lo, s14, v21
	v_add_co_ci_u32_e64 v22, null, s15, v22, vcc_lo
	global_load_dword v32, v[19:20], off
	v_lshlrev_b64 v[19:20], 2, v[6:7]
	v_add_nc_u32_e32 v6, 5, v13
	global_load_dword v33, v[21:22], off
	v_add_co_u32 v21, vcc_lo, s12, v23
	v_add_co_ci_u32_e64 v22, null, s13, v24, vcc_lo
	v_add_co_u32 v19, vcc_lo, s12, v19
	v_lshlrev_b64 v[23:24], 2, v[6:7]
	v_add_nc_u32_e32 v6, -3, v4
	v_add_co_ci_u32_e64 v20, null, s13, v20, vcc_lo
	s_clause 0x1
	global_load_dword v34, v[21:22], off
	global_load_dword v35, v[19:20], off
	v_lshlrev_b64 v[21:22], 2, v[6:7]
	v_add_nc_u32_e32 v6, -11, v4
	v_add_co_u32 v19, vcc_lo, s14, v23
	v_add_co_ci_u32_e64 v20, null, s15, v24, vcc_lo
	v_lshlrev_b64 v[23:24], 2, v[6:7]
	v_add_nc_u32_e32 v6, 6, v13
	v_add_co_u32 v21, vcc_lo, s12, v21
	v_add_co_ci_u32_e64 v22, null, s13, v22, vcc_lo
	global_load_dword v36, v[19:20], off
	v_lshlrev_b64 v[19:20], 2, v[6:7]
	v_add_nc_u32_e32 v6, -2, v4
	global_load_dword v37, v[21:22], off
	v_add_co_u32 v21, vcc_lo, s12, v23
	v_add_co_ci_u32_e64 v22, null, s13, v24, vcc_lo
	v_add_co_u32 v19, vcc_lo, s14, v19
	v_lshlrev_b64 v[23:24], 2, v[6:7]
	v_add_co_ci_u32_e64 v20, null, s15, v20, vcc_lo
	v_add_nc_u32_e32 v6, -10, v4
	global_load_dword v38, v[21:22], off
	global_load_dword v39, v[19:20], off
	v_add_co_u32 v19, vcc_lo, s12, v23
	v_add_co_ci_u32_e64 v20, null, s13, v24, vcc_lo
	global_load_dword v40, v[19:20], off
	v_lshlrev_b64 v[21:22], 2, v[6:7]
	v_add_nc_u32_e32 v6, 7, v13
	v_lshlrev_b64 v[23:24], 2, v[6:7]
	v_add_nc_u32_e32 v6, -1, v4
	v_add_co_u32 v21, vcc_lo, s12, v21
	v_add_co_ci_u32_e64 v22, null, s13, v22, vcc_lo
	v_lshlrev_b64 v[19:20], 2, v[6:7]
	v_add_nc_u32_e32 v6, -9, v4
	v_add_nc_u32_e32 v4, 0x48, v4
	global_load_dword v41, v[21:22], off
	v_add_co_u32 v21, vcc_lo, s14, v23
	v_add_co_ci_u32_e64 v22, null, s15, v24, vcc_lo
	v_lshlrev_b64 v[23:24], 2, v[6:7]
	v_add_nc_u32_e32 v6, 8, v13
	v_add_co_u32 v12, vcc_lo, s12, v19
	v_add_co_ci_u32_e64 v13, null, s13, v20, vcc_lo
	v_lshlrev_b64 v[5:6], 2, v[6:7]
	global_load_dword v19, v[21:22], off
	global_load_dword v20, v[12:13], off
	v_add_co_u32 v12, vcc_lo, s12, v23
	v_add_co_ci_u32_e64 v13, null, s13, v24, vcc_lo
	v_add_co_u32 v5, vcc_lo, s14, v5
	v_add_co_ci_u32_e64 v6, null, s15, v6, vcc_lo
	s_clause 0x1
	global_load_dword v17, v[17:18], off
	global_load_dword v12, v[12:13], off
	;; [unrolled: 1-line block ×3, first 2 shown]
	v_cmp_ge_i32_e32 vcc_lo, v2, v11
	s_or_b32 s0, vcc_lo, s0
	s_waitcnt vmcnt(23)
	v_fmac_f32_e32 v9, v15, v3
	v_fmac_f32_e32 v10, v8, v3
	s_waitcnt vmcnt(22)
	v_fmac_f32_e32 v9, v16, v14
	s_waitcnt vmcnt(21)
	;; [unrolled: 2-line block ×15, first 2 shown]
	v_fmac_f32_e32 v9, v12, v5
	v_fmac_f32_e32 v10, v17, v5
	s_andn2_b32 exec_lo, exec_lo, s0
	s_cbranch_execnz .LBB35_15
; %bb.16:
	s_or_b32 exec_lo, exec_lo, s0
.LBB35_17:
	s_or_b32 exec_lo, exec_lo, s1
.LBB35_18:
	v_mbcnt_lo_u32_b32 v2, -1, 0
	s_mov_b32 s3, -1
	v_xor_b32_e32 v3, 2, v2
	v_xor_b32_e32 v5, 1, v2
	v_cmp_gt_i32_e32 vcc_lo, 32, v3
	v_cndmask_b32_e32 v3, v2, v3, vcc_lo
	v_cmp_gt_i32_e32 vcc_lo, 32, v5
	v_lshlrev_b32_e32 v3, 2, v3
	v_cndmask_b32_e32 v2, v2, v5, vcc_lo
	v_cmp_eq_u32_e32 vcc_lo, 3, v0
	ds_bpermute_b32 v4, v3, v9
	ds_bpermute_b32 v3, v3, v10
	v_lshlrev_b32_e32 v5, 2, v2
	s_waitcnt lgkmcnt(1)
	v_add_f32_e32 v2, v9, v4
	s_waitcnt lgkmcnt(0)
	v_add_f32_e32 v3, v10, v3
	ds_bpermute_b32 v4, v5, v2
	ds_bpermute_b32 v5, v5, v3
	s_and_b32 exec_lo, exec_lo, vcc_lo
	s_cbranch_execz .LBB35_23
; %bb.19:
	s_load_dwordx2 s[0:1], s[4:5], 0x38
	s_waitcnt lgkmcnt(0)
	v_add_f32_e32 v0, v2, v4
	v_add_f32_e32 v3, v3, v5
	v_cmp_eq_f32_e64 s4, s2, 0
	v_mul_f32_e32 v2, s16, v0
	v_mul_f32_e32 v3, s16, v3
	v_lshlrev_b32_e32 v0, 1, v1
	s_and_b32 vcc_lo, exec_lo, s4
	s_cbranch_vccz .LBB35_21
; %bb.20:
	v_ashrrev_i32_e32 v1, 31, v0
	s_mov_b32 s3, 0
	v_lshlrev_b64 v[4:5], 2, v[0:1]
	v_add_co_u32 v4, vcc_lo, s0, v4
	v_add_co_ci_u32_e64 v5, null, s1, v5, vcc_lo
	global_store_dwordx2 v[4:5], v[2:3], off
.LBB35_21:
	s_andn2_b32 vcc_lo, exec_lo, s3
	s_cbranch_vccnz .LBB35_23
; %bb.22:
	v_ashrrev_i32_e32 v1, 31, v0
	v_lshlrev_b64 v[0:1], 2, v[0:1]
	v_add_co_u32 v0, vcc_lo, s0, v0
	v_add_co_ci_u32_e64 v1, null, s1, v1, vcc_lo
	global_load_dwordx2 v[4:5], v[0:1], off
	s_waitcnt vmcnt(0)
	v_fmac_f32_e32 v2, s2, v4
	v_fmac_f32_e32 v3, s2, v5
	global_store_dwordx2 v[0:1], v[2:3], off
.LBB35_23:
	s_endpgm
	.section	.rodata,"a",@progbits
	.p2align	6, 0x0
	.amdhsa_kernel _ZN9rocsparseL19gebsrmvn_2xn_kernelILj128ELj9ELj4EfEEvi20rocsparse_direction_NS_24const_host_device_scalarIT2_EEPKiS6_PKS3_S8_S4_PS3_21rocsparse_index_base_b
		.amdhsa_group_segment_fixed_size 0
		.amdhsa_private_segment_fixed_size 0
		.amdhsa_kernarg_size 72
		.amdhsa_user_sgpr_count 6
		.amdhsa_user_sgpr_private_segment_buffer 1
		.amdhsa_user_sgpr_dispatch_ptr 0
		.amdhsa_user_sgpr_queue_ptr 0
		.amdhsa_user_sgpr_kernarg_segment_ptr 1
		.amdhsa_user_sgpr_dispatch_id 0
		.amdhsa_user_sgpr_flat_scratch_init 0
		.amdhsa_user_sgpr_private_segment_size 0
		.amdhsa_wavefront_size32 1
		.amdhsa_uses_dynamic_stack 0
		.amdhsa_system_sgpr_private_segment_wavefront_offset 0
		.amdhsa_system_sgpr_workgroup_id_x 1
		.amdhsa_system_sgpr_workgroup_id_y 0
		.amdhsa_system_sgpr_workgroup_id_z 0
		.amdhsa_system_sgpr_workgroup_info 0
		.amdhsa_system_vgpr_workitem_id 0
		.amdhsa_next_free_vgpr 42
		.amdhsa_next_free_sgpr 20
		.amdhsa_reserve_vcc 1
		.amdhsa_reserve_flat_scratch 0
		.amdhsa_float_round_mode_32 0
		.amdhsa_float_round_mode_16_64 0
		.amdhsa_float_denorm_mode_32 3
		.amdhsa_float_denorm_mode_16_64 3
		.amdhsa_dx10_clamp 1
		.amdhsa_ieee_mode 1
		.amdhsa_fp16_overflow 0
		.amdhsa_workgroup_processor_mode 1
		.amdhsa_memory_ordered 1
		.amdhsa_forward_progress 1
		.amdhsa_shared_vgpr_count 0
		.amdhsa_exception_fp_ieee_invalid_op 0
		.amdhsa_exception_fp_denorm_src 0
		.amdhsa_exception_fp_ieee_div_zero 0
		.amdhsa_exception_fp_ieee_overflow 0
		.amdhsa_exception_fp_ieee_underflow 0
		.amdhsa_exception_fp_ieee_inexact 0
		.amdhsa_exception_int_div_zero 0
	.end_amdhsa_kernel
	.section	.text._ZN9rocsparseL19gebsrmvn_2xn_kernelILj128ELj9ELj4EfEEvi20rocsparse_direction_NS_24const_host_device_scalarIT2_EEPKiS6_PKS3_S8_S4_PS3_21rocsparse_index_base_b,"axG",@progbits,_ZN9rocsparseL19gebsrmvn_2xn_kernelILj128ELj9ELj4EfEEvi20rocsparse_direction_NS_24const_host_device_scalarIT2_EEPKiS6_PKS3_S8_S4_PS3_21rocsparse_index_base_b,comdat
.Lfunc_end35:
	.size	_ZN9rocsparseL19gebsrmvn_2xn_kernelILj128ELj9ELj4EfEEvi20rocsparse_direction_NS_24const_host_device_scalarIT2_EEPKiS6_PKS3_S8_S4_PS3_21rocsparse_index_base_b, .Lfunc_end35-_ZN9rocsparseL19gebsrmvn_2xn_kernelILj128ELj9ELj4EfEEvi20rocsparse_direction_NS_24const_host_device_scalarIT2_EEPKiS6_PKS3_S8_S4_PS3_21rocsparse_index_base_b
                                        ; -- End function
	.set _ZN9rocsparseL19gebsrmvn_2xn_kernelILj128ELj9ELj4EfEEvi20rocsparse_direction_NS_24const_host_device_scalarIT2_EEPKiS6_PKS3_S8_S4_PS3_21rocsparse_index_base_b.num_vgpr, 42
	.set _ZN9rocsparseL19gebsrmvn_2xn_kernelILj128ELj9ELj4EfEEvi20rocsparse_direction_NS_24const_host_device_scalarIT2_EEPKiS6_PKS3_S8_S4_PS3_21rocsparse_index_base_b.num_agpr, 0
	.set _ZN9rocsparseL19gebsrmvn_2xn_kernelILj128ELj9ELj4EfEEvi20rocsparse_direction_NS_24const_host_device_scalarIT2_EEPKiS6_PKS3_S8_S4_PS3_21rocsparse_index_base_b.numbered_sgpr, 20
	.set _ZN9rocsparseL19gebsrmvn_2xn_kernelILj128ELj9ELj4EfEEvi20rocsparse_direction_NS_24const_host_device_scalarIT2_EEPKiS6_PKS3_S8_S4_PS3_21rocsparse_index_base_b.num_named_barrier, 0
	.set _ZN9rocsparseL19gebsrmvn_2xn_kernelILj128ELj9ELj4EfEEvi20rocsparse_direction_NS_24const_host_device_scalarIT2_EEPKiS6_PKS3_S8_S4_PS3_21rocsparse_index_base_b.private_seg_size, 0
	.set _ZN9rocsparseL19gebsrmvn_2xn_kernelILj128ELj9ELj4EfEEvi20rocsparse_direction_NS_24const_host_device_scalarIT2_EEPKiS6_PKS3_S8_S4_PS3_21rocsparse_index_base_b.uses_vcc, 1
	.set _ZN9rocsparseL19gebsrmvn_2xn_kernelILj128ELj9ELj4EfEEvi20rocsparse_direction_NS_24const_host_device_scalarIT2_EEPKiS6_PKS3_S8_S4_PS3_21rocsparse_index_base_b.uses_flat_scratch, 0
	.set _ZN9rocsparseL19gebsrmvn_2xn_kernelILj128ELj9ELj4EfEEvi20rocsparse_direction_NS_24const_host_device_scalarIT2_EEPKiS6_PKS3_S8_S4_PS3_21rocsparse_index_base_b.has_dyn_sized_stack, 0
	.set _ZN9rocsparseL19gebsrmvn_2xn_kernelILj128ELj9ELj4EfEEvi20rocsparse_direction_NS_24const_host_device_scalarIT2_EEPKiS6_PKS3_S8_S4_PS3_21rocsparse_index_base_b.has_recursion, 0
	.set _ZN9rocsparseL19gebsrmvn_2xn_kernelILj128ELj9ELj4EfEEvi20rocsparse_direction_NS_24const_host_device_scalarIT2_EEPKiS6_PKS3_S8_S4_PS3_21rocsparse_index_base_b.has_indirect_call, 0
	.section	.AMDGPU.csdata,"",@progbits
; Kernel info:
; codeLenInByte = 2620
; TotalNumSgprs: 22
; NumVgprs: 42
; ScratchSize: 0
; MemoryBound: 0
; FloatMode: 240
; IeeeMode: 1
; LDSByteSize: 0 bytes/workgroup (compile time only)
; SGPRBlocks: 0
; VGPRBlocks: 5
; NumSGPRsForWavesPerEU: 22
; NumVGPRsForWavesPerEU: 42
; Occupancy: 16
; WaveLimiterHint : 1
; COMPUTE_PGM_RSRC2:SCRATCH_EN: 0
; COMPUTE_PGM_RSRC2:USER_SGPR: 6
; COMPUTE_PGM_RSRC2:TRAP_HANDLER: 0
; COMPUTE_PGM_RSRC2:TGID_X_EN: 1
; COMPUTE_PGM_RSRC2:TGID_Y_EN: 0
; COMPUTE_PGM_RSRC2:TGID_Z_EN: 0
; COMPUTE_PGM_RSRC2:TIDIG_COMP_CNT: 0
	.section	.text._ZN9rocsparseL19gebsrmvn_2xn_kernelILj128ELj9ELj8EfEEvi20rocsparse_direction_NS_24const_host_device_scalarIT2_EEPKiS6_PKS3_S8_S4_PS3_21rocsparse_index_base_b,"axG",@progbits,_ZN9rocsparseL19gebsrmvn_2xn_kernelILj128ELj9ELj8EfEEvi20rocsparse_direction_NS_24const_host_device_scalarIT2_EEPKiS6_PKS3_S8_S4_PS3_21rocsparse_index_base_b,comdat
	.globl	_ZN9rocsparseL19gebsrmvn_2xn_kernelILj128ELj9ELj8EfEEvi20rocsparse_direction_NS_24const_host_device_scalarIT2_EEPKiS6_PKS3_S8_S4_PS3_21rocsparse_index_base_b ; -- Begin function _ZN9rocsparseL19gebsrmvn_2xn_kernelILj128ELj9ELj8EfEEvi20rocsparse_direction_NS_24const_host_device_scalarIT2_EEPKiS6_PKS3_S8_S4_PS3_21rocsparse_index_base_b
	.p2align	8
	.type	_ZN9rocsparseL19gebsrmvn_2xn_kernelILj128ELj9ELj8EfEEvi20rocsparse_direction_NS_24const_host_device_scalarIT2_EEPKiS6_PKS3_S8_S4_PS3_21rocsparse_index_base_b,@function
_ZN9rocsparseL19gebsrmvn_2xn_kernelILj128ELj9ELj8EfEEvi20rocsparse_direction_NS_24const_host_device_scalarIT2_EEPKiS6_PKS3_S8_S4_PS3_21rocsparse_index_base_b: ; @_ZN9rocsparseL19gebsrmvn_2xn_kernelILj128ELj9ELj8EfEEvi20rocsparse_direction_NS_24const_host_device_scalarIT2_EEPKiS6_PKS3_S8_S4_PS3_21rocsparse_index_base_b
; %bb.0:
	s_clause 0x2
	s_load_dwordx2 s[18:19], s[4:5], 0x40
	s_load_dwordx2 s[16:17], s[4:5], 0x8
	;; [unrolled: 1-line block ×3, first 2 shown]
	s_waitcnt lgkmcnt(0)
	s_bitcmp1_b32 s19, 0
	s_cselect_b32 s0, -1, 0
	s_and_b32 vcc_lo, exec_lo, s0
	s_xor_b32 s0, s0, -1
	s_cbranch_vccnz .LBB36_2
; %bb.1:
	s_load_dword s16, s[16:17], 0x0
.LBB36_2:
	s_andn2_b32 vcc_lo, exec_lo, s0
	s_cbranch_vccnz .LBB36_4
; %bb.3:
	s_load_dword s2, s[2:3], 0x0
.LBB36_4:
	s_waitcnt lgkmcnt(0)
	v_cmp_eq_f32_e64 s0, s16, 0
	v_cmp_eq_f32_e64 s1, s2, 1.0
	s_and_b32 s0, s0, s1
	s_and_b32 vcc_lo, exec_lo, s0
	s_cbranch_vccnz .LBB36_23
; %bb.5:
	s_load_dwordx2 s[0:1], s[4:5], 0x0
	v_lshrrev_b32_e32 v1, 3, v0
	v_lshl_or_b32 v1, s6, 4, v1
	s_waitcnt lgkmcnt(0)
	v_cmp_gt_i32_e32 vcc_lo, s0, v1
	s_and_saveexec_b32 s0, vcc_lo
	s_cbranch_execz .LBB36_23
; %bb.6:
	s_load_dwordx8 s[8:15], s[4:5], 0x10
	v_ashrrev_i32_e32 v2, 31, v1
	v_and_b32_e32 v0, 7, v0
	s_cmp_lg_u32 s1, 0
	v_lshlrev_b64 v[2:3], 2, v[1:2]
	s_waitcnt lgkmcnt(0)
	v_add_co_u32 v2, vcc_lo, s8, v2
	v_add_co_ci_u32_e64 v3, null, s9, v3, vcc_lo
	global_load_dwordx2 v[2:3], v[2:3], off
	s_waitcnt vmcnt(0)
	v_subrev_nc_u32_e32 v2, s18, v2
	v_subrev_nc_u32_e32 v11, s18, v3
	v_add_nc_u32_e32 v2, v2, v0
	v_cmp_lt_i32_e64 s0, v2, v11
	s_cbranch_scc0 .LBB36_12
; %bb.7:
	v_mov_b32_e32 v9, 0
	v_mov_b32_e32 v10, 0
	s_and_saveexec_b32 s1, s0
	s_cbranch_execz .LBB36_11
; %bb.8:
	v_mad_u64_u32 v[3:4], null, v2, 18, 16
	v_mov_b32_e32 v6, 0
	v_mov_b32_e32 v7, v2
	;; [unrolled: 1-line block ×4, first 2 shown]
	s_mov_b32 s3, 0
.LBB36_9:                               ; =>This Inner Loop Header: Depth=1
	v_ashrrev_i32_e32 v8, 31, v7
	v_mov_b32_e32 v13, v6
	v_lshlrev_b64 v[4:5], 2, v[7:8]
	v_add_nc_u32_e32 v7, 8, v7
	v_add_co_u32 v4, vcc_lo, s10, v4
	v_add_co_ci_u32_e64 v5, null, s11, v5, vcc_lo
	global_load_dword v8, v[4:5], off
	v_add_nc_u32_e32 v5, -16, v3
	v_mov_b32_e32 v4, v6
	v_lshlrev_b64 v[14:15], 2, v[5:6]
	v_add_nc_u32_e32 v5, -14, v3
	v_lshlrev_b64 v[16:17], 2, v[3:4]
	v_lshlrev_b64 v[4:5], 2, v[5:6]
	v_add_co_u32 v14, vcc_lo, s12, v14
	v_add_co_ci_u32_e64 v15, null, s13, v15, vcc_lo
	v_add_co_u32 v16, vcc_lo, s12, v16
	v_add_co_ci_u32_e64 v17, null, s13, v17, vcc_lo
	;; [unrolled: 2-line block ×3, first 2 shown]
	s_clause 0x1
	global_load_dwordx2 v[14:15], v[14:15], off
	global_load_dwordx2 v[18:19], v[4:5], off
	s_waitcnt vmcnt(2)
	v_subrev_nc_u32_e32 v4, s18, v8
	v_lshl_add_u32 v12, v4, 3, v4
	v_add_nc_u32_e32 v5, 1, v12
	v_lshlrev_b64 v[20:21], 2, v[12:13]
	v_lshlrev_b64 v[22:23], 2, v[5:6]
	v_add_nc_u32_e32 v5, -12, v3
	v_add_co_u32 v20, vcc_lo, s14, v20
	v_add_co_ci_u32_e64 v21, null, s15, v21, vcc_lo
	v_add_co_u32 v22, vcc_lo, s14, v22
	v_lshlrev_b64 v[24:25], 2, v[5:6]
	v_add_nc_u32_e32 v5, 2, v12
	v_add_co_ci_u32_e64 v23, null, s15, v23, vcc_lo
	s_clause 0x1
	global_load_dword v8, v[20:21], off
	global_load_dword v36, v[22:23], off
	v_lshlrev_b64 v[20:21], 2, v[5:6]
	v_add_nc_u32_e32 v5, -10, v3
	v_add_co_u32 v22, vcc_lo, s12, v24
	v_add_co_ci_u32_e64 v23, null, s13, v25, vcc_lo
	v_lshlrev_b64 v[24:25], 2, v[5:6]
	v_add_nc_u32_e32 v5, 3, v12
	v_add_co_u32 v20, vcc_lo, s14, v20
	v_add_co_ci_u32_e64 v21, null, s15, v21, vcc_lo
	v_lshlrev_b64 v[26:27], 2, v[5:6]
	v_add_nc_u32_e32 v5, -8, v3
	global_load_dwordx2 v[22:23], v[22:23], off
	global_load_dword v37, v[20:21], off
	v_add_co_u32 v20, vcc_lo, s12, v24
	v_add_co_ci_u32_e64 v21, null, s13, v25, vcc_lo
	v_lshlrev_b64 v[24:25], 2, v[5:6]
	v_add_nc_u32_e32 v5, 4, v12
	v_add_co_u32 v26, vcc_lo, s14, v26
	v_add_co_ci_u32_e64 v27, null, s15, v27, vcc_lo
	v_lshlrev_b64 v[28:29], 2, v[5:6]
	v_add_co_u32 v24, vcc_lo, s12, v24
	v_add_co_ci_u32_e64 v25, null, s13, v25, vcc_lo
	v_add_nc_u32_e32 v5, -6, v3
	v_add_co_u32 v28, vcc_lo, s14, v28
	v_add_co_ci_u32_e64 v29, null, s15, v29, vcc_lo
	global_load_dword v38, v[26:27], off
	s_clause 0x1
	global_load_dwordx2 v[24:25], v[24:25], off
	global_load_dwordx2 v[20:21], v[20:21], off
	global_load_dword v39, v[28:29], off
	v_lshlrev_b64 v[26:27], 2, v[5:6]
	v_add_nc_u32_e32 v5, 5, v12
	v_lshlrev_b64 v[30:31], 2, v[5:6]
	v_add_nc_u32_e32 v5, -4, v3
	v_add_co_u32 v26, vcc_lo, s12, v26
	v_add_co_ci_u32_e64 v27, null, s13, v27, vcc_lo
	v_lshlrev_b64 v[28:29], 2, v[5:6]
	v_add_nc_u32_e32 v5, 6, v12
	v_add_co_u32 v30, vcc_lo, s14, v30
	v_add_co_ci_u32_e64 v31, null, s15, v31, vcc_lo
	v_lshlrev_b64 v[32:33], 2, v[5:6]
	v_add_co_u32 v28, vcc_lo, s12, v28
	v_add_co_ci_u32_e64 v29, null, s13, v29, vcc_lo
	v_add_nc_u32_e32 v5, -2, v3
	v_add_co_u32 v32, vcc_lo, s14, v32
	v_add_co_ci_u32_e64 v33, null, s15, v33, vcc_lo
	global_load_dword v40, v[30:31], off
	s_clause 0x1
	global_load_dwordx2 v[26:27], v[26:27], off
	global_load_dwordx2 v[28:29], v[28:29], off
	global_load_dword v32, v[32:33], off
	v_lshlrev_b64 v[30:31], 2, v[5:6]
	v_add_nc_u32_e32 v5, 7, v12
	v_add_nc_u32_e32 v3, 0x90, v3
	v_lshlrev_b64 v[34:35], 2, v[5:6]
	v_add_nc_u32_e32 v5, 8, v12
	v_add_co_u32 v12, vcc_lo, s12, v30
	v_add_co_ci_u32_e64 v13, null, s13, v31, vcc_lo
	v_lshlrev_b64 v[4:5], 2, v[5:6]
	v_add_co_u32 v30, vcc_lo, s14, v34
	v_add_co_ci_u32_e64 v31, null, s15, v35, vcc_lo
	global_load_dwordx2 v[12:13], v[12:13], off
	global_load_dword v30, v[30:31], off
	v_add_co_u32 v4, vcc_lo, s14, v4
	v_add_co_ci_u32_e64 v5, null, s15, v5, vcc_lo
	global_load_dwordx2 v[16:17], v[16:17], off
	global_load_dword v4, v[4:5], off
	v_cmp_ge_i32_e32 vcc_lo, v7, v11
	s_or_b32 s3, vcc_lo, s3
	s_waitcnt vmcnt(15)
	v_fmac_f32_e32 v9, v14, v8
	v_fmac_f32_e32 v10, v15, v8
	s_waitcnt vmcnt(14)
	v_fmac_f32_e32 v9, v18, v36
	v_fmac_f32_e32 v10, v19, v36
	;; [unrolled: 3-line block ×9, first 2 shown]
	s_andn2_b32 exec_lo, exec_lo, s3
	s_cbranch_execnz .LBB36_9
; %bb.10:
	s_or_b32 exec_lo, exec_lo, s3
.LBB36_11:
	s_or_b32 exec_lo, exec_lo, s1
	s_cbranch_execz .LBB36_13
	s_branch .LBB36_18
.LBB36_12:
                                        ; implicit-def: $vgpr9
                                        ; implicit-def: $vgpr10
.LBB36_13:
	v_mov_b32_e32 v9, 0
	v_mov_b32_e32 v10, 0
	s_and_saveexec_b32 s1, s0
	s_cbranch_execz .LBB36_17
; %bb.14:
	v_mad_u64_u32 v[4:5], null, v2, 18, 17
	v_mov_b32_e32 v7, 0
	v_mov_b32_e32 v9, 0
	;; [unrolled: 1-line block ×3, first 2 shown]
	s_mov_b32 s0, 0
.LBB36_15:                              ; =>This Inner Loop Header: Depth=1
	v_ashrrev_i32_e32 v3, 31, v2
	v_add_nc_u32_e32 v12, -8, v4
	v_mov_b32_e32 v13, v7
	v_mov_b32_e32 v14, v7
	v_lshlrev_b64 v[5:6], 2, v[2:3]
	v_add_nc_u32_e32 v2, 8, v2
	v_lshlrev_b64 v[12:13], 2, v[12:13]
	v_add_co_u32 v5, vcc_lo, s10, v5
	v_add_co_ci_u32_e64 v6, null, s11, v6, vcc_lo
	global_load_dword v3, v[5:6], off
	v_subrev_nc_u32_e32 v6, 17, v4
	v_mov_b32_e32 v5, v7
	v_lshlrev_b64 v[15:16], 2, v[6:7]
	v_lshlrev_b64 v[5:6], 2, v[4:5]
	v_add_co_u32 v15, vcc_lo, s12, v15
	v_add_co_ci_u32_e64 v16, null, s13, v16, vcc_lo
	v_add_co_u32 v12, vcc_lo, s12, v12
	v_add_co_ci_u32_e64 v13, null, s13, v13, vcc_lo
	s_clause 0x1
	global_load_dwordx2 v[15:16], v[15:16], off
	global_load_dword v8, v[12:13], off
	v_add_co_u32 v17, vcc_lo, s12, v5
	v_add_co_ci_u32_e64 v18, null, s13, v6, vcc_lo
	s_waitcnt vmcnt(2)
	v_subrev_nc_u32_e32 v3, s18, v3
	v_lshl_add_u32 v13, v3, 3, v3
	v_add_nc_u32_e32 v6, 1, v13
	v_lshlrev_b64 v[19:20], 2, v[13:14]
	v_lshlrev_b64 v[21:22], 2, v[6:7]
	v_add_nc_u32_e32 v6, -7, v4
	v_add_co_u32 v19, vcc_lo, s14, v19
	v_add_co_ci_u32_e64 v20, null, s15, v20, vcc_lo
	v_lshlrev_b64 v[23:24], 2, v[6:7]
	v_add_nc_u32_e32 v6, -15, v4
	global_load_dword v3, v[19:20], off
	v_add_co_u32 v19, vcc_lo, s14, v21
	v_add_co_ci_u32_e64 v20, null, s15, v22, vcc_lo
	v_lshlrev_b64 v[21:22], 2, v[6:7]
	v_add_nc_u32_e32 v6, 2, v13
	v_add_co_u32 v23, vcc_lo, s12, v23
	v_add_co_ci_u32_e64 v24, null, s13, v24, vcc_lo
	global_load_dword v14, v[19:20], off
	v_lshlrev_b64 v[19:20], 2, v[6:7]
	v_add_co_u32 v21, vcc_lo, s12, v21
	v_add_nc_u32_e32 v6, -6, v4
	v_add_co_ci_u32_e64 v22, null, s13, v22, vcc_lo
	v_add_co_u32 v19, vcc_lo, s14, v19
	s_clause 0x1
	global_load_dword v25, v[23:24], off
	global_load_dword v26, v[21:22], off
	v_lshlrev_b64 v[23:24], 2, v[6:7]
	v_add_co_ci_u32_e64 v20, null, s15, v20, vcc_lo
	v_add_nc_u32_e32 v6, -14, v4
	global_load_dword v27, v[19:20], off
	v_add_co_u32 v19, vcc_lo, s12, v23
	v_add_co_ci_u32_e64 v20, null, s13, v24, vcc_lo
	global_load_dword v28, v[19:20], off
	v_lshlrev_b64 v[21:22], 2, v[6:7]
	v_add_nc_u32_e32 v6, 3, v13
	v_lshlrev_b64 v[23:24], 2, v[6:7]
	v_add_nc_u32_e32 v6, -5, v4
	v_add_co_u32 v21, vcc_lo, s12, v21
	v_add_co_ci_u32_e64 v22, null, s13, v22, vcc_lo
	v_lshlrev_b64 v[19:20], 2, v[6:7]
	v_add_nc_u32_e32 v6, -13, v4
	global_load_dword v29, v[21:22], off
	v_add_co_u32 v21, vcc_lo, s14, v23
	v_add_co_ci_u32_e64 v22, null, s15, v24, vcc_lo
	v_lshlrev_b64 v[23:24], 2, v[6:7]
	v_add_nc_u32_e32 v6, 4, v13
	v_add_co_u32 v19, vcc_lo, s12, v19
	v_add_co_ci_u32_e64 v20, null, s13, v20, vcc_lo
	global_load_dword v30, v[21:22], off
	v_lshlrev_b64 v[21:22], 2, v[6:7]
	v_add_nc_u32_e32 v6, -4, v4
	global_load_dword v31, v[19:20], off
	v_add_co_u32 v19, vcc_lo, s12, v23
	v_add_co_ci_u32_e64 v20, null, s13, v24, vcc_lo
	v_lshlrev_b64 v[23:24], 2, v[6:7]
	v_add_nc_u32_e32 v6, -12, v4
	v_add_co_u32 v21, vcc_lo, s14, v21
	v_add_co_ci_u32_e64 v22, null, s15, v22, vcc_lo
	global_load_dword v32, v[19:20], off
	v_lshlrev_b64 v[19:20], 2, v[6:7]
	v_add_nc_u32_e32 v6, 5, v13
	global_load_dword v33, v[21:22], off
	v_add_co_u32 v21, vcc_lo, s12, v23
	v_add_co_ci_u32_e64 v22, null, s13, v24, vcc_lo
	v_add_co_u32 v19, vcc_lo, s12, v19
	v_lshlrev_b64 v[23:24], 2, v[6:7]
	v_add_nc_u32_e32 v6, -3, v4
	v_add_co_ci_u32_e64 v20, null, s13, v20, vcc_lo
	s_clause 0x1
	global_load_dword v34, v[21:22], off
	global_load_dword v35, v[19:20], off
	v_lshlrev_b64 v[21:22], 2, v[6:7]
	v_add_nc_u32_e32 v6, -11, v4
	v_add_co_u32 v19, vcc_lo, s14, v23
	v_add_co_ci_u32_e64 v20, null, s15, v24, vcc_lo
	v_lshlrev_b64 v[23:24], 2, v[6:7]
	v_add_nc_u32_e32 v6, 6, v13
	v_add_co_u32 v21, vcc_lo, s12, v21
	v_add_co_ci_u32_e64 v22, null, s13, v22, vcc_lo
	global_load_dword v36, v[19:20], off
	v_lshlrev_b64 v[19:20], 2, v[6:7]
	v_add_nc_u32_e32 v6, -2, v4
	global_load_dword v37, v[21:22], off
	v_add_co_u32 v21, vcc_lo, s12, v23
	v_add_co_ci_u32_e64 v22, null, s13, v24, vcc_lo
	v_add_co_u32 v19, vcc_lo, s14, v19
	v_lshlrev_b64 v[23:24], 2, v[6:7]
	v_add_co_ci_u32_e64 v20, null, s15, v20, vcc_lo
	v_add_nc_u32_e32 v6, -10, v4
	global_load_dword v38, v[21:22], off
	global_load_dword v39, v[19:20], off
	v_add_co_u32 v19, vcc_lo, s12, v23
	v_add_co_ci_u32_e64 v20, null, s13, v24, vcc_lo
	global_load_dword v40, v[19:20], off
	v_lshlrev_b64 v[21:22], 2, v[6:7]
	v_add_nc_u32_e32 v6, 7, v13
	v_lshlrev_b64 v[23:24], 2, v[6:7]
	v_add_nc_u32_e32 v6, -1, v4
	v_add_co_u32 v21, vcc_lo, s12, v21
	v_add_co_ci_u32_e64 v22, null, s13, v22, vcc_lo
	v_lshlrev_b64 v[19:20], 2, v[6:7]
	v_add_nc_u32_e32 v6, -9, v4
	v_add_nc_u32_e32 v4, 0x90, v4
	global_load_dword v41, v[21:22], off
	v_add_co_u32 v21, vcc_lo, s14, v23
	v_add_co_ci_u32_e64 v22, null, s15, v24, vcc_lo
	v_lshlrev_b64 v[23:24], 2, v[6:7]
	v_add_nc_u32_e32 v6, 8, v13
	v_add_co_u32 v12, vcc_lo, s12, v19
	v_add_co_ci_u32_e64 v13, null, s13, v20, vcc_lo
	v_lshlrev_b64 v[5:6], 2, v[6:7]
	global_load_dword v19, v[21:22], off
	global_load_dword v20, v[12:13], off
	v_add_co_u32 v12, vcc_lo, s12, v23
	v_add_co_ci_u32_e64 v13, null, s13, v24, vcc_lo
	v_add_co_u32 v5, vcc_lo, s14, v5
	v_add_co_ci_u32_e64 v6, null, s15, v6, vcc_lo
	s_clause 0x1
	global_load_dword v17, v[17:18], off
	global_load_dword v12, v[12:13], off
	;; [unrolled: 1-line block ×3, first 2 shown]
	v_cmp_ge_i32_e32 vcc_lo, v2, v11
	s_or_b32 s0, vcc_lo, s0
	s_waitcnt vmcnt(23)
	v_fmac_f32_e32 v9, v15, v3
	v_fmac_f32_e32 v10, v8, v3
	s_waitcnt vmcnt(22)
	v_fmac_f32_e32 v9, v16, v14
	s_waitcnt vmcnt(21)
	;; [unrolled: 2-line block ×15, first 2 shown]
	v_fmac_f32_e32 v9, v12, v5
	v_fmac_f32_e32 v10, v17, v5
	s_andn2_b32 exec_lo, exec_lo, s0
	s_cbranch_execnz .LBB36_15
; %bb.16:
	s_or_b32 exec_lo, exec_lo, s0
.LBB36_17:
	s_or_b32 exec_lo, exec_lo, s1
.LBB36_18:
	v_mbcnt_lo_u32_b32 v2, -1, 0
	s_mov_b32 s3, -1
	v_xor_b32_e32 v3, 4, v2
	v_xor_b32_e32 v5, 2, v2
	;; [unrolled: 1-line block ×3, first 2 shown]
	v_cmp_gt_i32_e32 vcc_lo, 32, v3
	v_cndmask_b32_e32 v3, v2, v3, vcc_lo
	v_cmp_gt_i32_e32 vcc_lo, 32, v5
	v_lshlrev_b32_e32 v3, 2, v3
	v_cndmask_b32_e32 v5, v2, v5, vcc_lo
	v_cmp_gt_i32_e32 vcc_lo, 32, v7
	ds_bpermute_b32 v4, v3, v9
	ds_bpermute_b32 v3, v3, v10
	v_lshlrev_b32_e32 v5, 2, v5
	v_cndmask_b32_e32 v2, v2, v7, vcc_lo
	v_cmp_eq_u32_e32 vcc_lo, 7, v0
	v_lshlrev_b32_e32 v7, 2, v2
	s_waitcnt lgkmcnt(1)
	v_add_f32_e32 v4, v9, v4
	s_waitcnt lgkmcnt(0)
	v_add_f32_e32 v3, v10, v3
	ds_bpermute_b32 v6, v5, v4
	ds_bpermute_b32 v5, v5, v3
	s_waitcnt lgkmcnt(1)
	v_add_f32_e32 v2, v4, v6
	s_waitcnt lgkmcnt(0)
	v_add_f32_e32 v3, v3, v5
	ds_bpermute_b32 v4, v7, v2
	ds_bpermute_b32 v5, v7, v3
	s_and_b32 exec_lo, exec_lo, vcc_lo
	s_cbranch_execz .LBB36_23
; %bb.19:
	s_load_dwordx2 s[0:1], s[4:5], 0x38
	s_waitcnt lgkmcnt(0)
	v_add_f32_e32 v0, v2, v4
	v_add_f32_e32 v3, v3, v5
	v_cmp_eq_f32_e64 s4, s2, 0
	v_mul_f32_e32 v2, s16, v0
	v_mul_f32_e32 v3, s16, v3
	v_lshlrev_b32_e32 v0, 1, v1
	s_and_b32 vcc_lo, exec_lo, s4
	s_cbranch_vccz .LBB36_21
; %bb.20:
	v_ashrrev_i32_e32 v1, 31, v0
	s_mov_b32 s3, 0
	v_lshlrev_b64 v[4:5], 2, v[0:1]
	v_add_co_u32 v4, vcc_lo, s0, v4
	v_add_co_ci_u32_e64 v5, null, s1, v5, vcc_lo
	global_store_dwordx2 v[4:5], v[2:3], off
.LBB36_21:
	s_andn2_b32 vcc_lo, exec_lo, s3
	s_cbranch_vccnz .LBB36_23
; %bb.22:
	v_ashrrev_i32_e32 v1, 31, v0
	v_lshlrev_b64 v[0:1], 2, v[0:1]
	v_add_co_u32 v0, vcc_lo, s0, v0
	v_add_co_ci_u32_e64 v1, null, s1, v1, vcc_lo
	global_load_dwordx2 v[4:5], v[0:1], off
	s_waitcnt vmcnt(0)
	v_fmac_f32_e32 v2, s2, v4
	v_fmac_f32_e32 v3, s2, v5
	global_store_dwordx2 v[0:1], v[2:3], off
.LBB36_23:
	s_endpgm
	.section	.rodata,"a",@progbits
	.p2align	6, 0x0
	.amdhsa_kernel _ZN9rocsparseL19gebsrmvn_2xn_kernelILj128ELj9ELj8EfEEvi20rocsparse_direction_NS_24const_host_device_scalarIT2_EEPKiS6_PKS3_S8_S4_PS3_21rocsparse_index_base_b
		.amdhsa_group_segment_fixed_size 0
		.amdhsa_private_segment_fixed_size 0
		.amdhsa_kernarg_size 72
		.amdhsa_user_sgpr_count 6
		.amdhsa_user_sgpr_private_segment_buffer 1
		.amdhsa_user_sgpr_dispatch_ptr 0
		.amdhsa_user_sgpr_queue_ptr 0
		.amdhsa_user_sgpr_kernarg_segment_ptr 1
		.amdhsa_user_sgpr_dispatch_id 0
		.amdhsa_user_sgpr_flat_scratch_init 0
		.amdhsa_user_sgpr_private_segment_size 0
		.amdhsa_wavefront_size32 1
		.amdhsa_uses_dynamic_stack 0
		.amdhsa_system_sgpr_private_segment_wavefront_offset 0
		.amdhsa_system_sgpr_workgroup_id_x 1
		.amdhsa_system_sgpr_workgroup_id_y 0
		.amdhsa_system_sgpr_workgroup_id_z 0
		.amdhsa_system_sgpr_workgroup_info 0
		.amdhsa_system_vgpr_workitem_id 0
		.amdhsa_next_free_vgpr 42
		.amdhsa_next_free_sgpr 20
		.amdhsa_reserve_vcc 1
		.amdhsa_reserve_flat_scratch 0
		.amdhsa_float_round_mode_32 0
		.amdhsa_float_round_mode_16_64 0
		.amdhsa_float_denorm_mode_32 3
		.amdhsa_float_denorm_mode_16_64 3
		.amdhsa_dx10_clamp 1
		.amdhsa_ieee_mode 1
		.amdhsa_fp16_overflow 0
		.amdhsa_workgroup_processor_mode 1
		.amdhsa_memory_ordered 1
		.amdhsa_forward_progress 1
		.amdhsa_shared_vgpr_count 0
		.amdhsa_exception_fp_ieee_invalid_op 0
		.amdhsa_exception_fp_denorm_src 0
		.amdhsa_exception_fp_ieee_div_zero 0
		.amdhsa_exception_fp_ieee_overflow 0
		.amdhsa_exception_fp_ieee_underflow 0
		.amdhsa_exception_fp_ieee_inexact 0
		.amdhsa_exception_int_div_zero 0
	.end_amdhsa_kernel
	.section	.text._ZN9rocsparseL19gebsrmvn_2xn_kernelILj128ELj9ELj8EfEEvi20rocsparse_direction_NS_24const_host_device_scalarIT2_EEPKiS6_PKS3_S8_S4_PS3_21rocsparse_index_base_b,"axG",@progbits,_ZN9rocsparseL19gebsrmvn_2xn_kernelILj128ELj9ELj8EfEEvi20rocsparse_direction_NS_24const_host_device_scalarIT2_EEPKiS6_PKS3_S8_S4_PS3_21rocsparse_index_base_b,comdat
.Lfunc_end36:
	.size	_ZN9rocsparseL19gebsrmvn_2xn_kernelILj128ELj9ELj8EfEEvi20rocsparse_direction_NS_24const_host_device_scalarIT2_EEPKiS6_PKS3_S8_S4_PS3_21rocsparse_index_base_b, .Lfunc_end36-_ZN9rocsparseL19gebsrmvn_2xn_kernelILj128ELj9ELj8EfEEvi20rocsparse_direction_NS_24const_host_device_scalarIT2_EEPKiS6_PKS3_S8_S4_PS3_21rocsparse_index_base_b
                                        ; -- End function
	.set _ZN9rocsparseL19gebsrmvn_2xn_kernelILj128ELj9ELj8EfEEvi20rocsparse_direction_NS_24const_host_device_scalarIT2_EEPKiS6_PKS3_S8_S4_PS3_21rocsparse_index_base_b.num_vgpr, 42
	.set _ZN9rocsparseL19gebsrmvn_2xn_kernelILj128ELj9ELj8EfEEvi20rocsparse_direction_NS_24const_host_device_scalarIT2_EEPKiS6_PKS3_S8_S4_PS3_21rocsparse_index_base_b.num_agpr, 0
	.set _ZN9rocsparseL19gebsrmvn_2xn_kernelILj128ELj9ELj8EfEEvi20rocsparse_direction_NS_24const_host_device_scalarIT2_EEPKiS6_PKS3_S8_S4_PS3_21rocsparse_index_base_b.numbered_sgpr, 20
	.set _ZN9rocsparseL19gebsrmvn_2xn_kernelILj128ELj9ELj8EfEEvi20rocsparse_direction_NS_24const_host_device_scalarIT2_EEPKiS6_PKS3_S8_S4_PS3_21rocsparse_index_base_b.num_named_barrier, 0
	.set _ZN9rocsparseL19gebsrmvn_2xn_kernelILj128ELj9ELj8EfEEvi20rocsparse_direction_NS_24const_host_device_scalarIT2_EEPKiS6_PKS3_S8_S4_PS3_21rocsparse_index_base_b.private_seg_size, 0
	.set _ZN9rocsparseL19gebsrmvn_2xn_kernelILj128ELj9ELj8EfEEvi20rocsparse_direction_NS_24const_host_device_scalarIT2_EEPKiS6_PKS3_S8_S4_PS3_21rocsparse_index_base_b.uses_vcc, 1
	.set _ZN9rocsparseL19gebsrmvn_2xn_kernelILj128ELj9ELj8EfEEvi20rocsparse_direction_NS_24const_host_device_scalarIT2_EEPKiS6_PKS3_S8_S4_PS3_21rocsparse_index_base_b.uses_flat_scratch, 0
	.set _ZN9rocsparseL19gebsrmvn_2xn_kernelILj128ELj9ELj8EfEEvi20rocsparse_direction_NS_24const_host_device_scalarIT2_EEPKiS6_PKS3_S8_S4_PS3_21rocsparse_index_base_b.has_dyn_sized_stack, 0
	.set _ZN9rocsparseL19gebsrmvn_2xn_kernelILj128ELj9ELj8EfEEvi20rocsparse_direction_NS_24const_host_device_scalarIT2_EEPKiS6_PKS3_S8_S4_PS3_21rocsparse_index_base_b.has_recursion, 0
	.set _ZN9rocsparseL19gebsrmvn_2xn_kernelILj128ELj9ELj8EfEEvi20rocsparse_direction_NS_24const_host_device_scalarIT2_EEPKiS6_PKS3_S8_S4_PS3_21rocsparse_index_base_b.has_indirect_call, 0
	.section	.AMDGPU.csdata,"",@progbits
; Kernel info:
; codeLenInByte = 2668
; TotalNumSgprs: 22
; NumVgprs: 42
; ScratchSize: 0
; MemoryBound: 0
; FloatMode: 240
; IeeeMode: 1
; LDSByteSize: 0 bytes/workgroup (compile time only)
; SGPRBlocks: 0
; VGPRBlocks: 5
; NumSGPRsForWavesPerEU: 22
; NumVGPRsForWavesPerEU: 42
; Occupancy: 16
; WaveLimiterHint : 1
; COMPUTE_PGM_RSRC2:SCRATCH_EN: 0
; COMPUTE_PGM_RSRC2:USER_SGPR: 6
; COMPUTE_PGM_RSRC2:TRAP_HANDLER: 0
; COMPUTE_PGM_RSRC2:TGID_X_EN: 1
; COMPUTE_PGM_RSRC2:TGID_Y_EN: 0
; COMPUTE_PGM_RSRC2:TGID_Z_EN: 0
; COMPUTE_PGM_RSRC2:TIDIG_COMP_CNT: 0
	.section	.text._ZN9rocsparseL19gebsrmvn_2xn_kernelILj128ELj9ELj16EfEEvi20rocsparse_direction_NS_24const_host_device_scalarIT2_EEPKiS6_PKS3_S8_S4_PS3_21rocsparse_index_base_b,"axG",@progbits,_ZN9rocsparseL19gebsrmvn_2xn_kernelILj128ELj9ELj16EfEEvi20rocsparse_direction_NS_24const_host_device_scalarIT2_EEPKiS6_PKS3_S8_S4_PS3_21rocsparse_index_base_b,comdat
	.globl	_ZN9rocsparseL19gebsrmvn_2xn_kernelILj128ELj9ELj16EfEEvi20rocsparse_direction_NS_24const_host_device_scalarIT2_EEPKiS6_PKS3_S8_S4_PS3_21rocsparse_index_base_b ; -- Begin function _ZN9rocsparseL19gebsrmvn_2xn_kernelILj128ELj9ELj16EfEEvi20rocsparse_direction_NS_24const_host_device_scalarIT2_EEPKiS6_PKS3_S8_S4_PS3_21rocsparse_index_base_b
	.p2align	8
	.type	_ZN9rocsparseL19gebsrmvn_2xn_kernelILj128ELj9ELj16EfEEvi20rocsparse_direction_NS_24const_host_device_scalarIT2_EEPKiS6_PKS3_S8_S4_PS3_21rocsparse_index_base_b,@function
_ZN9rocsparseL19gebsrmvn_2xn_kernelILj128ELj9ELj16EfEEvi20rocsparse_direction_NS_24const_host_device_scalarIT2_EEPKiS6_PKS3_S8_S4_PS3_21rocsparse_index_base_b: ; @_ZN9rocsparseL19gebsrmvn_2xn_kernelILj128ELj9ELj16EfEEvi20rocsparse_direction_NS_24const_host_device_scalarIT2_EEPKiS6_PKS3_S8_S4_PS3_21rocsparse_index_base_b
; %bb.0:
	s_clause 0x2
	s_load_dwordx2 s[18:19], s[4:5], 0x40
	s_load_dwordx2 s[16:17], s[4:5], 0x8
	;; [unrolled: 1-line block ×3, first 2 shown]
	s_waitcnt lgkmcnt(0)
	s_bitcmp1_b32 s19, 0
	s_cselect_b32 s0, -1, 0
	s_and_b32 vcc_lo, exec_lo, s0
	s_xor_b32 s0, s0, -1
	s_cbranch_vccnz .LBB37_2
; %bb.1:
	s_load_dword s16, s[16:17], 0x0
.LBB37_2:
	s_andn2_b32 vcc_lo, exec_lo, s0
	s_cbranch_vccnz .LBB37_4
; %bb.3:
	s_load_dword s2, s[2:3], 0x0
.LBB37_4:
	s_waitcnt lgkmcnt(0)
	v_cmp_eq_f32_e64 s0, s16, 0
	v_cmp_eq_f32_e64 s1, s2, 1.0
	s_and_b32 s0, s0, s1
	s_and_b32 vcc_lo, exec_lo, s0
	s_cbranch_vccnz .LBB37_23
; %bb.5:
	s_load_dwordx2 s[0:1], s[4:5], 0x0
	v_lshrrev_b32_e32 v1, 4, v0
	v_lshl_or_b32 v1, s6, 3, v1
	s_waitcnt lgkmcnt(0)
	v_cmp_gt_i32_e32 vcc_lo, s0, v1
	s_and_saveexec_b32 s0, vcc_lo
	s_cbranch_execz .LBB37_23
; %bb.6:
	s_load_dwordx8 s[8:15], s[4:5], 0x10
	v_ashrrev_i32_e32 v2, 31, v1
	v_and_b32_e32 v0, 15, v0
	s_cmp_lg_u32 s1, 0
	v_lshlrev_b64 v[2:3], 2, v[1:2]
	s_waitcnt lgkmcnt(0)
	v_add_co_u32 v2, vcc_lo, s8, v2
	v_add_co_ci_u32_e64 v3, null, s9, v3, vcc_lo
	global_load_dwordx2 v[2:3], v[2:3], off
	s_waitcnt vmcnt(0)
	v_subrev_nc_u32_e32 v2, s18, v2
	v_subrev_nc_u32_e32 v11, s18, v3
	v_add_nc_u32_e32 v2, v2, v0
	v_cmp_lt_i32_e64 s0, v2, v11
	s_cbranch_scc0 .LBB37_12
; %bb.7:
	v_mov_b32_e32 v9, 0
	v_mov_b32_e32 v10, 0
	s_and_saveexec_b32 s1, s0
	s_cbranch_execz .LBB37_11
; %bb.8:
	v_mad_u64_u32 v[3:4], null, v2, 18, 16
	v_mov_b32_e32 v6, 0
	v_mov_b32_e32 v7, v2
	;; [unrolled: 1-line block ×4, first 2 shown]
	s_mov_b32 s3, 0
.LBB37_9:                               ; =>This Inner Loop Header: Depth=1
	v_ashrrev_i32_e32 v8, 31, v7
	v_mov_b32_e32 v13, v6
	v_lshlrev_b64 v[4:5], 2, v[7:8]
	v_add_nc_u32_e32 v7, 16, v7
	v_add_co_u32 v4, vcc_lo, s10, v4
	v_add_co_ci_u32_e64 v5, null, s11, v5, vcc_lo
	global_load_dword v8, v[4:5], off
	v_add_nc_u32_e32 v5, -16, v3
	v_mov_b32_e32 v4, v6
	v_lshlrev_b64 v[14:15], 2, v[5:6]
	v_add_nc_u32_e32 v5, -14, v3
	v_lshlrev_b64 v[16:17], 2, v[3:4]
	v_lshlrev_b64 v[4:5], 2, v[5:6]
	v_add_co_u32 v14, vcc_lo, s12, v14
	v_add_co_ci_u32_e64 v15, null, s13, v15, vcc_lo
	v_add_co_u32 v16, vcc_lo, s12, v16
	v_add_co_ci_u32_e64 v17, null, s13, v17, vcc_lo
	;; [unrolled: 2-line block ×3, first 2 shown]
	s_clause 0x1
	global_load_dwordx2 v[14:15], v[14:15], off
	global_load_dwordx2 v[18:19], v[4:5], off
	s_waitcnt vmcnt(2)
	v_subrev_nc_u32_e32 v4, s18, v8
	v_lshl_add_u32 v12, v4, 3, v4
	v_add_nc_u32_e32 v5, 1, v12
	v_lshlrev_b64 v[20:21], 2, v[12:13]
	v_lshlrev_b64 v[22:23], 2, v[5:6]
	v_add_nc_u32_e32 v5, -12, v3
	v_add_co_u32 v20, vcc_lo, s14, v20
	v_add_co_ci_u32_e64 v21, null, s15, v21, vcc_lo
	v_add_co_u32 v22, vcc_lo, s14, v22
	v_lshlrev_b64 v[24:25], 2, v[5:6]
	v_add_nc_u32_e32 v5, 2, v12
	v_add_co_ci_u32_e64 v23, null, s15, v23, vcc_lo
	s_clause 0x1
	global_load_dword v8, v[20:21], off
	global_load_dword v36, v[22:23], off
	v_lshlrev_b64 v[20:21], 2, v[5:6]
	v_add_nc_u32_e32 v5, -10, v3
	v_add_co_u32 v22, vcc_lo, s12, v24
	v_add_co_ci_u32_e64 v23, null, s13, v25, vcc_lo
	v_lshlrev_b64 v[24:25], 2, v[5:6]
	v_add_nc_u32_e32 v5, 3, v12
	v_add_co_u32 v20, vcc_lo, s14, v20
	v_add_co_ci_u32_e64 v21, null, s15, v21, vcc_lo
	v_lshlrev_b64 v[26:27], 2, v[5:6]
	v_add_nc_u32_e32 v5, -8, v3
	global_load_dwordx2 v[22:23], v[22:23], off
	global_load_dword v37, v[20:21], off
	v_add_co_u32 v20, vcc_lo, s12, v24
	v_add_co_ci_u32_e64 v21, null, s13, v25, vcc_lo
	v_lshlrev_b64 v[24:25], 2, v[5:6]
	v_add_nc_u32_e32 v5, 4, v12
	v_add_co_u32 v26, vcc_lo, s14, v26
	v_add_co_ci_u32_e64 v27, null, s15, v27, vcc_lo
	v_lshlrev_b64 v[28:29], 2, v[5:6]
	v_add_co_u32 v24, vcc_lo, s12, v24
	v_add_co_ci_u32_e64 v25, null, s13, v25, vcc_lo
	v_add_nc_u32_e32 v5, -6, v3
	v_add_co_u32 v28, vcc_lo, s14, v28
	v_add_co_ci_u32_e64 v29, null, s15, v29, vcc_lo
	global_load_dword v38, v[26:27], off
	s_clause 0x1
	global_load_dwordx2 v[24:25], v[24:25], off
	global_load_dwordx2 v[20:21], v[20:21], off
	global_load_dword v39, v[28:29], off
	v_lshlrev_b64 v[26:27], 2, v[5:6]
	v_add_nc_u32_e32 v5, 5, v12
	v_lshlrev_b64 v[30:31], 2, v[5:6]
	v_add_nc_u32_e32 v5, -4, v3
	v_add_co_u32 v26, vcc_lo, s12, v26
	v_add_co_ci_u32_e64 v27, null, s13, v27, vcc_lo
	v_lshlrev_b64 v[28:29], 2, v[5:6]
	v_add_nc_u32_e32 v5, 6, v12
	v_add_co_u32 v30, vcc_lo, s14, v30
	v_add_co_ci_u32_e64 v31, null, s15, v31, vcc_lo
	v_lshlrev_b64 v[32:33], 2, v[5:6]
	v_add_co_u32 v28, vcc_lo, s12, v28
	v_add_co_ci_u32_e64 v29, null, s13, v29, vcc_lo
	v_add_nc_u32_e32 v5, -2, v3
	v_add_co_u32 v32, vcc_lo, s14, v32
	v_add_co_ci_u32_e64 v33, null, s15, v33, vcc_lo
	global_load_dword v40, v[30:31], off
	s_clause 0x1
	global_load_dwordx2 v[26:27], v[26:27], off
	global_load_dwordx2 v[28:29], v[28:29], off
	global_load_dword v32, v[32:33], off
	v_lshlrev_b64 v[30:31], 2, v[5:6]
	v_add_nc_u32_e32 v5, 7, v12
	v_add_nc_u32_e32 v3, 0x120, v3
	v_lshlrev_b64 v[34:35], 2, v[5:6]
	v_add_nc_u32_e32 v5, 8, v12
	v_add_co_u32 v12, vcc_lo, s12, v30
	v_add_co_ci_u32_e64 v13, null, s13, v31, vcc_lo
	v_lshlrev_b64 v[4:5], 2, v[5:6]
	v_add_co_u32 v30, vcc_lo, s14, v34
	v_add_co_ci_u32_e64 v31, null, s15, v35, vcc_lo
	global_load_dwordx2 v[12:13], v[12:13], off
	global_load_dword v30, v[30:31], off
	v_add_co_u32 v4, vcc_lo, s14, v4
	v_add_co_ci_u32_e64 v5, null, s15, v5, vcc_lo
	global_load_dwordx2 v[16:17], v[16:17], off
	global_load_dword v4, v[4:5], off
	v_cmp_ge_i32_e32 vcc_lo, v7, v11
	s_or_b32 s3, vcc_lo, s3
	s_waitcnt vmcnt(15)
	v_fmac_f32_e32 v9, v14, v8
	v_fmac_f32_e32 v10, v15, v8
	s_waitcnt vmcnt(14)
	v_fmac_f32_e32 v9, v18, v36
	v_fmac_f32_e32 v10, v19, v36
	;; [unrolled: 3-line block ×9, first 2 shown]
	s_andn2_b32 exec_lo, exec_lo, s3
	s_cbranch_execnz .LBB37_9
; %bb.10:
	s_or_b32 exec_lo, exec_lo, s3
.LBB37_11:
	s_or_b32 exec_lo, exec_lo, s1
	s_cbranch_execz .LBB37_13
	s_branch .LBB37_18
.LBB37_12:
                                        ; implicit-def: $vgpr9
                                        ; implicit-def: $vgpr10
.LBB37_13:
	v_mov_b32_e32 v9, 0
	v_mov_b32_e32 v10, 0
	s_and_saveexec_b32 s1, s0
	s_cbranch_execz .LBB37_17
; %bb.14:
	v_mad_u64_u32 v[4:5], null, v2, 18, 17
	v_mov_b32_e32 v7, 0
	v_mov_b32_e32 v9, 0
	;; [unrolled: 1-line block ×3, first 2 shown]
	s_mov_b32 s0, 0
.LBB37_15:                              ; =>This Inner Loop Header: Depth=1
	v_ashrrev_i32_e32 v3, 31, v2
	v_add_nc_u32_e32 v12, -8, v4
	v_mov_b32_e32 v13, v7
	v_mov_b32_e32 v14, v7
	v_lshlrev_b64 v[5:6], 2, v[2:3]
	v_add_nc_u32_e32 v2, 16, v2
	v_lshlrev_b64 v[12:13], 2, v[12:13]
	v_add_co_u32 v5, vcc_lo, s10, v5
	v_add_co_ci_u32_e64 v6, null, s11, v6, vcc_lo
	global_load_dword v3, v[5:6], off
	v_subrev_nc_u32_e32 v6, 17, v4
	v_mov_b32_e32 v5, v7
	v_lshlrev_b64 v[15:16], 2, v[6:7]
	v_lshlrev_b64 v[5:6], 2, v[4:5]
	v_add_co_u32 v15, vcc_lo, s12, v15
	v_add_co_ci_u32_e64 v16, null, s13, v16, vcc_lo
	v_add_co_u32 v12, vcc_lo, s12, v12
	v_add_co_ci_u32_e64 v13, null, s13, v13, vcc_lo
	s_clause 0x1
	global_load_dwordx2 v[15:16], v[15:16], off
	global_load_dword v8, v[12:13], off
	v_add_co_u32 v17, vcc_lo, s12, v5
	v_add_co_ci_u32_e64 v18, null, s13, v6, vcc_lo
	s_waitcnt vmcnt(2)
	v_subrev_nc_u32_e32 v3, s18, v3
	v_lshl_add_u32 v13, v3, 3, v3
	v_add_nc_u32_e32 v6, 1, v13
	v_lshlrev_b64 v[19:20], 2, v[13:14]
	v_lshlrev_b64 v[21:22], 2, v[6:7]
	v_add_nc_u32_e32 v6, -7, v4
	v_add_co_u32 v19, vcc_lo, s14, v19
	v_add_co_ci_u32_e64 v20, null, s15, v20, vcc_lo
	v_lshlrev_b64 v[23:24], 2, v[6:7]
	v_add_nc_u32_e32 v6, -15, v4
	global_load_dword v3, v[19:20], off
	v_add_co_u32 v19, vcc_lo, s14, v21
	v_add_co_ci_u32_e64 v20, null, s15, v22, vcc_lo
	v_lshlrev_b64 v[21:22], 2, v[6:7]
	v_add_nc_u32_e32 v6, 2, v13
	v_add_co_u32 v23, vcc_lo, s12, v23
	v_add_co_ci_u32_e64 v24, null, s13, v24, vcc_lo
	global_load_dword v14, v[19:20], off
	v_lshlrev_b64 v[19:20], 2, v[6:7]
	v_add_co_u32 v21, vcc_lo, s12, v21
	v_add_nc_u32_e32 v6, -6, v4
	v_add_co_ci_u32_e64 v22, null, s13, v22, vcc_lo
	v_add_co_u32 v19, vcc_lo, s14, v19
	s_clause 0x1
	global_load_dword v25, v[23:24], off
	global_load_dword v26, v[21:22], off
	v_lshlrev_b64 v[23:24], 2, v[6:7]
	v_add_co_ci_u32_e64 v20, null, s15, v20, vcc_lo
	v_add_nc_u32_e32 v6, -14, v4
	global_load_dword v27, v[19:20], off
	v_add_co_u32 v19, vcc_lo, s12, v23
	v_add_co_ci_u32_e64 v20, null, s13, v24, vcc_lo
	global_load_dword v28, v[19:20], off
	v_lshlrev_b64 v[21:22], 2, v[6:7]
	v_add_nc_u32_e32 v6, 3, v13
	v_lshlrev_b64 v[23:24], 2, v[6:7]
	v_add_nc_u32_e32 v6, -5, v4
	v_add_co_u32 v21, vcc_lo, s12, v21
	v_add_co_ci_u32_e64 v22, null, s13, v22, vcc_lo
	v_lshlrev_b64 v[19:20], 2, v[6:7]
	v_add_nc_u32_e32 v6, -13, v4
	global_load_dword v29, v[21:22], off
	v_add_co_u32 v21, vcc_lo, s14, v23
	v_add_co_ci_u32_e64 v22, null, s15, v24, vcc_lo
	v_lshlrev_b64 v[23:24], 2, v[6:7]
	v_add_nc_u32_e32 v6, 4, v13
	v_add_co_u32 v19, vcc_lo, s12, v19
	v_add_co_ci_u32_e64 v20, null, s13, v20, vcc_lo
	global_load_dword v30, v[21:22], off
	v_lshlrev_b64 v[21:22], 2, v[6:7]
	v_add_nc_u32_e32 v6, -4, v4
	global_load_dword v31, v[19:20], off
	v_add_co_u32 v19, vcc_lo, s12, v23
	v_add_co_ci_u32_e64 v20, null, s13, v24, vcc_lo
	v_lshlrev_b64 v[23:24], 2, v[6:7]
	v_add_nc_u32_e32 v6, -12, v4
	v_add_co_u32 v21, vcc_lo, s14, v21
	v_add_co_ci_u32_e64 v22, null, s15, v22, vcc_lo
	global_load_dword v32, v[19:20], off
	v_lshlrev_b64 v[19:20], 2, v[6:7]
	v_add_nc_u32_e32 v6, 5, v13
	global_load_dword v33, v[21:22], off
	v_add_co_u32 v21, vcc_lo, s12, v23
	v_add_co_ci_u32_e64 v22, null, s13, v24, vcc_lo
	v_add_co_u32 v19, vcc_lo, s12, v19
	v_lshlrev_b64 v[23:24], 2, v[6:7]
	v_add_nc_u32_e32 v6, -3, v4
	v_add_co_ci_u32_e64 v20, null, s13, v20, vcc_lo
	s_clause 0x1
	global_load_dword v34, v[21:22], off
	global_load_dword v35, v[19:20], off
	v_lshlrev_b64 v[21:22], 2, v[6:7]
	v_add_nc_u32_e32 v6, -11, v4
	v_add_co_u32 v19, vcc_lo, s14, v23
	v_add_co_ci_u32_e64 v20, null, s15, v24, vcc_lo
	v_lshlrev_b64 v[23:24], 2, v[6:7]
	v_add_nc_u32_e32 v6, 6, v13
	v_add_co_u32 v21, vcc_lo, s12, v21
	v_add_co_ci_u32_e64 v22, null, s13, v22, vcc_lo
	global_load_dword v36, v[19:20], off
	v_lshlrev_b64 v[19:20], 2, v[6:7]
	v_add_nc_u32_e32 v6, -2, v4
	global_load_dword v37, v[21:22], off
	v_add_co_u32 v21, vcc_lo, s12, v23
	v_add_co_ci_u32_e64 v22, null, s13, v24, vcc_lo
	v_add_co_u32 v19, vcc_lo, s14, v19
	v_lshlrev_b64 v[23:24], 2, v[6:7]
	v_add_co_ci_u32_e64 v20, null, s15, v20, vcc_lo
	v_add_nc_u32_e32 v6, -10, v4
	global_load_dword v38, v[21:22], off
	global_load_dword v39, v[19:20], off
	v_add_co_u32 v19, vcc_lo, s12, v23
	v_add_co_ci_u32_e64 v20, null, s13, v24, vcc_lo
	global_load_dword v40, v[19:20], off
	v_lshlrev_b64 v[21:22], 2, v[6:7]
	v_add_nc_u32_e32 v6, 7, v13
	v_lshlrev_b64 v[23:24], 2, v[6:7]
	v_add_nc_u32_e32 v6, -1, v4
	v_add_co_u32 v21, vcc_lo, s12, v21
	v_add_co_ci_u32_e64 v22, null, s13, v22, vcc_lo
	v_lshlrev_b64 v[19:20], 2, v[6:7]
	v_add_nc_u32_e32 v6, -9, v4
	v_add_nc_u32_e32 v4, 0x120, v4
	global_load_dword v41, v[21:22], off
	v_add_co_u32 v21, vcc_lo, s14, v23
	v_add_co_ci_u32_e64 v22, null, s15, v24, vcc_lo
	v_lshlrev_b64 v[23:24], 2, v[6:7]
	v_add_nc_u32_e32 v6, 8, v13
	v_add_co_u32 v12, vcc_lo, s12, v19
	v_add_co_ci_u32_e64 v13, null, s13, v20, vcc_lo
	v_lshlrev_b64 v[5:6], 2, v[6:7]
	global_load_dword v19, v[21:22], off
	global_load_dword v20, v[12:13], off
	v_add_co_u32 v12, vcc_lo, s12, v23
	v_add_co_ci_u32_e64 v13, null, s13, v24, vcc_lo
	v_add_co_u32 v5, vcc_lo, s14, v5
	v_add_co_ci_u32_e64 v6, null, s15, v6, vcc_lo
	s_clause 0x1
	global_load_dword v17, v[17:18], off
	global_load_dword v12, v[12:13], off
	;; [unrolled: 1-line block ×3, first 2 shown]
	v_cmp_ge_i32_e32 vcc_lo, v2, v11
	s_or_b32 s0, vcc_lo, s0
	s_waitcnt vmcnt(23)
	v_fmac_f32_e32 v9, v15, v3
	v_fmac_f32_e32 v10, v8, v3
	s_waitcnt vmcnt(22)
	v_fmac_f32_e32 v9, v16, v14
	s_waitcnt vmcnt(21)
	;; [unrolled: 2-line block ×15, first 2 shown]
	v_fmac_f32_e32 v9, v12, v5
	v_fmac_f32_e32 v10, v17, v5
	s_andn2_b32 exec_lo, exec_lo, s0
	s_cbranch_execnz .LBB37_15
; %bb.16:
	s_or_b32 exec_lo, exec_lo, s0
.LBB37_17:
	s_or_b32 exec_lo, exec_lo, s1
.LBB37_18:
	v_mbcnt_lo_u32_b32 v2, -1, 0
	s_mov_b32 s3, -1
	v_xor_b32_e32 v3, 8, v2
	v_xor_b32_e32 v5, 4, v2
	;; [unrolled: 1-line block ×3, first 2 shown]
	v_cmp_gt_i32_e32 vcc_lo, 32, v3
	v_cndmask_b32_e32 v3, v2, v3, vcc_lo
	v_cmp_gt_i32_e32 vcc_lo, 32, v5
	v_lshlrev_b32_e32 v3, 2, v3
	v_cndmask_b32_e32 v5, v2, v5, vcc_lo
	v_cmp_gt_i32_e32 vcc_lo, 32, v7
	ds_bpermute_b32 v4, v3, v9
	ds_bpermute_b32 v3, v3, v10
	v_lshlrev_b32_e32 v5, 2, v5
	v_cndmask_b32_e32 v7, v2, v7, vcc_lo
	v_lshlrev_b32_e32 v7, 2, v7
	s_waitcnt lgkmcnt(1)
	v_add_f32_e32 v4, v9, v4
	s_waitcnt lgkmcnt(0)
	v_add_f32_e32 v3, v10, v3
	ds_bpermute_b32 v6, v5, v4
	ds_bpermute_b32 v5, v5, v3
	s_waitcnt lgkmcnt(1)
	v_add_f32_e32 v4, v4, v6
	s_waitcnt lgkmcnt(0)
	v_add_f32_e32 v3, v3, v5
	ds_bpermute_b32 v5, v7, v4
	ds_bpermute_b32 v6, v7, v3
	v_xor_b32_e32 v7, 1, v2
	v_cmp_gt_i32_e32 vcc_lo, 32, v7
	v_cndmask_b32_e32 v2, v2, v7, vcc_lo
	v_cmp_eq_u32_e32 vcc_lo, 15, v0
	v_lshlrev_b32_e32 v7, 2, v2
	s_waitcnt lgkmcnt(1)
	v_add_f32_e32 v2, v4, v5
	s_waitcnt lgkmcnt(0)
	v_add_f32_e32 v3, v3, v6
	ds_bpermute_b32 v4, v7, v2
	ds_bpermute_b32 v5, v7, v3
	s_and_b32 exec_lo, exec_lo, vcc_lo
	s_cbranch_execz .LBB37_23
; %bb.19:
	s_load_dwordx2 s[0:1], s[4:5], 0x38
	s_waitcnt lgkmcnt(0)
	v_add_f32_e32 v0, v2, v4
	v_add_f32_e32 v3, v3, v5
	v_cmp_eq_f32_e64 s4, s2, 0
	v_mul_f32_e32 v2, s16, v0
	v_mul_f32_e32 v3, s16, v3
	v_lshlrev_b32_e32 v0, 1, v1
	s_and_b32 vcc_lo, exec_lo, s4
	s_cbranch_vccz .LBB37_21
; %bb.20:
	v_ashrrev_i32_e32 v1, 31, v0
	s_mov_b32 s3, 0
	v_lshlrev_b64 v[4:5], 2, v[0:1]
	v_add_co_u32 v4, vcc_lo, s0, v4
	v_add_co_ci_u32_e64 v5, null, s1, v5, vcc_lo
	global_store_dwordx2 v[4:5], v[2:3], off
.LBB37_21:
	s_andn2_b32 vcc_lo, exec_lo, s3
	s_cbranch_vccnz .LBB37_23
; %bb.22:
	v_ashrrev_i32_e32 v1, 31, v0
	v_lshlrev_b64 v[0:1], 2, v[0:1]
	v_add_co_u32 v0, vcc_lo, s0, v0
	v_add_co_ci_u32_e64 v1, null, s1, v1, vcc_lo
	global_load_dwordx2 v[4:5], v[0:1], off
	s_waitcnt vmcnt(0)
	v_fmac_f32_e32 v2, s2, v4
	v_fmac_f32_e32 v3, s2, v5
	global_store_dwordx2 v[0:1], v[2:3], off
.LBB37_23:
	s_endpgm
	.section	.rodata,"a",@progbits
	.p2align	6, 0x0
	.amdhsa_kernel _ZN9rocsparseL19gebsrmvn_2xn_kernelILj128ELj9ELj16EfEEvi20rocsparse_direction_NS_24const_host_device_scalarIT2_EEPKiS6_PKS3_S8_S4_PS3_21rocsparse_index_base_b
		.amdhsa_group_segment_fixed_size 0
		.amdhsa_private_segment_fixed_size 0
		.amdhsa_kernarg_size 72
		.amdhsa_user_sgpr_count 6
		.amdhsa_user_sgpr_private_segment_buffer 1
		.amdhsa_user_sgpr_dispatch_ptr 0
		.amdhsa_user_sgpr_queue_ptr 0
		.amdhsa_user_sgpr_kernarg_segment_ptr 1
		.amdhsa_user_sgpr_dispatch_id 0
		.amdhsa_user_sgpr_flat_scratch_init 0
		.amdhsa_user_sgpr_private_segment_size 0
		.amdhsa_wavefront_size32 1
		.amdhsa_uses_dynamic_stack 0
		.amdhsa_system_sgpr_private_segment_wavefront_offset 0
		.amdhsa_system_sgpr_workgroup_id_x 1
		.amdhsa_system_sgpr_workgroup_id_y 0
		.amdhsa_system_sgpr_workgroup_id_z 0
		.amdhsa_system_sgpr_workgroup_info 0
		.amdhsa_system_vgpr_workitem_id 0
		.amdhsa_next_free_vgpr 42
		.amdhsa_next_free_sgpr 20
		.amdhsa_reserve_vcc 1
		.amdhsa_reserve_flat_scratch 0
		.amdhsa_float_round_mode_32 0
		.amdhsa_float_round_mode_16_64 0
		.amdhsa_float_denorm_mode_32 3
		.amdhsa_float_denorm_mode_16_64 3
		.amdhsa_dx10_clamp 1
		.amdhsa_ieee_mode 1
		.amdhsa_fp16_overflow 0
		.amdhsa_workgroup_processor_mode 1
		.amdhsa_memory_ordered 1
		.amdhsa_forward_progress 1
		.amdhsa_shared_vgpr_count 0
		.amdhsa_exception_fp_ieee_invalid_op 0
		.amdhsa_exception_fp_denorm_src 0
		.amdhsa_exception_fp_ieee_div_zero 0
		.amdhsa_exception_fp_ieee_overflow 0
		.amdhsa_exception_fp_ieee_underflow 0
		.amdhsa_exception_fp_ieee_inexact 0
		.amdhsa_exception_int_div_zero 0
	.end_amdhsa_kernel
	.section	.text._ZN9rocsparseL19gebsrmvn_2xn_kernelILj128ELj9ELj16EfEEvi20rocsparse_direction_NS_24const_host_device_scalarIT2_EEPKiS6_PKS3_S8_S4_PS3_21rocsparse_index_base_b,"axG",@progbits,_ZN9rocsparseL19gebsrmvn_2xn_kernelILj128ELj9ELj16EfEEvi20rocsparse_direction_NS_24const_host_device_scalarIT2_EEPKiS6_PKS3_S8_S4_PS3_21rocsparse_index_base_b,comdat
.Lfunc_end37:
	.size	_ZN9rocsparseL19gebsrmvn_2xn_kernelILj128ELj9ELj16EfEEvi20rocsparse_direction_NS_24const_host_device_scalarIT2_EEPKiS6_PKS3_S8_S4_PS3_21rocsparse_index_base_b, .Lfunc_end37-_ZN9rocsparseL19gebsrmvn_2xn_kernelILj128ELj9ELj16EfEEvi20rocsparse_direction_NS_24const_host_device_scalarIT2_EEPKiS6_PKS3_S8_S4_PS3_21rocsparse_index_base_b
                                        ; -- End function
	.set _ZN9rocsparseL19gebsrmvn_2xn_kernelILj128ELj9ELj16EfEEvi20rocsparse_direction_NS_24const_host_device_scalarIT2_EEPKiS6_PKS3_S8_S4_PS3_21rocsparse_index_base_b.num_vgpr, 42
	.set _ZN9rocsparseL19gebsrmvn_2xn_kernelILj128ELj9ELj16EfEEvi20rocsparse_direction_NS_24const_host_device_scalarIT2_EEPKiS6_PKS3_S8_S4_PS3_21rocsparse_index_base_b.num_agpr, 0
	.set _ZN9rocsparseL19gebsrmvn_2xn_kernelILj128ELj9ELj16EfEEvi20rocsparse_direction_NS_24const_host_device_scalarIT2_EEPKiS6_PKS3_S8_S4_PS3_21rocsparse_index_base_b.numbered_sgpr, 20
	.set _ZN9rocsparseL19gebsrmvn_2xn_kernelILj128ELj9ELj16EfEEvi20rocsparse_direction_NS_24const_host_device_scalarIT2_EEPKiS6_PKS3_S8_S4_PS3_21rocsparse_index_base_b.num_named_barrier, 0
	.set _ZN9rocsparseL19gebsrmvn_2xn_kernelILj128ELj9ELj16EfEEvi20rocsparse_direction_NS_24const_host_device_scalarIT2_EEPKiS6_PKS3_S8_S4_PS3_21rocsparse_index_base_b.private_seg_size, 0
	.set _ZN9rocsparseL19gebsrmvn_2xn_kernelILj128ELj9ELj16EfEEvi20rocsparse_direction_NS_24const_host_device_scalarIT2_EEPKiS6_PKS3_S8_S4_PS3_21rocsparse_index_base_b.uses_vcc, 1
	.set _ZN9rocsparseL19gebsrmvn_2xn_kernelILj128ELj9ELj16EfEEvi20rocsparse_direction_NS_24const_host_device_scalarIT2_EEPKiS6_PKS3_S8_S4_PS3_21rocsparse_index_base_b.uses_flat_scratch, 0
	.set _ZN9rocsparseL19gebsrmvn_2xn_kernelILj128ELj9ELj16EfEEvi20rocsparse_direction_NS_24const_host_device_scalarIT2_EEPKiS6_PKS3_S8_S4_PS3_21rocsparse_index_base_b.has_dyn_sized_stack, 0
	.set _ZN9rocsparseL19gebsrmvn_2xn_kernelILj128ELj9ELj16EfEEvi20rocsparse_direction_NS_24const_host_device_scalarIT2_EEPKiS6_PKS3_S8_S4_PS3_21rocsparse_index_base_b.has_recursion, 0
	.set _ZN9rocsparseL19gebsrmvn_2xn_kernelILj128ELj9ELj16EfEEvi20rocsparse_direction_NS_24const_host_device_scalarIT2_EEPKiS6_PKS3_S8_S4_PS3_21rocsparse_index_base_b.has_indirect_call, 0
	.section	.AMDGPU.csdata,"",@progbits
; Kernel info:
; codeLenInByte = 2716
; TotalNumSgprs: 22
; NumVgprs: 42
; ScratchSize: 0
; MemoryBound: 0
; FloatMode: 240
; IeeeMode: 1
; LDSByteSize: 0 bytes/workgroup (compile time only)
; SGPRBlocks: 0
; VGPRBlocks: 5
; NumSGPRsForWavesPerEU: 22
; NumVGPRsForWavesPerEU: 42
; Occupancy: 16
; WaveLimiterHint : 1
; COMPUTE_PGM_RSRC2:SCRATCH_EN: 0
; COMPUTE_PGM_RSRC2:USER_SGPR: 6
; COMPUTE_PGM_RSRC2:TRAP_HANDLER: 0
; COMPUTE_PGM_RSRC2:TGID_X_EN: 1
; COMPUTE_PGM_RSRC2:TGID_Y_EN: 0
; COMPUTE_PGM_RSRC2:TGID_Z_EN: 0
; COMPUTE_PGM_RSRC2:TIDIG_COMP_CNT: 0
	.section	.text._ZN9rocsparseL19gebsrmvn_2xn_kernelILj128ELj9ELj32EfEEvi20rocsparse_direction_NS_24const_host_device_scalarIT2_EEPKiS6_PKS3_S8_S4_PS3_21rocsparse_index_base_b,"axG",@progbits,_ZN9rocsparseL19gebsrmvn_2xn_kernelILj128ELj9ELj32EfEEvi20rocsparse_direction_NS_24const_host_device_scalarIT2_EEPKiS6_PKS3_S8_S4_PS3_21rocsparse_index_base_b,comdat
	.globl	_ZN9rocsparseL19gebsrmvn_2xn_kernelILj128ELj9ELj32EfEEvi20rocsparse_direction_NS_24const_host_device_scalarIT2_EEPKiS6_PKS3_S8_S4_PS3_21rocsparse_index_base_b ; -- Begin function _ZN9rocsparseL19gebsrmvn_2xn_kernelILj128ELj9ELj32EfEEvi20rocsparse_direction_NS_24const_host_device_scalarIT2_EEPKiS6_PKS3_S8_S4_PS3_21rocsparse_index_base_b
	.p2align	8
	.type	_ZN9rocsparseL19gebsrmvn_2xn_kernelILj128ELj9ELj32EfEEvi20rocsparse_direction_NS_24const_host_device_scalarIT2_EEPKiS6_PKS3_S8_S4_PS3_21rocsparse_index_base_b,@function
_ZN9rocsparseL19gebsrmvn_2xn_kernelILj128ELj9ELj32EfEEvi20rocsparse_direction_NS_24const_host_device_scalarIT2_EEPKiS6_PKS3_S8_S4_PS3_21rocsparse_index_base_b: ; @_ZN9rocsparseL19gebsrmvn_2xn_kernelILj128ELj9ELj32EfEEvi20rocsparse_direction_NS_24const_host_device_scalarIT2_EEPKiS6_PKS3_S8_S4_PS3_21rocsparse_index_base_b
; %bb.0:
	s_clause 0x2
	s_load_dwordx2 s[18:19], s[4:5], 0x40
	s_load_dwordx2 s[16:17], s[4:5], 0x8
	;; [unrolled: 1-line block ×3, first 2 shown]
	s_waitcnt lgkmcnt(0)
	s_bitcmp1_b32 s19, 0
	s_cselect_b32 s0, -1, 0
	s_and_b32 vcc_lo, exec_lo, s0
	s_xor_b32 s0, s0, -1
	s_cbranch_vccnz .LBB38_2
; %bb.1:
	s_load_dword s16, s[16:17], 0x0
.LBB38_2:
	s_andn2_b32 vcc_lo, exec_lo, s0
	s_cbranch_vccnz .LBB38_4
; %bb.3:
	s_load_dword s2, s[2:3], 0x0
.LBB38_4:
	s_waitcnt lgkmcnt(0)
	v_cmp_eq_f32_e64 s0, s16, 0
	v_cmp_eq_f32_e64 s1, s2, 1.0
	s_and_b32 s0, s0, s1
	s_and_b32 vcc_lo, exec_lo, s0
	s_cbranch_vccnz .LBB38_23
; %bb.5:
	s_load_dwordx2 s[0:1], s[4:5], 0x0
	v_lshrrev_b32_e32 v1, 5, v0
	v_lshl_or_b32 v1, s6, 2, v1
	s_waitcnt lgkmcnt(0)
	v_cmp_gt_i32_e32 vcc_lo, s0, v1
	s_and_saveexec_b32 s0, vcc_lo
	s_cbranch_execz .LBB38_23
; %bb.6:
	s_load_dwordx8 s[8:15], s[4:5], 0x10
	v_ashrrev_i32_e32 v2, 31, v1
	v_and_b32_e32 v0, 31, v0
	s_cmp_lg_u32 s1, 0
	v_lshlrev_b64 v[2:3], 2, v[1:2]
	s_waitcnt lgkmcnt(0)
	v_add_co_u32 v2, vcc_lo, s8, v2
	v_add_co_ci_u32_e64 v3, null, s9, v3, vcc_lo
	global_load_dwordx2 v[2:3], v[2:3], off
	s_waitcnt vmcnt(0)
	v_subrev_nc_u32_e32 v2, s18, v2
	v_subrev_nc_u32_e32 v11, s18, v3
	v_add_nc_u32_e32 v2, v2, v0
	v_cmp_lt_i32_e64 s0, v2, v11
	s_cbranch_scc0 .LBB38_12
; %bb.7:
	v_mov_b32_e32 v9, 0
	v_mov_b32_e32 v10, 0
	s_and_saveexec_b32 s1, s0
	s_cbranch_execz .LBB38_11
; %bb.8:
	v_mad_u64_u32 v[3:4], null, v2, 18, 16
	v_mov_b32_e32 v6, 0
	v_mov_b32_e32 v7, v2
	;; [unrolled: 1-line block ×4, first 2 shown]
	s_mov_b32 s3, 0
.LBB38_9:                               ; =>This Inner Loop Header: Depth=1
	v_ashrrev_i32_e32 v8, 31, v7
	v_mov_b32_e32 v13, v6
	v_lshlrev_b64 v[4:5], 2, v[7:8]
	v_add_nc_u32_e32 v7, 32, v7
	v_add_co_u32 v4, vcc_lo, s10, v4
	v_add_co_ci_u32_e64 v5, null, s11, v5, vcc_lo
	global_load_dword v8, v[4:5], off
	v_add_nc_u32_e32 v5, -16, v3
	v_mov_b32_e32 v4, v6
	v_lshlrev_b64 v[14:15], 2, v[5:6]
	v_add_nc_u32_e32 v5, -14, v3
	v_lshlrev_b64 v[16:17], 2, v[3:4]
	v_lshlrev_b64 v[4:5], 2, v[5:6]
	v_add_co_u32 v14, vcc_lo, s12, v14
	v_add_co_ci_u32_e64 v15, null, s13, v15, vcc_lo
	v_add_co_u32 v16, vcc_lo, s12, v16
	v_add_co_ci_u32_e64 v17, null, s13, v17, vcc_lo
	v_add_co_u32 v4, vcc_lo, s12, v4
	v_add_co_ci_u32_e64 v5, null, s13, v5, vcc_lo
	s_clause 0x1
	global_load_dwordx2 v[14:15], v[14:15], off
	global_load_dwordx2 v[18:19], v[4:5], off
	s_waitcnt vmcnt(2)
	v_subrev_nc_u32_e32 v4, s18, v8
	v_lshl_add_u32 v12, v4, 3, v4
	v_add_nc_u32_e32 v5, 1, v12
	v_lshlrev_b64 v[20:21], 2, v[12:13]
	v_lshlrev_b64 v[22:23], 2, v[5:6]
	v_add_nc_u32_e32 v5, -12, v3
	v_add_co_u32 v20, vcc_lo, s14, v20
	v_add_co_ci_u32_e64 v21, null, s15, v21, vcc_lo
	v_add_co_u32 v22, vcc_lo, s14, v22
	v_lshlrev_b64 v[24:25], 2, v[5:6]
	v_add_nc_u32_e32 v5, 2, v12
	v_add_co_ci_u32_e64 v23, null, s15, v23, vcc_lo
	s_clause 0x1
	global_load_dword v8, v[20:21], off
	global_load_dword v36, v[22:23], off
	v_lshlrev_b64 v[20:21], 2, v[5:6]
	v_add_nc_u32_e32 v5, -10, v3
	v_add_co_u32 v22, vcc_lo, s12, v24
	v_add_co_ci_u32_e64 v23, null, s13, v25, vcc_lo
	v_lshlrev_b64 v[24:25], 2, v[5:6]
	v_add_nc_u32_e32 v5, 3, v12
	v_add_co_u32 v20, vcc_lo, s14, v20
	v_add_co_ci_u32_e64 v21, null, s15, v21, vcc_lo
	v_lshlrev_b64 v[26:27], 2, v[5:6]
	v_add_nc_u32_e32 v5, -8, v3
	global_load_dwordx2 v[22:23], v[22:23], off
	global_load_dword v37, v[20:21], off
	v_add_co_u32 v20, vcc_lo, s12, v24
	v_add_co_ci_u32_e64 v21, null, s13, v25, vcc_lo
	v_lshlrev_b64 v[24:25], 2, v[5:6]
	v_add_nc_u32_e32 v5, 4, v12
	v_add_co_u32 v26, vcc_lo, s14, v26
	v_add_co_ci_u32_e64 v27, null, s15, v27, vcc_lo
	v_lshlrev_b64 v[28:29], 2, v[5:6]
	v_add_co_u32 v24, vcc_lo, s12, v24
	v_add_co_ci_u32_e64 v25, null, s13, v25, vcc_lo
	v_add_nc_u32_e32 v5, -6, v3
	v_add_co_u32 v28, vcc_lo, s14, v28
	v_add_co_ci_u32_e64 v29, null, s15, v29, vcc_lo
	global_load_dword v38, v[26:27], off
	s_clause 0x1
	global_load_dwordx2 v[24:25], v[24:25], off
	global_load_dwordx2 v[20:21], v[20:21], off
	global_load_dword v39, v[28:29], off
	v_lshlrev_b64 v[26:27], 2, v[5:6]
	v_add_nc_u32_e32 v5, 5, v12
	v_lshlrev_b64 v[30:31], 2, v[5:6]
	v_add_nc_u32_e32 v5, -4, v3
	v_add_co_u32 v26, vcc_lo, s12, v26
	v_add_co_ci_u32_e64 v27, null, s13, v27, vcc_lo
	v_lshlrev_b64 v[28:29], 2, v[5:6]
	v_add_nc_u32_e32 v5, 6, v12
	v_add_co_u32 v30, vcc_lo, s14, v30
	v_add_co_ci_u32_e64 v31, null, s15, v31, vcc_lo
	v_lshlrev_b64 v[32:33], 2, v[5:6]
	v_add_co_u32 v28, vcc_lo, s12, v28
	v_add_co_ci_u32_e64 v29, null, s13, v29, vcc_lo
	v_add_nc_u32_e32 v5, -2, v3
	v_add_co_u32 v32, vcc_lo, s14, v32
	v_add_co_ci_u32_e64 v33, null, s15, v33, vcc_lo
	global_load_dword v40, v[30:31], off
	s_clause 0x1
	global_load_dwordx2 v[26:27], v[26:27], off
	global_load_dwordx2 v[28:29], v[28:29], off
	global_load_dword v32, v[32:33], off
	v_lshlrev_b64 v[30:31], 2, v[5:6]
	v_add_nc_u32_e32 v5, 7, v12
	v_add_nc_u32_e32 v3, 0x240, v3
	v_lshlrev_b64 v[34:35], 2, v[5:6]
	v_add_nc_u32_e32 v5, 8, v12
	v_add_co_u32 v12, vcc_lo, s12, v30
	v_add_co_ci_u32_e64 v13, null, s13, v31, vcc_lo
	v_lshlrev_b64 v[4:5], 2, v[5:6]
	v_add_co_u32 v30, vcc_lo, s14, v34
	v_add_co_ci_u32_e64 v31, null, s15, v35, vcc_lo
	global_load_dwordx2 v[12:13], v[12:13], off
	global_load_dword v30, v[30:31], off
	v_add_co_u32 v4, vcc_lo, s14, v4
	v_add_co_ci_u32_e64 v5, null, s15, v5, vcc_lo
	global_load_dwordx2 v[16:17], v[16:17], off
	global_load_dword v4, v[4:5], off
	v_cmp_ge_i32_e32 vcc_lo, v7, v11
	s_or_b32 s3, vcc_lo, s3
	s_waitcnt vmcnt(15)
	v_fmac_f32_e32 v9, v14, v8
	v_fmac_f32_e32 v10, v15, v8
	s_waitcnt vmcnt(14)
	v_fmac_f32_e32 v9, v18, v36
	v_fmac_f32_e32 v10, v19, v36
	;; [unrolled: 3-line block ×9, first 2 shown]
	s_andn2_b32 exec_lo, exec_lo, s3
	s_cbranch_execnz .LBB38_9
; %bb.10:
	s_or_b32 exec_lo, exec_lo, s3
.LBB38_11:
	s_or_b32 exec_lo, exec_lo, s1
	s_cbranch_execz .LBB38_13
	s_branch .LBB38_18
.LBB38_12:
                                        ; implicit-def: $vgpr9
                                        ; implicit-def: $vgpr10
.LBB38_13:
	v_mov_b32_e32 v9, 0
	v_mov_b32_e32 v10, 0
	s_and_saveexec_b32 s1, s0
	s_cbranch_execz .LBB38_17
; %bb.14:
	v_mad_u64_u32 v[4:5], null, v2, 18, 17
	v_mov_b32_e32 v7, 0
	v_mov_b32_e32 v9, 0
	;; [unrolled: 1-line block ×3, first 2 shown]
	s_mov_b32 s0, 0
.LBB38_15:                              ; =>This Inner Loop Header: Depth=1
	v_ashrrev_i32_e32 v3, 31, v2
	v_add_nc_u32_e32 v12, -8, v4
	v_mov_b32_e32 v13, v7
	v_mov_b32_e32 v14, v7
	v_lshlrev_b64 v[5:6], 2, v[2:3]
	v_add_nc_u32_e32 v2, 32, v2
	v_lshlrev_b64 v[12:13], 2, v[12:13]
	v_add_co_u32 v5, vcc_lo, s10, v5
	v_add_co_ci_u32_e64 v6, null, s11, v6, vcc_lo
	global_load_dword v3, v[5:6], off
	v_subrev_nc_u32_e32 v6, 17, v4
	v_mov_b32_e32 v5, v7
	v_lshlrev_b64 v[15:16], 2, v[6:7]
	v_lshlrev_b64 v[5:6], 2, v[4:5]
	v_add_co_u32 v15, vcc_lo, s12, v15
	v_add_co_ci_u32_e64 v16, null, s13, v16, vcc_lo
	v_add_co_u32 v12, vcc_lo, s12, v12
	v_add_co_ci_u32_e64 v13, null, s13, v13, vcc_lo
	s_clause 0x1
	global_load_dwordx2 v[15:16], v[15:16], off
	global_load_dword v8, v[12:13], off
	v_add_co_u32 v17, vcc_lo, s12, v5
	v_add_co_ci_u32_e64 v18, null, s13, v6, vcc_lo
	s_waitcnt vmcnt(2)
	v_subrev_nc_u32_e32 v3, s18, v3
	v_lshl_add_u32 v13, v3, 3, v3
	v_add_nc_u32_e32 v6, 1, v13
	v_lshlrev_b64 v[19:20], 2, v[13:14]
	v_lshlrev_b64 v[21:22], 2, v[6:7]
	v_add_nc_u32_e32 v6, -7, v4
	v_add_co_u32 v19, vcc_lo, s14, v19
	v_add_co_ci_u32_e64 v20, null, s15, v20, vcc_lo
	v_lshlrev_b64 v[23:24], 2, v[6:7]
	v_add_nc_u32_e32 v6, -15, v4
	global_load_dword v3, v[19:20], off
	v_add_co_u32 v19, vcc_lo, s14, v21
	v_add_co_ci_u32_e64 v20, null, s15, v22, vcc_lo
	v_lshlrev_b64 v[21:22], 2, v[6:7]
	v_add_nc_u32_e32 v6, 2, v13
	v_add_co_u32 v23, vcc_lo, s12, v23
	v_add_co_ci_u32_e64 v24, null, s13, v24, vcc_lo
	global_load_dword v14, v[19:20], off
	v_lshlrev_b64 v[19:20], 2, v[6:7]
	v_add_co_u32 v21, vcc_lo, s12, v21
	v_add_nc_u32_e32 v6, -6, v4
	v_add_co_ci_u32_e64 v22, null, s13, v22, vcc_lo
	v_add_co_u32 v19, vcc_lo, s14, v19
	s_clause 0x1
	global_load_dword v25, v[23:24], off
	global_load_dword v26, v[21:22], off
	v_lshlrev_b64 v[23:24], 2, v[6:7]
	v_add_co_ci_u32_e64 v20, null, s15, v20, vcc_lo
	v_add_nc_u32_e32 v6, -14, v4
	global_load_dword v27, v[19:20], off
	v_add_co_u32 v19, vcc_lo, s12, v23
	v_add_co_ci_u32_e64 v20, null, s13, v24, vcc_lo
	global_load_dword v28, v[19:20], off
	v_lshlrev_b64 v[21:22], 2, v[6:7]
	v_add_nc_u32_e32 v6, 3, v13
	v_lshlrev_b64 v[23:24], 2, v[6:7]
	v_add_nc_u32_e32 v6, -5, v4
	v_add_co_u32 v21, vcc_lo, s12, v21
	v_add_co_ci_u32_e64 v22, null, s13, v22, vcc_lo
	v_lshlrev_b64 v[19:20], 2, v[6:7]
	v_add_nc_u32_e32 v6, -13, v4
	global_load_dword v29, v[21:22], off
	v_add_co_u32 v21, vcc_lo, s14, v23
	v_add_co_ci_u32_e64 v22, null, s15, v24, vcc_lo
	v_lshlrev_b64 v[23:24], 2, v[6:7]
	v_add_nc_u32_e32 v6, 4, v13
	v_add_co_u32 v19, vcc_lo, s12, v19
	v_add_co_ci_u32_e64 v20, null, s13, v20, vcc_lo
	global_load_dword v30, v[21:22], off
	v_lshlrev_b64 v[21:22], 2, v[6:7]
	v_add_nc_u32_e32 v6, -4, v4
	global_load_dword v31, v[19:20], off
	v_add_co_u32 v19, vcc_lo, s12, v23
	v_add_co_ci_u32_e64 v20, null, s13, v24, vcc_lo
	v_lshlrev_b64 v[23:24], 2, v[6:7]
	v_add_nc_u32_e32 v6, -12, v4
	v_add_co_u32 v21, vcc_lo, s14, v21
	v_add_co_ci_u32_e64 v22, null, s15, v22, vcc_lo
	global_load_dword v32, v[19:20], off
	v_lshlrev_b64 v[19:20], 2, v[6:7]
	v_add_nc_u32_e32 v6, 5, v13
	global_load_dword v33, v[21:22], off
	v_add_co_u32 v21, vcc_lo, s12, v23
	v_add_co_ci_u32_e64 v22, null, s13, v24, vcc_lo
	v_add_co_u32 v19, vcc_lo, s12, v19
	v_lshlrev_b64 v[23:24], 2, v[6:7]
	v_add_nc_u32_e32 v6, -3, v4
	v_add_co_ci_u32_e64 v20, null, s13, v20, vcc_lo
	s_clause 0x1
	global_load_dword v34, v[21:22], off
	global_load_dword v35, v[19:20], off
	v_lshlrev_b64 v[21:22], 2, v[6:7]
	v_add_nc_u32_e32 v6, -11, v4
	v_add_co_u32 v19, vcc_lo, s14, v23
	v_add_co_ci_u32_e64 v20, null, s15, v24, vcc_lo
	v_lshlrev_b64 v[23:24], 2, v[6:7]
	v_add_nc_u32_e32 v6, 6, v13
	v_add_co_u32 v21, vcc_lo, s12, v21
	v_add_co_ci_u32_e64 v22, null, s13, v22, vcc_lo
	global_load_dword v36, v[19:20], off
	v_lshlrev_b64 v[19:20], 2, v[6:7]
	v_add_nc_u32_e32 v6, -2, v4
	global_load_dword v37, v[21:22], off
	v_add_co_u32 v21, vcc_lo, s12, v23
	v_add_co_ci_u32_e64 v22, null, s13, v24, vcc_lo
	v_add_co_u32 v19, vcc_lo, s14, v19
	v_lshlrev_b64 v[23:24], 2, v[6:7]
	v_add_co_ci_u32_e64 v20, null, s15, v20, vcc_lo
	v_add_nc_u32_e32 v6, -10, v4
	global_load_dword v38, v[21:22], off
	global_load_dword v39, v[19:20], off
	v_add_co_u32 v19, vcc_lo, s12, v23
	v_add_co_ci_u32_e64 v20, null, s13, v24, vcc_lo
	global_load_dword v40, v[19:20], off
	v_lshlrev_b64 v[21:22], 2, v[6:7]
	v_add_nc_u32_e32 v6, 7, v13
	v_lshlrev_b64 v[23:24], 2, v[6:7]
	v_add_nc_u32_e32 v6, -1, v4
	v_add_co_u32 v21, vcc_lo, s12, v21
	v_add_co_ci_u32_e64 v22, null, s13, v22, vcc_lo
	v_lshlrev_b64 v[19:20], 2, v[6:7]
	v_add_nc_u32_e32 v6, -9, v4
	v_add_nc_u32_e32 v4, 0x240, v4
	global_load_dword v41, v[21:22], off
	v_add_co_u32 v21, vcc_lo, s14, v23
	v_add_co_ci_u32_e64 v22, null, s15, v24, vcc_lo
	v_lshlrev_b64 v[23:24], 2, v[6:7]
	v_add_nc_u32_e32 v6, 8, v13
	v_add_co_u32 v12, vcc_lo, s12, v19
	v_add_co_ci_u32_e64 v13, null, s13, v20, vcc_lo
	v_lshlrev_b64 v[5:6], 2, v[6:7]
	global_load_dword v19, v[21:22], off
	global_load_dword v20, v[12:13], off
	v_add_co_u32 v12, vcc_lo, s12, v23
	v_add_co_ci_u32_e64 v13, null, s13, v24, vcc_lo
	v_add_co_u32 v5, vcc_lo, s14, v5
	v_add_co_ci_u32_e64 v6, null, s15, v6, vcc_lo
	s_clause 0x1
	global_load_dword v17, v[17:18], off
	global_load_dword v12, v[12:13], off
	;; [unrolled: 1-line block ×3, first 2 shown]
	v_cmp_ge_i32_e32 vcc_lo, v2, v11
	s_or_b32 s0, vcc_lo, s0
	s_waitcnt vmcnt(23)
	v_fmac_f32_e32 v9, v15, v3
	v_fmac_f32_e32 v10, v8, v3
	s_waitcnt vmcnt(22)
	v_fmac_f32_e32 v9, v16, v14
	s_waitcnt vmcnt(21)
	;; [unrolled: 2-line block ×15, first 2 shown]
	v_fmac_f32_e32 v9, v12, v5
	v_fmac_f32_e32 v10, v17, v5
	s_andn2_b32 exec_lo, exec_lo, s0
	s_cbranch_execnz .LBB38_15
; %bb.16:
	s_or_b32 exec_lo, exec_lo, s0
.LBB38_17:
	s_or_b32 exec_lo, exec_lo, s1
.LBB38_18:
	v_mbcnt_lo_u32_b32 v2, -1, 0
	s_mov_b32 s3, -1
	v_xor_b32_e32 v3, 16, v2
	v_xor_b32_e32 v5, 8, v2
	;; [unrolled: 1-line block ×3, first 2 shown]
	v_cmp_gt_i32_e32 vcc_lo, 32, v3
	v_cndmask_b32_e32 v3, v2, v3, vcc_lo
	v_cmp_gt_i32_e32 vcc_lo, 32, v5
	v_lshlrev_b32_e32 v3, 2, v3
	v_cndmask_b32_e32 v5, v2, v5, vcc_lo
	v_cmp_gt_i32_e32 vcc_lo, 32, v7
	ds_bpermute_b32 v4, v3, v9
	ds_bpermute_b32 v3, v3, v10
	v_lshlrev_b32_e32 v5, 2, v5
	v_cndmask_b32_e32 v7, v2, v7, vcc_lo
	v_lshlrev_b32_e32 v7, 2, v7
	s_waitcnt lgkmcnt(1)
	v_add_f32_e32 v4, v9, v4
	s_waitcnt lgkmcnt(0)
	v_add_f32_e32 v3, v10, v3
	ds_bpermute_b32 v6, v5, v4
	ds_bpermute_b32 v5, v5, v3
	s_waitcnt lgkmcnt(1)
	v_add_f32_e32 v4, v4, v6
	s_waitcnt lgkmcnt(0)
	v_add_f32_e32 v3, v3, v5
	ds_bpermute_b32 v5, v7, v4
	ds_bpermute_b32 v6, v7, v3
	v_xor_b32_e32 v7, 2, v2
	v_cmp_gt_i32_e32 vcc_lo, 32, v7
	v_cndmask_b32_e32 v7, v2, v7, vcc_lo
	v_lshlrev_b32_e32 v7, 2, v7
	s_waitcnt lgkmcnt(1)
	v_add_f32_e32 v4, v4, v5
	s_waitcnt lgkmcnt(0)
	v_add_f32_e32 v3, v3, v6
	ds_bpermute_b32 v5, v7, v4
	ds_bpermute_b32 v6, v7, v3
	v_xor_b32_e32 v7, 1, v2
	v_cmp_gt_i32_e32 vcc_lo, 32, v7
	v_cndmask_b32_e32 v2, v2, v7, vcc_lo
	v_cmp_eq_u32_e32 vcc_lo, 31, v0
	v_lshlrev_b32_e32 v7, 2, v2
	s_waitcnt lgkmcnt(1)
	v_add_f32_e32 v2, v4, v5
	s_waitcnt lgkmcnt(0)
	v_add_f32_e32 v3, v3, v6
	ds_bpermute_b32 v4, v7, v2
	ds_bpermute_b32 v5, v7, v3
	s_and_b32 exec_lo, exec_lo, vcc_lo
	s_cbranch_execz .LBB38_23
; %bb.19:
	s_load_dwordx2 s[0:1], s[4:5], 0x38
	s_waitcnt lgkmcnt(0)
	v_add_f32_e32 v0, v2, v4
	v_add_f32_e32 v3, v3, v5
	v_cmp_eq_f32_e64 s4, s2, 0
	v_mul_f32_e32 v2, s16, v0
	v_mul_f32_e32 v3, s16, v3
	v_lshlrev_b32_e32 v0, 1, v1
	s_and_b32 vcc_lo, exec_lo, s4
	s_cbranch_vccz .LBB38_21
; %bb.20:
	v_ashrrev_i32_e32 v1, 31, v0
	s_mov_b32 s3, 0
	v_lshlrev_b64 v[4:5], 2, v[0:1]
	v_add_co_u32 v4, vcc_lo, s0, v4
	v_add_co_ci_u32_e64 v5, null, s1, v5, vcc_lo
	global_store_dwordx2 v[4:5], v[2:3], off
.LBB38_21:
	s_andn2_b32 vcc_lo, exec_lo, s3
	s_cbranch_vccnz .LBB38_23
; %bb.22:
	v_ashrrev_i32_e32 v1, 31, v0
	v_lshlrev_b64 v[0:1], 2, v[0:1]
	v_add_co_u32 v0, vcc_lo, s0, v0
	v_add_co_ci_u32_e64 v1, null, s1, v1, vcc_lo
	global_load_dwordx2 v[4:5], v[0:1], off
	s_waitcnt vmcnt(0)
	v_fmac_f32_e32 v2, s2, v4
	v_fmac_f32_e32 v3, s2, v5
	global_store_dwordx2 v[0:1], v[2:3], off
.LBB38_23:
	s_endpgm
	.section	.rodata,"a",@progbits
	.p2align	6, 0x0
	.amdhsa_kernel _ZN9rocsparseL19gebsrmvn_2xn_kernelILj128ELj9ELj32EfEEvi20rocsparse_direction_NS_24const_host_device_scalarIT2_EEPKiS6_PKS3_S8_S4_PS3_21rocsparse_index_base_b
		.amdhsa_group_segment_fixed_size 0
		.amdhsa_private_segment_fixed_size 0
		.amdhsa_kernarg_size 72
		.amdhsa_user_sgpr_count 6
		.amdhsa_user_sgpr_private_segment_buffer 1
		.amdhsa_user_sgpr_dispatch_ptr 0
		.amdhsa_user_sgpr_queue_ptr 0
		.amdhsa_user_sgpr_kernarg_segment_ptr 1
		.amdhsa_user_sgpr_dispatch_id 0
		.amdhsa_user_sgpr_flat_scratch_init 0
		.amdhsa_user_sgpr_private_segment_size 0
		.amdhsa_wavefront_size32 1
		.amdhsa_uses_dynamic_stack 0
		.amdhsa_system_sgpr_private_segment_wavefront_offset 0
		.amdhsa_system_sgpr_workgroup_id_x 1
		.amdhsa_system_sgpr_workgroup_id_y 0
		.amdhsa_system_sgpr_workgroup_id_z 0
		.amdhsa_system_sgpr_workgroup_info 0
		.amdhsa_system_vgpr_workitem_id 0
		.amdhsa_next_free_vgpr 42
		.amdhsa_next_free_sgpr 20
		.amdhsa_reserve_vcc 1
		.amdhsa_reserve_flat_scratch 0
		.amdhsa_float_round_mode_32 0
		.amdhsa_float_round_mode_16_64 0
		.amdhsa_float_denorm_mode_32 3
		.amdhsa_float_denorm_mode_16_64 3
		.amdhsa_dx10_clamp 1
		.amdhsa_ieee_mode 1
		.amdhsa_fp16_overflow 0
		.amdhsa_workgroup_processor_mode 1
		.amdhsa_memory_ordered 1
		.amdhsa_forward_progress 1
		.amdhsa_shared_vgpr_count 0
		.amdhsa_exception_fp_ieee_invalid_op 0
		.amdhsa_exception_fp_denorm_src 0
		.amdhsa_exception_fp_ieee_div_zero 0
		.amdhsa_exception_fp_ieee_overflow 0
		.amdhsa_exception_fp_ieee_underflow 0
		.amdhsa_exception_fp_ieee_inexact 0
		.amdhsa_exception_int_div_zero 0
	.end_amdhsa_kernel
	.section	.text._ZN9rocsparseL19gebsrmvn_2xn_kernelILj128ELj9ELj32EfEEvi20rocsparse_direction_NS_24const_host_device_scalarIT2_EEPKiS6_PKS3_S8_S4_PS3_21rocsparse_index_base_b,"axG",@progbits,_ZN9rocsparseL19gebsrmvn_2xn_kernelILj128ELj9ELj32EfEEvi20rocsparse_direction_NS_24const_host_device_scalarIT2_EEPKiS6_PKS3_S8_S4_PS3_21rocsparse_index_base_b,comdat
.Lfunc_end38:
	.size	_ZN9rocsparseL19gebsrmvn_2xn_kernelILj128ELj9ELj32EfEEvi20rocsparse_direction_NS_24const_host_device_scalarIT2_EEPKiS6_PKS3_S8_S4_PS3_21rocsparse_index_base_b, .Lfunc_end38-_ZN9rocsparseL19gebsrmvn_2xn_kernelILj128ELj9ELj32EfEEvi20rocsparse_direction_NS_24const_host_device_scalarIT2_EEPKiS6_PKS3_S8_S4_PS3_21rocsparse_index_base_b
                                        ; -- End function
	.set _ZN9rocsparseL19gebsrmvn_2xn_kernelILj128ELj9ELj32EfEEvi20rocsparse_direction_NS_24const_host_device_scalarIT2_EEPKiS6_PKS3_S8_S4_PS3_21rocsparse_index_base_b.num_vgpr, 42
	.set _ZN9rocsparseL19gebsrmvn_2xn_kernelILj128ELj9ELj32EfEEvi20rocsparse_direction_NS_24const_host_device_scalarIT2_EEPKiS6_PKS3_S8_S4_PS3_21rocsparse_index_base_b.num_agpr, 0
	.set _ZN9rocsparseL19gebsrmvn_2xn_kernelILj128ELj9ELj32EfEEvi20rocsparse_direction_NS_24const_host_device_scalarIT2_EEPKiS6_PKS3_S8_S4_PS3_21rocsparse_index_base_b.numbered_sgpr, 20
	.set _ZN9rocsparseL19gebsrmvn_2xn_kernelILj128ELj9ELj32EfEEvi20rocsparse_direction_NS_24const_host_device_scalarIT2_EEPKiS6_PKS3_S8_S4_PS3_21rocsparse_index_base_b.num_named_barrier, 0
	.set _ZN9rocsparseL19gebsrmvn_2xn_kernelILj128ELj9ELj32EfEEvi20rocsparse_direction_NS_24const_host_device_scalarIT2_EEPKiS6_PKS3_S8_S4_PS3_21rocsparse_index_base_b.private_seg_size, 0
	.set _ZN9rocsparseL19gebsrmvn_2xn_kernelILj128ELj9ELj32EfEEvi20rocsparse_direction_NS_24const_host_device_scalarIT2_EEPKiS6_PKS3_S8_S4_PS3_21rocsparse_index_base_b.uses_vcc, 1
	.set _ZN9rocsparseL19gebsrmvn_2xn_kernelILj128ELj9ELj32EfEEvi20rocsparse_direction_NS_24const_host_device_scalarIT2_EEPKiS6_PKS3_S8_S4_PS3_21rocsparse_index_base_b.uses_flat_scratch, 0
	.set _ZN9rocsparseL19gebsrmvn_2xn_kernelILj128ELj9ELj32EfEEvi20rocsparse_direction_NS_24const_host_device_scalarIT2_EEPKiS6_PKS3_S8_S4_PS3_21rocsparse_index_base_b.has_dyn_sized_stack, 0
	.set _ZN9rocsparseL19gebsrmvn_2xn_kernelILj128ELj9ELj32EfEEvi20rocsparse_direction_NS_24const_host_device_scalarIT2_EEPKiS6_PKS3_S8_S4_PS3_21rocsparse_index_base_b.has_recursion, 0
	.set _ZN9rocsparseL19gebsrmvn_2xn_kernelILj128ELj9ELj32EfEEvi20rocsparse_direction_NS_24const_host_device_scalarIT2_EEPKiS6_PKS3_S8_S4_PS3_21rocsparse_index_base_b.has_indirect_call, 0
	.section	.AMDGPU.csdata,"",@progbits
; Kernel info:
; codeLenInByte = 2764
; TotalNumSgprs: 22
; NumVgprs: 42
; ScratchSize: 0
; MemoryBound: 0
; FloatMode: 240
; IeeeMode: 1
; LDSByteSize: 0 bytes/workgroup (compile time only)
; SGPRBlocks: 0
; VGPRBlocks: 5
; NumSGPRsForWavesPerEU: 22
; NumVGPRsForWavesPerEU: 42
; Occupancy: 16
; WaveLimiterHint : 1
; COMPUTE_PGM_RSRC2:SCRATCH_EN: 0
; COMPUTE_PGM_RSRC2:USER_SGPR: 6
; COMPUTE_PGM_RSRC2:TRAP_HANDLER: 0
; COMPUTE_PGM_RSRC2:TGID_X_EN: 1
; COMPUTE_PGM_RSRC2:TGID_Y_EN: 0
; COMPUTE_PGM_RSRC2:TGID_Z_EN: 0
; COMPUTE_PGM_RSRC2:TIDIG_COMP_CNT: 0
	.section	.text._ZN9rocsparseL19gebsrmvn_2xn_kernelILj128ELj9ELj64EfEEvi20rocsparse_direction_NS_24const_host_device_scalarIT2_EEPKiS6_PKS3_S8_S4_PS3_21rocsparse_index_base_b,"axG",@progbits,_ZN9rocsparseL19gebsrmvn_2xn_kernelILj128ELj9ELj64EfEEvi20rocsparse_direction_NS_24const_host_device_scalarIT2_EEPKiS6_PKS3_S8_S4_PS3_21rocsparse_index_base_b,comdat
	.globl	_ZN9rocsparseL19gebsrmvn_2xn_kernelILj128ELj9ELj64EfEEvi20rocsparse_direction_NS_24const_host_device_scalarIT2_EEPKiS6_PKS3_S8_S4_PS3_21rocsparse_index_base_b ; -- Begin function _ZN9rocsparseL19gebsrmvn_2xn_kernelILj128ELj9ELj64EfEEvi20rocsparse_direction_NS_24const_host_device_scalarIT2_EEPKiS6_PKS3_S8_S4_PS3_21rocsparse_index_base_b
	.p2align	8
	.type	_ZN9rocsparseL19gebsrmvn_2xn_kernelILj128ELj9ELj64EfEEvi20rocsparse_direction_NS_24const_host_device_scalarIT2_EEPKiS6_PKS3_S8_S4_PS3_21rocsparse_index_base_b,@function
_ZN9rocsparseL19gebsrmvn_2xn_kernelILj128ELj9ELj64EfEEvi20rocsparse_direction_NS_24const_host_device_scalarIT2_EEPKiS6_PKS3_S8_S4_PS3_21rocsparse_index_base_b: ; @_ZN9rocsparseL19gebsrmvn_2xn_kernelILj128ELj9ELj64EfEEvi20rocsparse_direction_NS_24const_host_device_scalarIT2_EEPKiS6_PKS3_S8_S4_PS3_21rocsparse_index_base_b
; %bb.0:
	s_clause 0x2
	s_load_dwordx2 s[18:19], s[4:5], 0x40
	s_load_dwordx2 s[16:17], s[4:5], 0x8
	;; [unrolled: 1-line block ×3, first 2 shown]
	s_waitcnt lgkmcnt(0)
	s_bitcmp1_b32 s19, 0
	s_cselect_b32 s0, -1, 0
	s_and_b32 vcc_lo, exec_lo, s0
	s_xor_b32 s0, s0, -1
	s_cbranch_vccnz .LBB39_2
; %bb.1:
	s_load_dword s16, s[16:17], 0x0
.LBB39_2:
	s_andn2_b32 vcc_lo, exec_lo, s0
	s_cbranch_vccnz .LBB39_4
; %bb.3:
	s_load_dword s2, s[2:3], 0x0
.LBB39_4:
	s_waitcnt lgkmcnt(0)
	v_cmp_eq_f32_e64 s0, s16, 0
	v_cmp_eq_f32_e64 s1, s2, 1.0
	s_and_b32 s0, s0, s1
	s_and_b32 vcc_lo, exec_lo, s0
	s_cbranch_vccnz .LBB39_23
; %bb.5:
	s_load_dwordx2 s[0:1], s[4:5], 0x0
	v_lshrrev_b32_e32 v1, 6, v0
	v_lshl_or_b32 v1, s6, 1, v1
	s_waitcnt lgkmcnt(0)
	v_cmp_gt_i32_e32 vcc_lo, s0, v1
	s_and_saveexec_b32 s0, vcc_lo
	s_cbranch_execz .LBB39_23
; %bb.6:
	s_load_dwordx8 s[8:15], s[4:5], 0x10
	v_ashrrev_i32_e32 v2, 31, v1
	v_and_b32_e32 v0, 63, v0
	s_cmp_lg_u32 s1, 0
	v_lshlrev_b64 v[2:3], 2, v[1:2]
	s_waitcnt lgkmcnt(0)
	v_add_co_u32 v2, vcc_lo, s8, v2
	v_add_co_ci_u32_e64 v3, null, s9, v3, vcc_lo
	global_load_dwordx2 v[2:3], v[2:3], off
	s_waitcnt vmcnt(0)
	v_subrev_nc_u32_e32 v2, s18, v2
	v_subrev_nc_u32_e32 v11, s18, v3
	v_add_nc_u32_e32 v2, v2, v0
	v_cmp_lt_i32_e64 s0, v2, v11
	s_cbranch_scc0 .LBB39_12
; %bb.7:
	v_mov_b32_e32 v9, 0
	v_mov_b32_e32 v10, 0
	s_and_saveexec_b32 s1, s0
	s_cbranch_execz .LBB39_11
; %bb.8:
	v_mad_u64_u32 v[3:4], null, v2, 18, 16
	v_mov_b32_e32 v6, 0
	v_mov_b32_e32 v7, v2
	;; [unrolled: 1-line block ×4, first 2 shown]
	s_mov_b32 s3, 0
.LBB39_9:                               ; =>This Inner Loop Header: Depth=1
	v_ashrrev_i32_e32 v8, 31, v7
	v_mov_b32_e32 v13, v6
	v_lshlrev_b64 v[4:5], 2, v[7:8]
	v_add_nc_u32_e32 v7, 64, v7
	v_add_co_u32 v4, vcc_lo, s10, v4
	v_add_co_ci_u32_e64 v5, null, s11, v5, vcc_lo
	global_load_dword v8, v[4:5], off
	v_add_nc_u32_e32 v5, -16, v3
	v_mov_b32_e32 v4, v6
	v_lshlrev_b64 v[14:15], 2, v[5:6]
	v_add_nc_u32_e32 v5, -14, v3
	v_lshlrev_b64 v[16:17], 2, v[3:4]
	v_lshlrev_b64 v[4:5], 2, v[5:6]
	v_add_co_u32 v14, vcc_lo, s12, v14
	v_add_co_ci_u32_e64 v15, null, s13, v15, vcc_lo
	v_add_co_u32 v16, vcc_lo, s12, v16
	v_add_co_ci_u32_e64 v17, null, s13, v17, vcc_lo
	;; [unrolled: 2-line block ×3, first 2 shown]
	s_clause 0x1
	global_load_dwordx2 v[14:15], v[14:15], off
	global_load_dwordx2 v[18:19], v[4:5], off
	s_waitcnt vmcnt(2)
	v_subrev_nc_u32_e32 v4, s18, v8
	v_lshl_add_u32 v12, v4, 3, v4
	v_add_nc_u32_e32 v5, 1, v12
	v_lshlrev_b64 v[20:21], 2, v[12:13]
	v_lshlrev_b64 v[22:23], 2, v[5:6]
	v_add_nc_u32_e32 v5, -12, v3
	v_add_co_u32 v20, vcc_lo, s14, v20
	v_add_co_ci_u32_e64 v21, null, s15, v21, vcc_lo
	v_add_co_u32 v22, vcc_lo, s14, v22
	v_lshlrev_b64 v[24:25], 2, v[5:6]
	v_add_nc_u32_e32 v5, 2, v12
	v_add_co_ci_u32_e64 v23, null, s15, v23, vcc_lo
	s_clause 0x1
	global_load_dword v8, v[20:21], off
	global_load_dword v36, v[22:23], off
	v_lshlrev_b64 v[20:21], 2, v[5:6]
	v_add_nc_u32_e32 v5, -10, v3
	v_add_co_u32 v22, vcc_lo, s12, v24
	v_add_co_ci_u32_e64 v23, null, s13, v25, vcc_lo
	v_lshlrev_b64 v[24:25], 2, v[5:6]
	v_add_nc_u32_e32 v5, 3, v12
	v_add_co_u32 v20, vcc_lo, s14, v20
	v_add_co_ci_u32_e64 v21, null, s15, v21, vcc_lo
	v_lshlrev_b64 v[26:27], 2, v[5:6]
	v_add_nc_u32_e32 v5, -8, v3
	global_load_dwordx2 v[22:23], v[22:23], off
	global_load_dword v37, v[20:21], off
	v_add_co_u32 v20, vcc_lo, s12, v24
	v_add_co_ci_u32_e64 v21, null, s13, v25, vcc_lo
	v_lshlrev_b64 v[24:25], 2, v[5:6]
	v_add_nc_u32_e32 v5, 4, v12
	v_add_co_u32 v26, vcc_lo, s14, v26
	v_add_co_ci_u32_e64 v27, null, s15, v27, vcc_lo
	v_lshlrev_b64 v[28:29], 2, v[5:6]
	v_add_co_u32 v24, vcc_lo, s12, v24
	v_add_co_ci_u32_e64 v25, null, s13, v25, vcc_lo
	v_add_nc_u32_e32 v5, -6, v3
	v_add_co_u32 v28, vcc_lo, s14, v28
	v_add_co_ci_u32_e64 v29, null, s15, v29, vcc_lo
	global_load_dword v38, v[26:27], off
	s_clause 0x1
	global_load_dwordx2 v[24:25], v[24:25], off
	global_load_dwordx2 v[20:21], v[20:21], off
	global_load_dword v39, v[28:29], off
	v_lshlrev_b64 v[26:27], 2, v[5:6]
	v_add_nc_u32_e32 v5, 5, v12
	v_lshlrev_b64 v[30:31], 2, v[5:6]
	v_add_nc_u32_e32 v5, -4, v3
	v_add_co_u32 v26, vcc_lo, s12, v26
	v_add_co_ci_u32_e64 v27, null, s13, v27, vcc_lo
	v_lshlrev_b64 v[28:29], 2, v[5:6]
	v_add_nc_u32_e32 v5, 6, v12
	v_add_co_u32 v30, vcc_lo, s14, v30
	v_add_co_ci_u32_e64 v31, null, s15, v31, vcc_lo
	v_lshlrev_b64 v[32:33], 2, v[5:6]
	v_add_co_u32 v28, vcc_lo, s12, v28
	v_add_co_ci_u32_e64 v29, null, s13, v29, vcc_lo
	v_add_nc_u32_e32 v5, -2, v3
	v_add_co_u32 v32, vcc_lo, s14, v32
	v_add_co_ci_u32_e64 v33, null, s15, v33, vcc_lo
	global_load_dword v40, v[30:31], off
	s_clause 0x1
	global_load_dwordx2 v[26:27], v[26:27], off
	global_load_dwordx2 v[28:29], v[28:29], off
	global_load_dword v32, v[32:33], off
	v_lshlrev_b64 v[30:31], 2, v[5:6]
	v_add_nc_u32_e32 v5, 7, v12
	v_add_nc_u32_e32 v3, 0x480, v3
	v_lshlrev_b64 v[34:35], 2, v[5:6]
	v_add_nc_u32_e32 v5, 8, v12
	v_add_co_u32 v12, vcc_lo, s12, v30
	v_add_co_ci_u32_e64 v13, null, s13, v31, vcc_lo
	v_lshlrev_b64 v[4:5], 2, v[5:6]
	v_add_co_u32 v30, vcc_lo, s14, v34
	v_add_co_ci_u32_e64 v31, null, s15, v35, vcc_lo
	global_load_dwordx2 v[12:13], v[12:13], off
	global_load_dword v30, v[30:31], off
	v_add_co_u32 v4, vcc_lo, s14, v4
	v_add_co_ci_u32_e64 v5, null, s15, v5, vcc_lo
	global_load_dwordx2 v[16:17], v[16:17], off
	global_load_dword v4, v[4:5], off
	v_cmp_ge_i32_e32 vcc_lo, v7, v11
	s_or_b32 s3, vcc_lo, s3
	s_waitcnt vmcnt(15)
	v_fmac_f32_e32 v9, v14, v8
	v_fmac_f32_e32 v10, v15, v8
	s_waitcnt vmcnt(14)
	v_fmac_f32_e32 v9, v18, v36
	v_fmac_f32_e32 v10, v19, v36
	;; [unrolled: 3-line block ×9, first 2 shown]
	s_andn2_b32 exec_lo, exec_lo, s3
	s_cbranch_execnz .LBB39_9
; %bb.10:
	s_or_b32 exec_lo, exec_lo, s3
.LBB39_11:
	s_or_b32 exec_lo, exec_lo, s1
	s_cbranch_execz .LBB39_13
	s_branch .LBB39_18
.LBB39_12:
                                        ; implicit-def: $vgpr9
                                        ; implicit-def: $vgpr10
.LBB39_13:
	v_mov_b32_e32 v9, 0
	v_mov_b32_e32 v10, 0
	s_and_saveexec_b32 s1, s0
	s_cbranch_execz .LBB39_17
; %bb.14:
	v_mad_u64_u32 v[4:5], null, v2, 18, 17
	v_mov_b32_e32 v7, 0
	v_mov_b32_e32 v9, 0
	;; [unrolled: 1-line block ×3, first 2 shown]
	s_mov_b32 s0, 0
.LBB39_15:                              ; =>This Inner Loop Header: Depth=1
	v_ashrrev_i32_e32 v3, 31, v2
	v_add_nc_u32_e32 v12, -8, v4
	v_mov_b32_e32 v13, v7
	v_mov_b32_e32 v14, v7
	v_lshlrev_b64 v[5:6], 2, v[2:3]
	v_add_nc_u32_e32 v2, 64, v2
	v_lshlrev_b64 v[12:13], 2, v[12:13]
	v_add_co_u32 v5, vcc_lo, s10, v5
	v_add_co_ci_u32_e64 v6, null, s11, v6, vcc_lo
	global_load_dword v3, v[5:6], off
	v_subrev_nc_u32_e32 v6, 17, v4
	v_mov_b32_e32 v5, v7
	v_lshlrev_b64 v[15:16], 2, v[6:7]
	v_lshlrev_b64 v[5:6], 2, v[4:5]
	v_add_co_u32 v15, vcc_lo, s12, v15
	v_add_co_ci_u32_e64 v16, null, s13, v16, vcc_lo
	v_add_co_u32 v12, vcc_lo, s12, v12
	v_add_co_ci_u32_e64 v13, null, s13, v13, vcc_lo
	s_clause 0x1
	global_load_dwordx2 v[15:16], v[15:16], off
	global_load_dword v8, v[12:13], off
	v_add_co_u32 v17, vcc_lo, s12, v5
	v_add_co_ci_u32_e64 v18, null, s13, v6, vcc_lo
	s_waitcnt vmcnt(2)
	v_subrev_nc_u32_e32 v3, s18, v3
	v_lshl_add_u32 v13, v3, 3, v3
	v_add_nc_u32_e32 v6, 1, v13
	v_lshlrev_b64 v[19:20], 2, v[13:14]
	v_lshlrev_b64 v[21:22], 2, v[6:7]
	v_add_nc_u32_e32 v6, -7, v4
	v_add_co_u32 v19, vcc_lo, s14, v19
	v_add_co_ci_u32_e64 v20, null, s15, v20, vcc_lo
	v_lshlrev_b64 v[23:24], 2, v[6:7]
	v_add_nc_u32_e32 v6, -15, v4
	global_load_dword v3, v[19:20], off
	v_add_co_u32 v19, vcc_lo, s14, v21
	v_add_co_ci_u32_e64 v20, null, s15, v22, vcc_lo
	v_lshlrev_b64 v[21:22], 2, v[6:7]
	v_add_nc_u32_e32 v6, 2, v13
	v_add_co_u32 v23, vcc_lo, s12, v23
	v_add_co_ci_u32_e64 v24, null, s13, v24, vcc_lo
	global_load_dword v14, v[19:20], off
	v_lshlrev_b64 v[19:20], 2, v[6:7]
	v_add_co_u32 v21, vcc_lo, s12, v21
	v_add_nc_u32_e32 v6, -6, v4
	v_add_co_ci_u32_e64 v22, null, s13, v22, vcc_lo
	v_add_co_u32 v19, vcc_lo, s14, v19
	s_clause 0x1
	global_load_dword v25, v[23:24], off
	global_load_dword v26, v[21:22], off
	v_lshlrev_b64 v[23:24], 2, v[6:7]
	v_add_co_ci_u32_e64 v20, null, s15, v20, vcc_lo
	v_add_nc_u32_e32 v6, -14, v4
	global_load_dword v27, v[19:20], off
	v_add_co_u32 v19, vcc_lo, s12, v23
	v_add_co_ci_u32_e64 v20, null, s13, v24, vcc_lo
	global_load_dword v28, v[19:20], off
	v_lshlrev_b64 v[21:22], 2, v[6:7]
	v_add_nc_u32_e32 v6, 3, v13
	v_lshlrev_b64 v[23:24], 2, v[6:7]
	v_add_nc_u32_e32 v6, -5, v4
	v_add_co_u32 v21, vcc_lo, s12, v21
	v_add_co_ci_u32_e64 v22, null, s13, v22, vcc_lo
	v_lshlrev_b64 v[19:20], 2, v[6:7]
	v_add_nc_u32_e32 v6, -13, v4
	global_load_dword v29, v[21:22], off
	v_add_co_u32 v21, vcc_lo, s14, v23
	v_add_co_ci_u32_e64 v22, null, s15, v24, vcc_lo
	v_lshlrev_b64 v[23:24], 2, v[6:7]
	v_add_nc_u32_e32 v6, 4, v13
	v_add_co_u32 v19, vcc_lo, s12, v19
	v_add_co_ci_u32_e64 v20, null, s13, v20, vcc_lo
	global_load_dword v30, v[21:22], off
	v_lshlrev_b64 v[21:22], 2, v[6:7]
	v_add_nc_u32_e32 v6, -4, v4
	global_load_dword v31, v[19:20], off
	v_add_co_u32 v19, vcc_lo, s12, v23
	v_add_co_ci_u32_e64 v20, null, s13, v24, vcc_lo
	v_lshlrev_b64 v[23:24], 2, v[6:7]
	v_add_nc_u32_e32 v6, -12, v4
	v_add_co_u32 v21, vcc_lo, s14, v21
	v_add_co_ci_u32_e64 v22, null, s15, v22, vcc_lo
	global_load_dword v32, v[19:20], off
	v_lshlrev_b64 v[19:20], 2, v[6:7]
	v_add_nc_u32_e32 v6, 5, v13
	global_load_dword v33, v[21:22], off
	v_add_co_u32 v21, vcc_lo, s12, v23
	v_add_co_ci_u32_e64 v22, null, s13, v24, vcc_lo
	v_add_co_u32 v19, vcc_lo, s12, v19
	v_lshlrev_b64 v[23:24], 2, v[6:7]
	v_add_nc_u32_e32 v6, -3, v4
	v_add_co_ci_u32_e64 v20, null, s13, v20, vcc_lo
	s_clause 0x1
	global_load_dword v34, v[21:22], off
	global_load_dword v35, v[19:20], off
	v_lshlrev_b64 v[21:22], 2, v[6:7]
	v_add_nc_u32_e32 v6, -11, v4
	v_add_co_u32 v19, vcc_lo, s14, v23
	v_add_co_ci_u32_e64 v20, null, s15, v24, vcc_lo
	v_lshlrev_b64 v[23:24], 2, v[6:7]
	v_add_nc_u32_e32 v6, 6, v13
	v_add_co_u32 v21, vcc_lo, s12, v21
	v_add_co_ci_u32_e64 v22, null, s13, v22, vcc_lo
	global_load_dword v36, v[19:20], off
	v_lshlrev_b64 v[19:20], 2, v[6:7]
	v_add_nc_u32_e32 v6, -2, v4
	global_load_dword v37, v[21:22], off
	v_add_co_u32 v21, vcc_lo, s12, v23
	v_add_co_ci_u32_e64 v22, null, s13, v24, vcc_lo
	v_add_co_u32 v19, vcc_lo, s14, v19
	v_lshlrev_b64 v[23:24], 2, v[6:7]
	v_add_co_ci_u32_e64 v20, null, s15, v20, vcc_lo
	v_add_nc_u32_e32 v6, -10, v4
	global_load_dword v38, v[21:22], off
	global_load_dword v39, v[19:20], off
	v_add_co_u32 v19, vcc_lo, s12, v23
	v_add_co_ci_u32_e64 v20, null, s13, v24, vcc_lo
	global_load_dword v40, v[19:20], off
	v_lshlrev_b64 v[21:22], 2, v[6:7]
	v_add_nc_u32_e32 v6, 7, v13
	v_lshlrev_b64 v[23:24], 2, v[6:7]
	v_add_nc_u32_e32 v6, -1, v4
	v_add_co_u32 v21, vcc_lo, s12, v21
	v_add_co_ci_u32_e64 v22, null, s13, v22, vcc_lo
	v_lshlrev_b64 v[19:20], 2, v[6:7]
	v_add_nc_u32_e32 v6, -9, v4
	v_add_nc_u32_e32 v4, 0x480, v4
	global_load_dword v41, v[21:22], off
	v_add_co_u32 v21, vcc_lo, s14, v23
	v_add_co_ci_u32_e64 v22, null, s15, v24, vcc_lo
	v_lshlrev_b64 v[23:24], 2, v[6:7]
	v_add_nc_u32_e32 v6, 8, v13
	v_add_co_u32 v12, vcc_lo, s12, v19
	v_add_co_ci_u32_e64 v13, null, s13, v20, vcc_lo
	v_lshlrev_b64 v[5:6], 2, v[6:7]
	global_load_dword v19, v[21:22], off
	global_load_dword v20, v[12:13], off
	v_add_co_u32 v12, vcc_lo, s12, v23
	v_add_co_ci_u32_e64 v13, null, s13, v24, vcc_lo
	v_add_co_u32 v5, vcc_lo, s14, v5
	v_add_co_ci_u32_e64 v6, null, s15, v6, vcc_lo
	s_clause 0x1
	global_load_dword v17, v[17:18], off
	global_load_dword v12, v[12:13], off
	;; [unrolled: 1-line block ×3, first 2 shown]
	v_cmp_ge_i32_e32 vcc_lo, v2, v11
	s_or_b32 s0, vcc_lo, s0
	s_waitcnt vmcnt(23)
	v_fmac_f32_e32 v9, v15, v3
	v_fmac_f32_e32 v10, v8, v3
	s_waitcnt vmcnt(22)
	v_fmac_f32_e32 v9, v16, v14
	s_waitcnt vmcnt(21)
	;; [unrolled: 2-line block ×15, first 2 shown]
	v_fmac_f32_e32 v9, v12, v5
	v_fmac_f32_e32 v10, v17, v5
	s_andn2_b32 exec_lo, exec_lo, s0
	s_cbranch_execnz .LBB39_15
; %bb.16:
	s_or_b32 exec_lo, exec_lo, s0
.LBB39_17:
	s_or_b32 exec_lo, exec_lo, s1
.LBB39_18:
	v_mbcnt_lo_u32_b32 v2, -1, 0
	s_mov_b32 s3, -1
	v_or_b32_e32 v3, 32, v2
	v_xor_b32_e32 v5, 16, v2
	v_xor_b32_e32 v7, 8, v2
	v_cmp_gt_i32_e32 vcc_lo, 32, v3
	v_cndmask_b32_e32 v3, v2, v3, vcc_lo
	v_cmp_gt_i32_e32 vcc_lo, 32, v5
	v_lshlrev_b32_e32 v3, 2, v3
	v_cndmask_b32_e32 v5, v2, v5, vcc_lo
	v_cmp_gt_i32_e32 vcc_lo, 32, v7
	ds_bpermute_b32 v4, v3, v9
	ds_bpermute_b32 v3, v3, v10
	v_lshlrev_b32_e32 v5, 2, v5
	v_cndmask_b32_e32 v7, v2, v7, vcc_lo
	v_lshlrev_b32_e32 v7, 2, v7
	s_waitcnt lgkmcnt(1)
	v_add_f32_e32 v4, v9, v4
	s_waitcnt lgkmcnt(0)
	v_add_f32_e32 v3, v10, v3
	ds_bpermute_b32 v6, v5, v4
	ds_bpermute_b32 v5, v5, v3
	s_waitcnt lgkmcnt(1)
	v_add_f32_e32 v4, v4, v6
	s_waitcnt lgkmcnt(0)
	v_add_f32_e32 v3, v3, v5
	ds_bpermute_b32 v5, v7, v4
	ds_bpermute_b32 v6, v7, v3
	v_xor_b32_e32 v7, 4, v2
	v_cmp_gt_i32_e32 vcc_lo, 32, v7
	v_cndmask_b32_e32 v7, v2, v7, vcc_lo
	v_lshlrev_b32_e32 v7, 2, v7
	s_waitcnt lgkmcnt(1)
	v_add_f32_e32 v4, v4, v5
	s_waitcnt lgkmcnt(0)
	v_add_f32_e32 v3, v3, v6
	ds_bpermute_b32 v5, v7, v4
	ds_bpermute_b32 v6, v7, v3
	v_xor_b32_e32 v7, 2, v2
	v_cmp_gt_i32_e32 vcc_lo, 32, v7
	v_cndmask_b32_e32 v7, v2, v7, vcc_lo
	v_lshlrev_b32_e32 v7, 2, v7
	s_waitcnt lgkmcnt(1)
	v_add_f32_e32 v4, v4, v5
	s_waitcnt lgkmcnt(0)
	v_add_f32_e32 v3, v3, v6
	ds_bpermute_b32 v5, v7, v4
	ds_bpermute_b32 v6, v7, v3
	v_xor_b32_e32 v7, 1, v2
	v_cmp_gt_i32_e32 vcc_lo, 32, v7
	v_cndmask_b32_e32 v2, v2, v7, vcc_lo
	v_cmp_eq_u32_e32 vcc_lo, 63, v0
	v_lshlrev_b32_e32 v7, 2, v2
	s_waitcnt lgkmcnt(1)
	v_add_f32_e32 v2, v4, v5
	s_waitcnt lgkmcnt(0)
	v_add_f32_e32 v3, v3, v6
	ds_bpermute_b32 v4, v7, v2
	ds_bpermute_b32 v5, v7, v3
	s_and_b32 exec_lo, exec_lo, vcc_lo
	s_cbranch_execz .LBB39_23
; %bb.19:
	s_load_dwordx2 s[0:1], s[4:5], 0x38
	s_waitcnt lgkmcnt(0)
	v_add_f32_e32 v0, v2, v4
	v_add_f32_e32 v3, v3, v5
	v_cmp_eq_f32_e64 s4, s2, 0
	v_mul_f32_e32 v2, s16, v0
	v_mul_f32_e32 v3, s16, v3
	v_lshlrev_b32_e32 v0, 1, v1
	s_and_b32 vcc_lo, exec_lo, s4
	s_cbranch_vccz .LBB39_21
; %bb.20:
	v_ashrrev_i32_e32 v1, 31, v0
	s_mov_b32 s3, 0
	v_lshlrev_b64 v[4:5], 2, v[0:1]
	v_add_co_u32 v4, vcc_lo, s0, v4
	v_add_co_ci_u32_e64 v5, null, s1, v5, vcc_lo
	global_store_dwordx2 v[4:5], v[2:3], off
.LBB39_21:
	s_andn2_b32 vcc_lo, exec_lo, s3
	s_cbranch_vccnz .LBB39_23
; %bb.22:
	v_ashrrev_i32_e32 v1, 31, v0
	v_lshlrev_b64 v[0:1], 2, v[0:1]
	v_add_co_u32 v0, vcc_lo, s0, v0
	v_add_co_ci_u32_e64 v1, null, s1, v1, vcc_lo
	global_load_dwordx2 v[4:5], v[0:1], off
	s_waitcnt vmcnt(0)
	v_fmac_f32_e32 v2, s2, v4
	v_fmac_f32_e32 v3, s2, v5
	global_store_dwordx2 v[0:1], v[2:3], off
.LBB39_23:
	s_endpgm
	.section	.rodata,"a",@progbits
	.p2align	6, 0x0
	.amdhsa_kernel _ZN9rocsparseL19gebsrmvn_2xn_kernelILj128ELj9ELj64EfEEvi20rocsparse_direction_NS_24const_host_device_scalarIT2_EEPKiS6_PKS3_S8_S4_PS3_21rocsparse_index_base_b
		.amdhsa_group_segment_fixed_size 0
		.amdhsa_private_segment_fixed_size 0
		.amdhsa_kernarg_size 72
		.amdhsa_user_sgpr_count 6
		.amdhsa_user_sgpr_private_segment_buffer 1
		.amdhsa_user_sgpr_dispatch_ptr 0
		.amdhsa_user_sgpr_queue_ptr 0
		.amdhsa_user_sgpr_kernarg_segment_ptr 1
		.amdhsa_user_sgpr_dispatch_id 0
		.amdhsa_user_sgpr_flat_scratch_init 0
		.amdhsa_user_sgpr_private_segment_size 0
		.amdhsa_wavefront_size32 1
		.amdhsa_uses_dynamic_stack 0
		.amdhsa_system_sgpr_private_segment_wavefront_offset 0
		.amdhsa_system_sgpr_workgroup_id_x 1
		.amdhsa_system_sgpr_workgroup_id_y 0
		.amdhsa_system_sgpr_workgroup_id_z 0
		.amdhsa_system_sgpr_workgroup_info 0
		.amdhsa_system_vgpr_workitem_id 0
		.amdhsa_next_free_vgpr 42
		.amdhsa_next_free_sgpr 20
		.amdhsa_reserve_vcc 1
		.amdhsa_reserve_flat_scratch 0
		.amdhsa_float_round_mode_32 0
		.amdhsa_float_round_mode_16_64 0
		.amdhsa_float_denorm_mode_32 3
		.amdhsa_float_denorm_mode_16_64 3
		.amdhsa_dx10_clamp 1
		.amdhsa_ieee_mode 1
		.amdhsa_fp16_overflow 0
		.amdhsa_workgroup_processor_mode 1
		.amdhsa_memory_ordered 1
		.amdhsa_forward_progress 1
		.amdhsa_shared_vgpr_count 0
		.amdhsa_exception_fp_ieee_invalid_op 0
		.amdhsa_exception_fp_denorm_src 0
		.amdhsa_exception_fp_ieee_div_zero 0
		.amdhsa_exception_fp_ieee_overflow 0
		.amdhsa_exception_fp_ieee_underflow 0
		.amdhsa_exception_fp_ieee_inexact 0
		.amdhsa_exception_int_div_zero 0
	.end_amdhsa_kernel
	.section	.text._ZN9rocsparseL19gebsrmvn_2xn_kernelILj128ELj9ELj64EfEEvi20rocsparse_direction_NS_24const_host_device_scalarIT2_EEPKiS6_PKS3_S8_S4_PS3_21rocsparse_index_base_b,"axG",@progbits,_ZN9rocsparseL19gebsrmvn_2xn_kernelILj128ELj9ELj64EfEEvi20rocsparse_direction_NS_24const_host_device_scalarIT2_EEPKiS6_PKS3_S8_S4_PS3_21rocsparse_index_base_b,comdat
.Lfunc_end39:
	.size	_ZN9rocsparseL19gebsrmvn_2xn_kernelILj128ELj9ELj64EfEEvi20rocsparse_direction_NS_24const_host_device_scalarIT2_EEPKiS6_PKS3_S8_S4_PS3_21rocsparse_index_base_b, .Lfunc_end39-_ZN9rocsparseL19gebsrmvn_2xn_kernelILj128ELj9ELj64EfEEvi20rocsparse_direction_NS_24const_host_device_scalarIT2_EEPKiS6_PKS3_S8_S4_PS3_21rocsparse_index_base_b
                                        ; -- End function
	.set _ZN9rocsparseL19gebsrmvn_2xn_kernelILj128ELj9ELj64EfEEvi20rocsparse_direction_NS_24const_host_device_scalarIT2_EEPKiS6_PKS3_S8_S4_PS3_21rocsparse_index_base_b.num_vgpr, 42
	.set _ZN9rocsparseL19gebsrmvn_2xn_kernelILj128ELj9ELj64EfEEvi20rocsparse_direction_NS_24const_host_device_scalarIT2_EEPKiS6_PKS3_S8_S4_PS3_21rocsparse_index_base_b.num_agpr, 0
	.set _ZN9rocsparseL19gebsrmvn_2xn_kernelILj128ELj9ELj64EfEEvi20rocsparse_direction_NS_24const_host_device_scalarIT2_EEPKiS6_PKS3_S8_S4_PS3_21rocsparse_index_base_b.numbered_sgpr, 20
	.set _ZN9rocsparseL19gebsrmvn_2xn_kernelILj128ELj9ELj64EfEEvi20rocsparse_direction_NS_24const_host_device_scalarIT2_EEPKiS6_PKS3_S8_S4_PS3_21rocsparse_index_base_b.num_named_barrier, 0
	.set _ZN9rocsparseL19gebsrmvn_2xn_kernelILj128ELj9ELj64EfEEvi20rocsparse_direction_NS_24const_host_device_scalarIT2_EEPKiS6_PKS3_S8_S4_PS3_21rocsparse_index_base_b.private_seg_size, 0
	.set _ZN9rocsparseL19gebsrmvn_2xn_kernelILj128ELj9ELj64EfEEvi20rocsparse_direction_NS_24const_host_device_scalarIT2_EEPKiS6_PKS3_S8_S4_PS3_21rocsparse_index_base_b.uses_vcc, 1
	.set _ZN9rocsparseL19gebsrmvn_2xn_kernelILj128ELj9ELj64EfEEvi20rocsparse_direction_NS_24const_host_device_scalarIT2_EEPKiS6_PKS3_S8_S4_PS3_21rocsparse_index_base_b.uses_flat_scratch, 0
	.set _ZN9rocsparseL19gebsrmvn_2xn_kernelILj128ELj9ELj64EfEEvi20rocsparse_direction_NS_24const_host_device_scalarIT2_EEPKiS6_PKS3_S8_S4_PS3_21rocsparse_index_base_b.has_dyn_sized_stack, 0
	.set _ZN9rocsparseL19gebsrmvn_2xn_kernelILj128ELj9ELj64EfEEvi20rocsparse_direction_NS_24const_host_device_scalarIT2_EEPKiS6_PKS3_S8_S4_PS3_21rocsparse_index_base_b.has_recursion, 0
	.set _ZN9rocsparseL19gebsrmvn_2xn_kernelILj128ELj9ELj64EfEEvi20rocsparse_direction_NS_24const_host_device_scalarIT2_EEPKiS6_PKS3_S8_S4_PS3_21rocsparse_index_base_b.has_indirect_call, 0
	.section	.AMDGPU.csdata,"",@progbits
; Kernel info:
; codeLenInByte = 2812
; TotalNumSgprs: 22
; NumVgprs: 42
; ScratchSize: 0
; MemoryBound: 0
; FloatMode: 240
; IeeeMode: 1
; LDSByteSize: 0 bytes/workgroup (compile time only)
; SGPRBlocks: 0
; VGPRBlocks: 5
; NumSGPRsForWavesPerEU: 22
; NumVGPRsForWavesPerEU: 42
; Occupancy: 16
; WaveLimiterHint : 1
; COMPUTE_PGM_RSRC2:SCRATCH_EN: 0
; COMPUTE_PGM_RSRC2:USER_SGPR: 6
; COMPUTE_PGM_RSRC2:TRAP_HANDLER: 0
; COMPUTE_PGM_RSRC2:TGID_X_EN: 1
; COMPUTE_PGM_RSRC2:TGID_Y_EN: 0
; COMPUTE_PGM_RSRC2:TGID_Z_EN: 0
; COMPUTE_PGM_RSRC2:TIDIG_COMP_CNT: 0
	.section	.text._ZN9rocsparseL19gebsrmvn_2xn_kernelILj128ELj10ELj4EfEEvi20rocsparse_direction_NS_24const_host_device_scalarIT2_EEPKiS6_PKS3_S8_S4_PS3_21rocsparse_index_base_b,"axG",@progbits,_ZN9rocsparseL19gebsrmvn_2xn_kernelILj128ELj10ELj4EfEEvi20rocsparse_direction_NS_24const_host_device_scalarIT2_EEPKiS6_PKS3_S8_S4_PS3_21rocsparse_index_base_b,comdat
	.globl	_ZN9rocsparseL19gebsrmvn_2xn_kernelILj128ELj10ELj4EfEEvi20rocsparse_direction_NS_24const_host_device_scalarIT2_EEPKiS6_PKS3_S8_S4_PS3_21rocsparse_index_base_b ; -- Begin function _ZN9rocsparseL19gebsrmvn_2xn_kernelILj128ELj10ELj4EfEEvi20rocsparse_direction_NS_24const_host_device_scalarIT2_EEPKiS6_PKS3_S8_S4_PS3_21rocsparse_index_base_b
	.p2align	8
	.type	_ZN9rocsparseL19gebsrmvn_2xn_kernelILj128ELj10ELj4EfEEvi20rocsparse_direction_NS_24const_host_device_scalarIT2_EEPKiS6_PKS3_S8_S4_PS3_21rocsparse_index_base_b,@function
_ZN9rocsparseL19gebsrmvn_2xn_kernelILj128ELj10ELj4EfEEvi20rocsparse_direction_NS_24const_host_device_scalarIT2_EEPKiS6_PKS3_S8_S4_PS3_21rocsparse_index_base_b: ; @_ZN9rocsparseL19gebsrmvn_2xn_kernelILj128ELj10ELj4EfEEvi20rocsparse_direction_NS_24const_host_device_scalarIT2_EEPKiS6_PKS3_S8_S4_PS3_21rocsparse_index_base_b
; %bb.0:
	s_clause 0x2
	s_load_dwordx2 s[18:19], s[4:5], 0x40
	s_load_dwordx2 s[16:17], s[4:5], 0x8
	s_load_dwordx2 s[2:3], s[4:5], 0x30
	s_waitcnt lgkmcnt(0)
	s_bitcmp1_b32 s19, 0
	s_cselect_b32 s0, -1, 0
	s_and_b32 vcc_lo, exec_lo, s0
	s_xor_b32 s0, s0, -1
	s_cbranch_vccnz .LBB40_2
; %bb.1:
	s_load_dword s16, s[16:17], 0x0
.LBB40_2:
	s_andn2_b32 vcc_lo, exec_lo, s0
	s_cbranch_vccnz .LBB40_4
; %bb.3:
	s_load_dword s2, s[2:3], 0x0
.LBB40_4:
	s_waitcnt lgkmcnt(0)
	v_cmp_eq_f32_e64 s0, s16, 0
	v_cmp_eq_f32_e64 s1, s2, 1.0
	s_and_b32 s0, s0, s1
	s_and_b32 vcc_lo, exec_lo, s0
	s_cbranch_vccnz .LBB40_23
; %bb.5:
	s_load_dwordx2 s[0:1], s[4:5], 0x0
	v_lshrrev_b32_e32 v1, 2, v0
	v_lshl_or_b32 v1, s6, 5, v1
	s_waitcnt lgkmcnt(0)
	v_cmp_gt_i32_e32 vcc_lo, s0, v1
	s_and_saveexec_b32 s0, vcc_lo
	s_cbranch_execz .LBB40_23
; %bb.6:
	s_load_dwordx8 s[8:15], s[4:5], 0x10
	v_ashrrev_i32_e32 v2, 31, v1
	v_and_b32_e32 v0, 3, v0
	s_cmp_lg_u32 s1, 0
	v_lshlrev_b64 v[2:3], 2, v[1:2]
	s_waitcnt lgkmcnt(0)
	v_add_co_u32 v2, vcc_lo, s8, v2
	v_add_co_ci_u32_e64 v3, null, s9, v3, vcc_lo
	global_load_dwordx2 v[2:3], v[2:3], off
	s_waitcnt vmcnt(0)
	v_subrev_nc_u32_e32 v2, s18, v2
	v_subrev_nc_u32_e32 v11, s18, v3
	v_add_nc_u32_e32 v2, v2, v0
	v_cmp_lt_i32_e64 s0, v2, v11
	s_cbranch_scc0 .LBB40_12
; %bb.7:
	v_mov_b32_e32 v9, 0
	v_mov_b32_e32 v10, 0
	s_and_saveexec_b32 s3, s0
	s_cbranch_execz .LBB40_11
; %bb.8:
	v_mad_u64_u32 v[3:4], null, v2, 20, 18
	v_mov_b32_e32 v6, 0
	v_mov_b32_e32 v7, v2
	;; [unrolled: 1-line block ×4, first 2 shown]
	s_mov_b32 s6, 0
.LBB40_9:                               ; =>This Inner Loop Header: Depth=1
	v_ashrrev_i32_e32 v8, 31, v7
	v_mov_b32_e32 v17, v6
	v_lshlrev_b64 v[4:5], 2, v[7:8]
	v_add_nc_u32_e32 v7, 4, v7
	v_add_co_u32 v4, vcc_lo, s10, v4
	v_add_co_ci_u32_e64 v5, null, s11, v5, vcc_lo
	global_load_dword v8, v[4:5], off
	v_subrev_nc_u32_e32 v5, 18, v3
	v_mov_b32_e32 v4, v6
	v_lshlrev_b64 v[12:13], 2, v[5:6]
	v_add_nc_u32_e32 v5, -14, v3
	v_lshlrev_b64 v[18:19], 2, v[3:4]
	v_lshlrev_b64 v[4:5], 2, v[5:6]
	v_add_co_u32 v12, vcc_lo, s12, v12
	v_add_co_ci_u32_e64 v13, null, s13, v13, vcc_lo
	v_add_co_u32 v18, vcc_lo, s12, v18
	v_add_co_u32 v4, s1, s12, v4
	v_add_co_ci_u32_e64 v5, null, s13, v5, s1
	s_clause 0x1
	global_load_dwordx4 v[12:15], v[12:13], off
	global_load_dwordx2 v[20:21], v[4:5], off
	v_add_co_ci_u32_e64 v19, null, s13, v19, vcc_lo
	v_cmp_ge_i32_e32 vcc_lo, v7, v11
	s_or_b32 s6, vcc_lo, s6
	s_waitcnt vmcnt(2)
	v_subrev_nc_u32_e32 v4, s18, v8
	v_mul_lo_u32 v16, v4, 10
	v_add_nc_u32_e32 v5, 2, v16
	v_lshlrev_b64 v[22:23], 2, v[16:17]
	v_lshlrev_b64 v[24:25], 2, v[5:6]
	v_add_nc_u32_e32 v5, -12, v3
	v_add_co_u32 v22, s1, s14, v22
	v_add_co_ci_u32_e64 v23, null, s15, v23, s1
	v_lshlrev_b64 v[26:27], 2, v[5:6]
	v_add_nc_u32_e32 v5, -10, v3
	v_add_co_u32 v24, s1, s14, v24
	global_load_dwordx2 v[22:23], v[22:23], off
	v_add_co_ci_u32_e64 v25, null, s15, v25, s1
	v_lshlrev_b64 v[28:29], 2, v[5:6]
	v_add_nc_u32_e32 v5, 4, v16
	v_add_co_u32 v26, s1, s12, v26
	v_add_co_ci_u32_e64 v27, null, s13, v27, s1
	v_lshlrev_b64 v[30:31], 2, v[5:6]
	v_add_nc_u32_e32 v5, -8, v3
	global_load_dwordx2 v[24:25], v[24:25], off
	v_add_co_u32 v28, s1, s12, v28
	v_add_co_ci_u32_e64 v29, null, s13, v29, s1
	v_lshlrev_b64 v[32:33], 2, v[5:6]
	v_add_nc_u32_e32 v5, -6, v3
	v_add_co_u32 v30, s1, s14, v30
	s_clause 0x1
	global_load_dwordx2 v[26:27], v[26:27], off
	global_load_dwordx2 v[28:29], v[28:29], off
	v_lshlrev_b64 v[34:35], 2, v[5:6]
	v_add_nc_u32_e32 v5, 6, v16
	v_add_co_ci_u32_e64 v31, null, s15, v31, s1
	v_add_co_u32 v32, s1, s12, v32
	v_lshlrev_b64 v[36:37], 2, v[5:6]
	v_add_nc_u32_e32 v5, -4, v3
	global_load_dwordx2 v[30:31], v[30:31], off
	v_add_co_ci_u32_e64 v33, null, s13, v33, s1
	v_add_co_u32 v34, s1, s12, v34
	v_lshlrev_b64 v[38:39], 2, v[5:6]
	v_add_nc_u32_e32 v5, -2, v3
	v_add_co_ci_u32_e64 v35, null, s13, v35, s1
	v_add_co_u32 v36, s1, s14, v36
	v_lshlrev_b64 v[40:41], 2, v[5:6]
	v_add_nc_u32_e32 v5, 8, v16
	s_clause 0x1
	global_load_dwordx2 v[32:33], v[32:33], off
	global_load_dwordx2 v[34:35], v[34:35], off
	v_add_co_ci_u32_e64 v37, null, s15, v37, s1
	v_add_co_u32 v16, s1, s12, v38
	v_lshlrev_b64 v[4:5], 2, v[5:6]
	v_add_co_ci_u32_e64 v17, null, s13, v39, s1
	global_load_dwordx2 v[36:37], v[36:37], off
	v_add_co_u32 v38, s1, s12, v40
	global_load_dwordx2 v[16:17], v[16:17], off
	v_add_co_ci_u32_e64 v39, null, s13, v41, s1
	v_add_co_u32 v4, s1, s14, v4
	v_add_co_ci_u32_e64 v5, null, s15, v5, s1
	global_load_dwordx2 v[38:39], v[38:39], off
	global_load_dwordx2 v[4:5], v[4:5], off
	;; [unrolled: 1-line block ×3, first 2 shown]
	v_add_nc_u32_e32 v3, 0x50, v3
	s_waitcnt vmcnt(11)
	v_fmac_f32_e32 v9, v12, v22
	v_fmac_f32_e32 v10, v13, v22
	;; [unrolled: 1-line block ×4, first 2 shown]
	s_waitcnt vmcnt(10)
	v_fmac_f32_e32 v9, v20, v24
	v_fmac_f32_e32 v10, v21, v24
	s_waitcnt vmcnt(9)
	v_fmac_f32_e32 v9, v26, v25
	v_fmac_f32_e32 v10, v27, v25
	;; [unrolled: 3-line block ×8, first 2 shown]
	s_andn2_b32 exec_lo, exec_lo, s6
	s_cbranch_execnz .LBB40_9
; %bb.10:
	s_or_b32 exec_lo, exec_lo, s6
.LBB40_11:
	s_or_b32 exec_lo, exec_lo, s3
	s_cbranch_execz .LBB40_13
	s_branch .LBB40_18
.LBB40_12:
                                        ; implicit-def: $vgpr9
                                        ; implicit-def: $vgpr10
.LBB40_13:
	v_mov_b32_e32 v9, 0
	v_mov_b32_e32 v10, 0
	s_and_saveexec_b32 s1, s0
	s_cbranch_execz .LBB40_17
; %bb.14:
	v_mad_u64_u32 v[4:5], null, v2, 20, 19
	v_mov_b32_e32 v7, 0
	v_mov_b32_e32 v9, 0
	;; [unrolled: 1-line block ×3, first 2 shown]
	s_mov_b32 s0, 0
.LBB40_15:                              ; =>This Inner Loop Header: Depth=1
	v_ashrrev_i32_e32 v3, 31, v2
	v_add_nc_u32_e32 v12, -9, v4
	v_mov_b32_e32 v13, v7
	v_mov_b32_e32 v17, v7
	v_lshlrev_b64 v[5:6], 2, v[2:3]
	v_add_nc_u32_e32 v2, 4, v2
	v_lshlrev_b64 v[12:13], 2, v[12:13]
	v_add_co_u32 v5, vcc_lo, s10, v5
	v_add_co_ci_u32_e64 v6, null, s11, v6, vcc_lo
	global_load_dword v3, v[5:6], off
	v_subrev_nc_u32_e32 v6, 19, v4
	v_mov_b32_e32 v5, v7
	v_lshlrev_b64 v[14:15], 2, v[6:7]
	v_add_nc_u32_e32 v6, -8, v4
	v_lshlrev_b64 v[18:19], 2, v[4:5]
	v_lshlrev_b64 v[5:6], 2, v[6:7]
	v_add_co_u32 v14, vcc_lo, s12, v14
	v_add_co_ci_u32_e64 v15, null, s13, v15, vcc_lo
	v_add_co_u32 v20, vcc_lo, s12, v12
	v_add_co_ci_u32_e64 v21, null, s13, v13, vcc_lo
	;; [unrolled: 2-line block ×4, first 2 shown]
	s_clause 0x2
	global_load_dwordx4 v[12:15], v[14:15], off
	global_load_dword v8, v[20:21], off
	global_load_dword v34, v[5:6], off
	s_waitcnt vmcnt(3)
	v_subrev_nc_u32_e32 v3, s18, v3
	v_mul_lo_u32 v16, v3, 10
	v_add_nc_u32_e32 v6, 2, v16
	v_lshlrev_b64 v[20:21], 2, v[16:17]
	v_lshlrev_b64 v[22:23], 2, v[6:7]
	v_add_nc_u32_e32 v6, -7, v4
	v_add_co_u32 v20, vcc_lo, s14, v20
	v_add_co_ci_u32_e64 v21, null, s15, v21, vcc_lo
	v_lshlrev_b64 v[24:25], 2, v[6:7]
	v_add_nc_u32_e32 v6, -6, v4
	v_add_co_u32 v22, vcc_lo, s14, v22
	v_add_co_ci_u32_e64 v23, null, s15, v23, vcc_lo
	;; [unrolled: 4-line block ×3, first 2 shown]
	v_add_co_u32 v26, vcc_lo, s12, v26
	v_lshlrev_b64 v[28:29], 2, v[6:7]
	v_add_nc_u32_e32 v6, 4, v16
	v_add_co_ci_u32_e64 v27, null, s13, v27, vcc_lo
	global_load_dword v3, v[24:25], off
	s_clause 0x1
	global_load_dwordx2 v[20:21], v[20:21], off
	global_load_dwordx2 v[22:23], v[22:23], off
	global_load_dword v35, v[26:27], off
	v_lshlrev_b64 v[24:25], 2, v[6:7]
	v_add_nc_u32_e32 v6, -5, v4
	v_add_co_u32 v26, vcc_lo, s12, v28
	v_add_co_ci_u32_e64 v27, null, s13, v29, vcc_lo
	v_lshlrev_b64 v[28:29], 2, v[6:7]
	v_add_co_u32 v24, vcc_lo, s14, v24
	v_add_co_ci_u32_e64 v25, null, s15, v25, vcc_lo
	v_add_nc_u32_e32 v6, -14, v4
	v_add_co_u32 v28, vcc_lo, s12, v28
	v_add_co_ci_u32_e64 v29, null, s13, v29, vcc_lo
	global_load_dword v36, v[26:27], off
	global_load_dwordx2 v[24:25], v[24:25], off
	global_load_dword v37, v[28:29], off
	v_lshlrev_b64 v[26:27], 2, v[6:7]
	v_add_nc_u32_e32 v6, -4, v4
	v_lshlrev_b64 v[30:31], 2, v[6:7]
	v_add_nc_u32_e32 v6, -13, v4
	v_add_co_u32 v26, vcc_lo, s12, v26
	v_add_co_ci_u32_e64 v27, null, s13, v27, vcc_lo
	v_lshlrev_b64 v[28:29], 2, v[6:7]
	v_add_nc_u32_e32 v6, 6, v16
	global_load_dword v38, v[26:27], off
	v_add_co_u32 v26, vcc_lo, s12, v30
	v_add_co_ci_u32_e64 v27, null, s13, v31, vcc_lo
	v_add_co_u32 v28, vcc_lo, s12, v28
	v_lshlrev_b64 v[30:31], 2, v[6:7]
	v_add_nc_u32_e32 v6, -3, v4
	v_add_co_ci_u32_e64 v29, null, s13, v29, vcc_lo
	s_clause 0x1
	global_load_dword v39, v[26:27], off
	global_load_dword v40, v[28:29], off
	v_lshlrev_b64 v[26:27], 2, v[6:7]
	v_add_nc_u32_e32 v6, -12, v4
	v_add_co_u32 v28, vcc_lo, s14, v30
	v_add_co_ci_u32_e64 v29, null, s15, v31, vcc_lo
	v_lshlrev_b64 v[30:31], 2, v[6:7]
	v_add_nc_u32_e32 v6, -2, v4
	v_add_co_u32 v26, vcc_lo, s12, v26
	v_add_co_ci_u32_e64 v27, null, s13, v27, vcc_lo
	v_lshlrev_b64 v[32:33], 2, v[6:7]
	v_add_nc_u32_e32 v6, -11, v4
	global_load_dwordx2 v[28:29], v[28:29], off
	global_load_dword v41, v[26:27], off
	v_add_co_u32 v26, vcc_lo, s12, v30
	v_add_co_ci_u32_e64 v27, null, s13, v31, vcc_lo
	v_lshlrev_b64 v[30:31], 2, v[6:7]
	v_add_nc_u32_e32 v6, 8, v16
	v_add_co_u32 v16, vcc_lo, s12, v32
	v_add_co_ci_u32_e64 v17, null, s13, v33, vcc_lo
	global_load_dword v32, v[26:27], off
	v_lshlrev_b64 v[26:27], 2, v[6:7]
	v_add_nc_u32_e32 v6, -1, v4
	global_load_dword v33, v[16:17], off
	v_add_co_u32 v16, vcc_lo, s12, v30
	v_add_co_ci_u32_e64 v17, null, s13, v31, vcc_lo
	v_lshlrev_b64 v[30:31], 2, v[6:7]
	v_add_nc_u32_e32 v6, -10, v4
	v_add_co_u32 v26, vcc_lo, s14, v26
	v_add_co_ci_u32_e64 v27, null, s15, v27, vcc_lo
	v_lshlrev_b64 v[5:6], 2, v[6:7]
	global_load_dword v42, v[16:17], off
	v_add_nc_u32_e32 v4, 0x50, v4
	global_load_dwordx2 v[16:17], v[26:27], off
	v_add_co_u32 v26, vcc_lo, s12, v30
	v_add_co_ci_u32_e64 v27, null, s13, v31, vcc_lo
	v_add_co_u32 v5, vcc_lo, s12, v5
	v_add_co_ci_u32_e64 v6, null, s13, v6, vcc_lo
	s_clause 0x2
	global_load_dword v26, v[26:27], off
	global_load_dword v5, v[5:6], off
	;; [unrolled: 1-line block ×3, first 2 shown]
	v_cmp_ge_i32_e32 vcc_lo, v2, v11
	s_or_b32 s0, vcc_lo, s0
	s_waitcnt vmcnt(17)
	v_fmac_f32_e32 v9, v12, v20
	v_fmac_f32_e32 v10, v8, v20
	;; [unrolled: 1-line block ×4, first 2 shown]
	s_waitcnt vmcnt(16)
	v_fmac_f32_e32 v9, v14, v22
	v_fmac_f32_e32 v10, v3, v22
	;; [unrolled: 1-line block ×3, first 2 shown]
	s_waitcnt vmcnt(15)
	v_fmac_f32_e32 v10, v35, v23
	s_waitcnt vmcnt(13)
	v_fmac_f32_e32 v9, v36, v24
	;; [unrolled: 2-line block ×13, first 2 shown]
	s_andn2_b32 exec_lo, exec_lo, s0
	s_cbranch_execnz .LBB40_15
; %bb.16:
	s_or_b32 exec_lo, exec_lo, s0
.LBB40_17:
	s_or_b32 exec_lo, exec_lo, s1
.LBB40_18:
	v_mbcnt_lo_u32_b32 v2, -1, 0
	s_mov_b32 s3, -1
	v_xor_b32_e32 v3, 2, v2
	v_xor_b32_e32 v5, 1, v2
	v_cmp_gt_i32_e32 vcc_lo, 32, v3
	v_cndmask_b32_e32 v3, v2, v3, vcc_lo
	v_cmp_gt_i32_e32 vcc_lo, 32, v5
	v_lshlrev_b32_e32 v3, 2, v3
	v_cndmask_b32_e32 v2, v2, v5, vcc_lo
	v_cmp_eq_u32_e32 vcc_lo, 3, v0
	ds_bpermute_b32 v4, v3, v9
	ds_bpermute_b32 v3, v3, v10
	v_lshlrev_b32_e32 v5, 2, v2
	s_waitcnt lgkmcnt(1)
	v_add_f32_e32 v2, v9, v4
	s_waitcnt lgkmcnt(0)
	v_add_f32_e32 v3, v10, v3
	ds_bpermute_b32 v4, v5, v2
	ds_bpermute_b32 v5, v5, v3
	s_and_b32 exec_lo, exec_lo, vcc_lo
	s_cbranch_execz .LBB40_23
; %bb.19:
	s_load_dwordx2 s[0:1], s[4:5], 0x38
	s_waitcnt lgkmcnt(0)
	v_add_f32_e32 v0, v2, v4
	v_add_f32_e32 v3, v3, v5
	v_cmp_eq_f32_e64 s4, s2, 0
	v_mul_f32_e32 v2, s16, v0
	v_mul_f32_e32 v3, s16, v3
	v_lshlrev_b32_e32 v0, 1, v1
	s_and_b32 vcc_lo, exec_lo, s4
	s_cbranch_vccz .LBB40_21
; %bb.20:
	v_ashrrev_i32_e32 v1, 31, v0
	s_mov_b32 s3, 0
	v_lshlrev_b64 v[4:5], 2, v[0:1]
	v_add_co_u32 v4, vcc_lo, s0, v4
	v_add_co_ci_u32_e64 v5, null, s1, v5, vcc_lo
	global_store_dwordx2 v[4:5], v[2:3], off
.LBB40_21:
	s_andn2_b32 vcc_lo, exec_lo, s3
	s_cbranch_vccnz .LBB40_23
; %bb.22:
	v_ashrrev_i32_e32 v1, 31, v0
	v_lshlrev_b64 v[0:1], 2, v[0:1]
	v_add_co_u32 v0, vcc_lo, s0, v0
	v_add_co_ci_u32_e64 v1, null, s1, v1, vcc_lo
	global_load_dwordx2 v[4:5], v[0:1], off
	s_waitcnt vmcnt(0)
	v_fmac_f32_e32 v2, s2, v4
	v_fmac_f32_e32 v3, s2, v5
	global_store_dwordx2 v[0:1], v[2:3], off
.LBB40_23:
	s_endpgm
	.section	.rodata,"a",@progbits
	.p2align	6, 0x0
	.amdhsa_kernel _ZN9rocsparseL19gebsrmvn_2xn_kernelILj128ELj10ELj4EfEEvi20rocsparse_direction_NS_24const_host_device_scalarIT2_EEPKiS6_PKS3_S8_S4_PS3_21rocsparse_index_base_b
		.amdhsa_group_segment_fixed_size 0
		.amdhsa_private_segment_fixed_size 0
		.amdhsa_kernarg_size 72
		.amdhsa_user_sgpr_count 6
		.amdhsa_user_sgpr_private_segment_buffer 1
		.amdhsa_user_sgpr_dispatch_ptr 0
		.amdhsa_user_sgpr_queue_ptr 0
		.amdhsa_user_sgpr_kernarg_segment_ptr 1
		.amdhsa_user_sgpr_dispatch_id 0
		.amdhsa_user_sgpr_flat_scratch_init 0
		.amdhsa_user_sgpr_private_segment_size 0
		.amdhsa_wavefront_size32 1
		.amdhsa_uses_dynamic_stack 0
		.amdhsa_system_sgpr_private_segment_wavefront_offset 0
		.amdhsa_system_sgpr_workgroup_id_x 1
		.amdhsa_system_sgpr_workgroup_id_y 0
		.amdhsa_system_sgpr_workgroup_id_z 0
		.amdhsa_system_sgpr_workgroup_info 0
		.amdhsa_system_vgpr_workitem_id 0
		.amdhsa_next_free_vgpr 43
		.amdhsa_next_free_sgpr 20
		.amdhsa_reserve_vcc 1
		.amdhsa_reserve_flat_scratch 0
		.amdhsa_float_round_mode_32 0
		.amdhsa_float_round_mode_16_64 0
		.amdhsa_float_denorm_mode_32 3
		.amdhsa_float_denorm_mode_16_64 3
		.amdhsa_dx10_clamp 1
		.amdhsa_ieee_mode 1
		.amdhsa_fp16_overflow 0
		.amdhsa_workgroup_processor_mode 1
		.amdhsa_memory_ordered 1
		.amdhsa_forward_progress 1
		.amdhsa_shared_vgpr_count 0
		.amdhsa_exception_fp_ieee_invalid_op 0
		.amdhsa_exception_fp_denorm_src 0
		.amdhsa_exception_fp_ieee_div_zero 0
		.amdhsa_exception_fp_ieee_overflow 0
		.amdhsa_exception_fp_ieee_underflow 0
		.amdhsa_exception_fp_ieee_inexact 0
		.amdhsa_exception_int_div_zero 0
	.end_amdhsa_kernel
	.section	.text._ZN9rocsparseL19gebsrmvn_2xn_kernelILj128ELj10ELj4EfEEvi20rocsparse_direction_NS_24const_host_device_scalarIT2_EEPKiS6_PKS3_S8_S4_PS3_21rocsparse_index_base_b,"axG",@progbits,_ZN9rocsparseL19gebsrmvn_2xn_kernelILj128ELj10ELj4EfEEvi20rocsparse_direction_NS_24const_host_device_scalarIT2_EEPKiS6_PKS3_S8_S4_PS3_21rocsparse_index_base_b,comdat
.Lfunc_end40:
	.size	_ZN9rocsparseL19gebsrmvn_2xn_kernelILj128ELj10ELj4EfEEvi20rocsparse_direction_NS_24const_host_device_scalarIT2_EEPKiS6_PKS3_S8_S4_PS3_21rocsparse_index_base_b, .Lfunc_end40-_ZN9rocsparseL19gebsrmvn_2xn_kernelILj128ELj10ELj4EfEEvi20rocsparse_direction_NS_24const_host_device_scalarIT2_EEPKiS6_PKS3_S8_S4_PS3_21rocsparse_index_base_b
                                        ; -- End function
	.set _ZN9rocsparseL19gebsrmvn_2xn_kernelILj128ELj10ELj4EfEEvi20rocsparse_direction_NS_24const_host_device_scalarIT2_EEPKiS6_PKS3_S8_S4_PS3_21rocsparse_index_base_b.num_vgpr, 43
	.set _ZN9rocsparseL19gebsrmvn_2xn_kernelILj128ELj10ELj4EfEEvi20rocsparse_direction_NS_24const_host_device_scalarIT2_EEPKiS6_PKS3_S8_S4_PS3_21rocsparse_index_base_b.num_agpr, 0
	.set _ZN9rocsparseL19gebsrmvn_2xn_kernelILj128ELj10ELj4EfEEvi20rocsparse_direction_NS_24const_host_device_scalarIT2_EEPKiS6_PKS3_S8_S4_PS3_21rocsparse_index_base_b.numbered_sgpr, 20
	.set _ZN9rocsparseL19gebsrmvn_2xn_kernelILj128ELj10ELj4EfEEvi20rocsparse_direction_NS_24const_host_device_scalarIT2_EEPKiS6_PKS3_S8_S4_PS3_21rocsparse_index_base_b.num_named_barrier, 0
	.set _ZN9rocsparseL19gebsrmvn_2xn_kernelILj128ELj10ELj4EfEEvi20rocsparse_direction_NS_24const_host_device_scalarIT2_EEPKiS6_PKS3_S8_S4_PS3_21rocsparse_index_base_b.private_seg_size, 0
	.set _ZN9rocsparseL19gebsrmvn_2xn_kernelILj128ELj10ELj4EfEEvi20rocsparse_direction_NS_24const_host_device_scalarIT2_EEPKiS6_PKS3_S8_S4_PS3_21rocsparse_index_base_b.uses_vcc, 1
	.set _ZN9rocsparseL19gebsrmvn_2xn_kernelILj128ELj10ELj4EfEEvi20rocsparse_direction_NS_24const_host_device_scalarIT2_EEPKiS6_PKS3_S8_S4_PS3_21rocsparse_index_base_b.uses_flat_scratch, 0
	.set _ZN9rocsparseL19gebsrmvn_2xn_kernelILj128ELj10ELj4EfEEvi20rocsparse_direction_NS_24const_host_device_scalarIT2_EEPKiS6_PKS3_S8_S4_PS3_21rocsparse_index_base_b.has_dyn_sized_stack, 0
	.set _ZN9rocsparseL19gebsrmvn_2xn_kernelILj128ELj10ELj4EfEEvi20rocsparse_direction_NS_24const_host_device_scalarIT2_EEPKiS6_PKS3_S8_S4_PS3_21rocsparse_index_base_b.has_recursion, 0
	.set _ZN9rocsparseL19gebsrmvn_2xn_kernelILj128ELj10ELj4EfEEvi20rocsparse_direction_NS_24const_host_device_scalarIT2_EEPKiS6_PKS3_S8_S4_PS3_21rocsparse_index_base_b.has_indirect_call, 0
	.section	.AMDGPU.csdata,"",@progbits
; Kernel info:
; codeLenInByte = 2340
; TotalNumSgprs: 22
; NumVgprs: 43
; ScratchSize: 0
; MemoryBound: 0
; FloatMode: 240
; IeeeMode: 1
; LDSByteSize: 0 bytes/workgroup (compile time only)
; SGPRBlocks: 0
; VGPRBlocks: 5
; NumSGPRsForWavesPerEU: 22
; NumVGPRsForWavesPerEU: 43
; Occupancy: 16
; WaveLimiterHint : 1
; COMPUTE_PGM_RSRC2:SCRATCH_EN: 0
; COMPUTE_PGM_RSRC2:USER_SGPR: 6
; COMPUTE_PGM_RSRC2:TRAP_HANDLER: 0
; COMPUTE_PGM_RSRC2:TGID_X_EN: 1
; COMPUTE_PGM_RSRC2:TGID_Y_EN: 0
; COMPUTE_PGM_RSRC2:TGID_Z_EN: 0
; COMPUTE_PGM_RSRC2:TIDIG_COMP_CNT: 0
	.section	.text._ZN9rocsparseL19gebsrmvn_2xn_kernelILj128ELj10ELj8EfEEvi20rocsparse_direction_NS_24const_host_device_scalarIT2_EEPKiS6_PKS3_S8_S4_PS3_21rocsparse_index_base_b,"axG",@progbits,_ZN9rocsparseL19gebsrmvn_2xn_kernelILj128ELj10ELj8EfEEvi20rocsparse_direction_NS_24const_host_device_scalarIT2_EEPKiS6_PKS3_S8_S4_PS3_21rocsparse_index_base_b,comdat
	.globl	_ZN9rocsparseL19gebsrmvn_2xn_kernelILj128ELj10ELj8EfEEvi20rocsparse_direction_NS_24const_host_device_scalarIT2_EEPKiS6_PKS3_S8_S4_PS3_21rocsparse_index_base_b ; -- Begin function _ZN9rocsparseL19gebsrmvn_2xn_kernelILj128ELj10ELj8EfEEvi20rocsparse_direction_NS_24const_host_device_scalarIT2_EEPKiS6_PKS3_S8_S4_PS3_21rocsparse_index_base_b
	.p2align	8
	.type	_ZN9rocsparseL19gebsrmvn_2xn_kernelILj128ELj10ELj8EfEEvi20rocsparse_direction_NS_24const_host_device_scalarIT2_EEPKiS6_PKS3_S8_S4_PS3_21rocsparse_index_base_b,@function
_ZN9rocsparseL19gebsrmvn_2xn_kernelILj128ELj10ELj8EfEEvi20rocsparse_direction_NS_24const_host_device_scalarIT2_EEPKiS6_PKS3_S8_S4_PS3_21rocsparse_index_base_b: ; @_ZN9rocsparseL19gebsrmvn_2xn_kernelILj128ELj10ELj8EfEEvi20rocsparse_direction_NS_24const_host_device_scalarIT2_EEPKiS6_PKS3_S8_S4_PS3_21rocsparse_index_base_b
; %bb.0:
	s_clause 0x2
	s_load_dwordx2 s[18:19], s[4:5], 0x40
	s_load_dwordx2 s[16:17], s[4:5], 0x8
	;; [unrolled: 1-line block ×3, first 2 shown]
	s_waitcnt lgkmcnt(0)
	s_bitcmp1_b32 s19, 0
	s_cselect_b32 s0, -1, 0
	s_and_b32 vcc_lo, exec_lo, s0
	s_xor_b32 s0, s0, -1
	s_cbranch_vccnz .LBB41_2
; %bb.1:
	s_load_dword s16, s[16:17], 0x0
.LBB41_2:
	s_andn2_b32 vcc_lo, exec_lo, s0
	s_cbranch_vccnz .LBB41_4
; %bb.3:
	s_load_dword s2, s[2:3], 0x0
.LBB41_4:
	s_waitcnt lgkmcnt(0)
	v_cmp_eq_f32_e64 s0, s16, 0
	v_cmp_eq_f32_e64 s1, s2, 1.0
	s_and_b32 s0, s0, s1
	s_and_b32 vcc_lo, exec_lo, s0
	s_cbranch_vccnz .LBB41_23
; %bb.5:
	s_load_dwordx2 s[0:1], s[4:5], 0x0
	v_lshrrev_b32_e32 v1, 3, v0
	v_lshl_or_b32 v1, s6, 4, v1
	s_waitcnt lgkmcnt(0)
	v_cmp_gt_i32_e32 vcc_lo, s0, v1
	s_and_saveexec_b32 s0, vcc_lo
	s_cbranch_execz .LBB41_23
; %bb.6:
	s_load_dwordx8 s[8:15], s[4:5], 0x10
	v_ashrrev_i32_e32 v2, 31, v1
	v_and_b32_e32 v0, 7, v0
	s_cmp_lg_u32 s1, 0
	v_lshlrev_b64 v[2:3], 2, v[1:2]
	s_waitcnt lgkmcnt(0)
	v_add_co_u32 v2, vcc_lo, s8, v2
	v_add_co_ci_u32_e64 v3, null, s9, v3, vcc_lo
	global_load_dwordx2 v[2:3], v[2:3], off
	s_waitcnt vmcnt(0)
	v_subrev_nc_u32_e32 v2, s18, v2
	v_subrev_nc_u32_e32 v11, s18, v3
	v_add_nc_u32_e32 v2, v2, v0
	v_cmp_lt_i32_e64 s0, v2, v11
	s_cbranch_scc0 .LBB41_12
; %bb.7:
	v_mov_b32_e32 v9, 0
	v_mov_b32_e32 v10, 0
	s_and_saveexec_b32 s3, s0
	s_cbranch_execz .LBB41_11
; %bb.8:
	v_mad_u64_u32 v[3:4], null, v2, 20, 18
	v_mov_b32_e32 v6, 0
	v_mov_b32_e32 v7, v2
	;; [unrolled: 1-line block ×4, first 2 shown]
	s_mov_b32 s6, 0
.LBB41_9:                               ; =>This Inner Loop Header: Depth=1
	v_ashrrev_i32_e32 v8, 31, v7
	v_mov_b32_e32 v17, v6
	v_lshlrev_b64 v[4:5], 2, v[7:8]
	v_add_nc_u32_e32 v7, 8, v7
	v_add_co_u32 v4, vcc_lo, s10, v4
	v_add_co_ci_u32_e64 v5, null, s11, v5, vcc_lo
	global_load_dword v8, v[4:5], off
	v_subrev_nc_u32_e32 v5, 18, v3
	v_mov_b32_e32 v4, v6
	v_lshlrev_b64 v[12:13], 2, v[5:6]
	v_add_nc_u32_e32 v5, -14, v3
	v_lshlrev_b64 v[18:19], 2, v[3:4]
	v_lshlrev_b64 v[4:5], 2, v[5:6]
	v_add_co_u32 v12, vcc_lo, s12, v12
	v_add_co_ci_u32_e64 v13, null, s13, v13, vcc_lo
	v_add_co_u32 v18, vcc_lo, s12, v18
	v_add_co_u32 v4, s1, s12, v4
	v_add_co_ci_u32_e64 v5, null, s13, v5, s1
	s_clause 0x1
	global_load_dwordx4 v[12:15], v[12:13], off
	global_load_dwordx2 v[20:21], v[4:5], off
	v_add_co_ci_u32_e64 v19, null, s13, v19, vcc_lo
	v_cmp_ge_i32_e32 vcc_lo, v7, v11
	s_or_b32 s6, vcc_lo, s6
	s_waitcnt vmcnt(2)
	v_subrev_nc_u32_e32 v4, s18, v8
	v_mul_lo_u32 v16, v4, 10
	v_add_nc_u32_e32 v5, 2, v16
	v_lshlrev_b64 v[22:23], 2, v[16:17]
	v_lshlrev_b64 v[24:25], 2, v[5:6]
	v_add_nc_u32_e32 v5, -12, v3
	v_add_co_u32 v22, s1, s14, v22
	v_add_co_ci_u32_e64 v23, null, s15, v23, s1
	v_lshlrev_b64 v[26:27], 2, v[5:6]
	v_add_nc_u32_e32 v5, -10, v3
	v_add_co_u32 v24, s1, s14, v24
	global_load_dwordx2 v[22:23], v[22:23], off
	v_add_co_ci_u32_e64 v25, null, s15, v25, s1
	v_lshlrev_b64 v[28:29], 2, v[5:6]
	v_add_nc_u32_e32 v5, 4, v16
	v_add_co_u32 v26, s1, s12, v26
	v_add_co_ci_u32_e64 v27, null, s13, v27, s1
	v_lshlrev_b64 v[30:31], 2, v[5:6]
	v_add_nc_u32_e32 v5, -8, v3
	global_load_dwordx2 v[24:25], v[24:25], off
	v_add_co_u32 v28, s1, s12, v28
	v_add_co_ci_u32_e64 v29, null, s13, v29, s1
	v_lshlrev_b64 v[32:33], 2, v[5:6]
	v_add_nc_u32_e32 v5, -6, v3
	v_add_co_u32 v30, s1, s14, v30
	s_clause 0x1
	global_load_dwordx2 v[26:27], v[26:27], off
	global_load_dwordx2 v[28:29], v[28:29], off
	v_lshlrev_b64 v[34:35], 2, v[5:6]
	v_add_nc_u32_e32 v5, 6, v16
	v_add_co_ci_u32_e64 v31, null, s15, v31, s1
	v_add_co_u32 v32, s1, s12, v32
	v_lshlrev_b64 v[36:37], 2, v[5:6]
	v_add_nc_u32_e32 v5, -4, v3
	global_load_dwordx2 v[30:31], v[30:31], off
	v_add_co_ci_u32_e64 v33, null, s13, v33, s1
	v_add_co_u32 v34, s1, s12, v34
	v_lshlrev_b64 v[38:39], 2, v[5:6]
	v_add_nc_u32_e32 v5, -2, v3
	v_add_co_ci_u32_e64 v35, null, s13, v35, s1
	v_add_co_u32 v36, s1, s14, v36
	v_lshlrev_b64 v[40:41], 2, v[5:6]
	v_add_nc_u32_e32 v5, 8, v16
	s_clause 0x1
	global_load_dwordx2 v[32:33], v[32:33], off
	global_load_dwordx2 v[34:35], v[34:35], off
	v_add_co_ci_u32_e64 v37, null, s15, v37, s1
	v_add_co_u32 v16, s1, s12, v38
	v_lshlrev_b64 v[4:5], 2, v[5:6]
	v_add_co_ci_u32_e64 v17, null, s13, v39, s1
	global_load_dwordx2 v[36:37], v[36:37], off
	v_add_co_u32 v38, s1, s12, v40
	global_load_dwordx2 v[16:17], v[16:17], off
	v_add_co_ci_u32_e64 v39, null, s13, v41, s1
	v_add_co_u32 v4, s1, s14, v4
	v_add_co_ci_u32_e64 v5, null, s15, v5, s1
	global_load_dwordx2 v[38:39], v[38:39], off
	global_load_dwordx2 v[4:5], v[4:5], off
	;; [unrolled: 1-line block ×3, first 2 shown]
	v_add_nc_u32_e32 v3, 0xa0, v3
	s_waitcnt vmcnt(11)
	v_fmac_f32_e32 v9, v12, v22
	v_fmac_f32_e32 v10, v13, v22
	;; [unrolled: 1-line block ×4, first 2 shown]
	s_waitcnt vmcnt(10)
	v_fmac_f32_e32 v9, v20, v24
	v_fmac_f32_e32 v10, v21, v24
	s_waitcnt vmcnt(9)
	v_fmac_f32_e32 v9, v26, v25
	v_fmac_f32_e32 v10, v27, v25
	;; [unrolled: 3-line block ×8, first 2 shown]
	s_andn2_b32 exec_lo, exec_lo, s6
	s_cbranch_execnz .LBB41_9
; %bb.10:
	s_or_b32 exec_lo, exec_lo, s6
.LBB41_11:
	s_or_b32 exec_lo, exec_lo, s3
	s_cbranch_execz .LBB41_13
	s_branch .LBB41_18
.LBB41_12:
                                        ; implicit-def: $vgpr9
                                        ; implicit-def: $vgpr10
.LBB41_13:
	v_mov_b32_e32 v9, 0
	v_mov_b32_e32 v10, 0
	s_and_saveexec_b32 s1, s0
	s_cbranch_execz .LBB41_17
; %bb.14:
	v_mad_u64_u32 v[4:5], null, v2, 20, 19
	v_mov_b32_e32 v7, 0
	v_mov_b32_e32 v9, 0
	;; [unrolled: 1-line block ×3, first 2 shown]
	s_mov_b32 s0, 0
.LBB41_15:                              ; =>This Inner Loop Header: Depth=1
	v_ashrrev_i32_e32 v3, 31, v2
	v_add_nc_u32_e32 v12, -9, v4
	v_mov_b32_e32 v13, v7
	v_mov_b32_e32 v17, v7
	v_lshlrev_b64 v[5:6], 2, v[2:3]
	v_add_nc_u32_e32 v2, 8, v2
	v_lshlrev_b64 v[12:13], 2, v[12:13]
	v_add_co_u32 v5, vcc_lo, s10, v5
	v_add_co_ci_u32_e64 v6, null, s11, v6, vcc_lo
	global_load_dword v3, v[5:6], off
	v_subrev_nc_u32_e32 v6, 19, v4
	v_mov_b32_e32 v5, v7
	v_lshlrev_b64 v[14:15], 2, v[6:7]
	v_add_nc_u32_e32 v6, -8, v4
	v_lshlrev_b64 v[18:19], 2, v[4:5]
	v_lshlrev_b64 v[5:6], 2, v[6:7]
	v_add_co_u32 v14, vcc_lo, s12, v14
	v_add_co_ci_u32_e64 v15, null, s13, v15, vcc_lo
	v_add_co_u32 v20, vcc_lo, s12, v12
	v_add_co_ci_u32_e64 v21, null, s13, v13, vcc_lo
	;; [unrolled: 2-line block ×4, first 2 shown]
	s_clause 0x2
	global_load_dwordx4 v[12:15], v[14:15], off
	global_load_dword v8, v[20:21], off
	global_load_dword v34, v[5:6], off
	s_waitcnt vmcnt(3)
	v_subrev_nc_u32_e32 v3, s18, v3
	v_mul_lo_u32 v16, v3, 10
	v_add_nc_u32_e32 v6, 2, v16
	v_lshlrev_b64 v[20:21], 2, v[16:17]
	v_lshlrev_b64 v[22:23], 2, v[6:7]
	v_add_nc_u32_e32 v6, -7, v4
	v_add_co_u32 v20, vcc_lo, s14, v20
	v_add_co_ci_u32_e64 v21, null, s15, v21, vcc_lo
	v_lshlrev_b64 v[24:25], 2, v[6:7]
	v_add_nc_u32_e32 v6, -6, v4
	v_add_co_u32 v22, vcc_lo, s14, v22
	v_add_co_ci_u32_e64 v23, null, s15, v23, vcc_lo
	;; [unrolled: 4-line block ×3, first 2 shown]
	v_add_co_u32 v26, vcc_lo, s12, v26
	v_lshlrev_b64 v[28:29], 2, v[6:7]
	v_add_nc_u32_e32 v6, 4, v16
	v_add_co_ci_u32_e64 v27, null, s13, v27, vcc_lo
	global_load_dword v3, v[24:25], off
	s_clause 0x1
	global_load_dwordx2 v[20:21], v[20:21], off
	global_load_dwordx2 v[22:23], v[22:23], off
	global_load_dword v35, v[26:27], off
	v_lshlrev_b64 v[24:25], 2, v[6:7]
	v_add_nc_u32_e32 v6, -5, v4
	v_add_co_u32 v26, vcc_lo, s12, v28
	v_add_co_ci_u32_e64 v27, null, s13, v29, vcc_lo
	v_lshlrev_b64 v[28:29], 2, v[6:7]
	v_add_co_u32 v24, vcc_lo, s14, v24
	v_add_co_ci_u32_e64 v25, null, s15, v25, vcc_lo
	v_add_nc_u32_e32 v6, -14, v4
	v_add_co_u32 v28, vcc_lo, s12, v28
	v_add_co_ci_u32_e64 v29, null, s13, v29, vcc_lo
	global_load_dword v36, v[26:27], off
	global_load_dwordx2 v[24:25], v[24:25], off
	global_load_dword v37, v[28:29], off
	v_lshlrev_b64 v[26:27], 2, v[6:7]
	v_add_nc_u32_e32 v6, -4, v4
	v_lshlrev_b64 v[30:31], 2, v[6:7]
	v_add_nc_u32_e32 v6, -13, v4
	v_add_co_u32 v26, vcc_lo, s12, v26
	v_add_co_ci_u32_e64 v27, null, s13, v27, vcc_lo
	v_lshlrev_b64 v[28:29], 2, v[6:7]
	v_add_nc_u32_e32 v6, 6, v16
	global_load_dword v38, v[26:27], off
	v_add_co_u32 v26, vcc_lo, s12, v30
	v_add_co_ci_u32_e64 v27, null, s13, v31, vcc_lo
	v_add_co_u32 v28, vcc_lo, s12, v28
	v_lshlrev_b64 v[30:31], 2, v[6:7]
	v_add_nc_u32_e32 v6, -3, v4
	v_add_co_ci_u32_e64 v29, null, s13, v29, vcc_lo
	s_clause 0x1
	global_load_dword v39, v[26:27], off
	global_load_dword v40, v[28:29], off
	v_lshlrev_b64 v[26:27], 2, v[6:7]
	v_add_nc_u32_e32 v6, -12, v4
	v_add_co_u32 v28, vcc_lo, s14, v30
	v_add_co_ci_u32_e64 v29, null, s15, v31, vcc_lo
	v_lshlrev_b64 v[30:31], 2, v[6:7]
	v_add_nc_u32_e32 v6, -2, v4
	v_add_co_u32 v26, vcc_lo, s12, v26
	v_add_co_ci_u32_e64 v27, null, s13, v27, vcc_lo
	v_lshlrev_b64 v[32:33], 2, v[6:7]
	v_add_nc_u32_e32 v6, -11, v4
	global_load_dwordx2 v[28:29], v[28:29], off
	global_load_dword v41, v[26:27], off
	v_add_co_u32 v26, vcc_lo, s12, v30
	v_add_co_ci_u32_e64 v27, null, s13, v31, vcc_lo
	v_lshlrev_b64 v[30:31], 2, v[6:7]
	v_add_nc_u32_e32 v6, 8, v16
	v_add_co_u32 v16, vcc_lo, s12, v32
	v_add_co_ci_u32_e64 v17, null, s13, v33, vcc_lo
	global_load_dword v32, v[26:27], off
	v_lshlrev_b64 v[26:27], 2, v[6:7]
	v_add_nc_u32_e32 v6, -1, v4
	global_load_dword v33, v[16:17], off
	v_add_co_u32 v16, vcc_lo, s12, v30
	v_add_co_ci_u32_e64 v17, null, s13, v31, vcc_lo
	v_lshlrev_b64 v[30:31], 2, v[6:7]
	v_add_nc_u32_e32 v6, -10, v4
	v_add_co_u32 v26, vcc_lo, s14, v26
	v_add_co_ci_u32_e64 v27, null, s15, v27, vcc_lo
	v_lshlrev_b64 v[5:6], 2, v[6:7]
	global_load_dword v42, v[16:17], off
	v_add_nc_u32_e32 v4, 0xa0, v4
	global_load_dwordx2 v[16:17], v[26:27], off
	v_add_co_u32 v26, vcc_lo, s12, v30
	v_add_co_ci_u32_e64 v27, null, s13, v31, vcc_lo
	v_add_co_u32 v5, vcc_lo, s12, v5
	v_add_co_ci_u32_e64 v6, null, s13, v6, vcc_lo
	s_clause 0x2
	global_load_dword v26, v[26:27], off
	global_load_dword v5, v[5:6], off
	;; [unrolled: 1-line block ×3, first 2 shown]
	v_cmp_ge_i32_e32 vcc_lo, v2, v11
	s_or_b32 s0, vcc_lo, s0
	s_waitcnt vmcnt(17)
	v_fmac_f32_e32 v9, v12, v20
	v_fmac_f32_e32 v10, v8, v20
	;; [unrolled: 1-line block ×4, first 2 shown]
	s_waitcnt vmcnt(16)
	v_fmac_f32_e32 v9, v14, v22
	v_fmac_f32_e32 v10, v3, v22
	;; [unrolled: 1-line block ×3, first 2 shown]
	s_waitcnt vmcnt(15)
	v_fmac_f32_e32 v10, v35, v23
	s_waitcnt vmcnt(13)
	v_fmac_f32_e32 v9, v36, v24
	;; [unrolled: 2-line block ×13, first 2 shown]
	s_andn2_b32 exec_lo, exec_lo, s0
	s_cbranch_execnz .LBB41_15
; %bb.16:
	s_or_b32 exec_lo, exec_lo, s0
.LBB41_17:
	s_or_b32 exec_lo, exec_lo, s1
.LBB41_18:
	v_mbcnt_lo_u32_b32 v2, -1, 0
	s_mov_b32 s3, -1
	v_xor_b32_e32 v3, 4, v2
	v_xor_b32_e32 v5, 2, v2
	;; [unrolled: 1-line block ×3, first 2 shown]
	v_cmp_gt_i32_e32 vcc_lo, 32, v3
	v_cndmask_b32_e32 v3, v2, v3, vcc_lo
	v_cmp_gt_i32_e32 vcc_lo, 32, v5
	v_lshlrev_b32_e32 v3, 2, v3
	v_cndmask_b32_e32 v5, v2, v5, vcc_lo
	v_cmp_gt_i32_e32 vcc_lo, 32, v7
	ds_bpermute_b32 v4, v3, v9
	ds_bpermute_b32 v3, v3, v10
	v_lshlrev_b32_e32 v5, 2, v5
	v_cndmask_b32_e32 v2, v2, v7, vcc_lo
	v_cmp_eq_u32_e32 vcc_lo, 7, v0
	v_lshlrev_b32_e32 v7, 2, v2
	s_waitcnt lgkmcnt(1)
	v_add_f32_e32 v4, v9, v4
	s_waitcnt lgkmcnt(0)
	v_add_f32_e32 v3, v10, v3
	ds_bpermute_b32 v6, v5, v4
	ds_bpermute_b32 v5, v5, v3
	s_waitcnt lgkmcnt(1)
	v_add_f32_e32 v2, v4, v6
	s_waitcnt lgkmcnt(0)
	v_add_f32_e32 v3, v3, v5
	ds_bpermute_b32 v4, v7, v2
	ds_bpermute_b32 v5, v7, v3
	s_and_b32 exec_lo, exec_lo, vcc_lo
	s_cbranch_execz .LBB41_23
; %bb.19:
	s_load_dwordx2 s[0:1], s[4:5], 0x38
	s_waitcnt lgkmcnt(0)
	v_add_f32_e32 v0, v2, v4
	v_add_f32_e32 v3, v3, v5
	v_cmp_eq_f32_e64 s4, s2, 0
	v_mul_f32_e32 v2, s16, v0
	v_mul_f32_e32 v3, s16, v3
	v_lshlrev_b32_e32 v0, 1, v1
	s_and_b32 vcc_lo, exec_lo, s4
	s_cbranch_vccz .LBB41_21
; %bb.20:
	v_ashrrev_i32_e32 v1, 31, v0
	s_mov_b32 s3, 0
	v_lshlrev_b64 v[4:5], 2, v[0:1]
	v_add_co_u32 v4, vcc_lo, s0, v4
	v_add_co_ci_u32_e64 v5, null, s1, v5, vcc_lo
	global_store_dwordx2 v[4:5], v[2:3], off
.LBB41_21:
	s_andn2_b32 vcc_lo, exec_lo, s3
	s_cbranch_vccnz .LBB41_23
; %bb.22:
	v_ashrrev_i32_e32 v1, 31, v0
	v_lshlrev_b64 v[0:1], 2, v[0:1]
	v_add_co_u32 v0, vcc_lo, s0, v0
	v_add_co_ci_u32_e64 v1, null, s1, v1, vcc_lo
	global_load_dwordx2 v[4:5], v[0:1], off
	s_waitcnt vmcnt(0)
	v_fmac_f32_e32 v2, s2, v4
	v_fmac_f32_e32 v3, s2, v5
	global_store_dwordx2 v[0:1], v[2:3], off
.LBB41_23:
	s_endpgm
	.section	.rodata,"a",@progbits
	.p2align	6, 0x0
	.amdhsa_kernel _ZN9rocsparseL19gebsrmvn_2xn_kernelILj128ELj10ELj8EfEEvi20rocsparse_direction_NS_24const_host_device_scalarIT2_EEPKiS6_PKS3_S8_S4_PS3_21rocsparse_index_base_b
		.amdhsa_group_segment_fixed_size 0
		.amdhsa_private_segment_fixed_size 0
		.amdhsa_kernarg_size 72
		.amdhsa_user_sgpr_count 6
		.amdhsa_user_sgpr_private_segment_buffer 1
		.amdhsa_user_sgpr_dispatch_ptr 0
		.amdhsa_user_sgpr_queue_ptr 0
		.amdhsa_user_sgpr_kernarg_segment_ptr 1
		.amdhsa_user_sgpr_dispatch_id 0
		.amdhsa_user_sgpr_flat_scratch_init 0
		.amdhsa_user_sgpr_private_segment_size 0
		.amdhsa_wavefront_size32 1
		.amdhsa_uses_dynamic_stack 0
		.amdhsa_system_sgpr_private_segment_wavefront_offset 0
		.amdhsa_system_sgpr_workgroup_id_x 1
		.amdhsa_system_sgpr_workgroup_id_y 0
		.amdhsa_system_sgpr_workgroup_id_z 0
		.amdhsa_system_sgpr_workgroup_info 0
		.amdhsa_system_vgpr_workitem_id 0
		.amdhsa_next_free_vgpr 43
		.amdhsa_next_free_sgpr 20
		.amdhsa_reserve_vcc 1
		.amdhsa_reserve_flat_scratch 0
		.amdhsa_float_round_mode_32 0
		.amdhsa_float_round_mode_16_64 0
		.amdhsa_float_denorm_mode_32 3
		.amdhsa_float_denorm_mode_16_64 3
		.amdhsa_dx10_clamp 1
		.amdhsa_ieee_mode 1
		.amdhsa_fp16_overflow 0
		.amdhsa_workgroup_processor_mode 1
		.amdhsa_memory_ordered 1
		.amdhsa_forward_progress 1
		.amdhsa_shared_vgpr_count 0
		.amdhsa_exception_fp_ieee_invalid_op 0
		.amdhsa_exception_fp_denorm_src 0
		.amdhsa_exception_fp_ieee_div_zero 0
		.amdhsa_exception_fp_ieee_overflow 0
		.amdhsa_exception_fp_ieee_underflow 0
		.amdhsa_exception_fp_ieee_inexact 0
		.amdhsa_exception_int_div_zero 0
	.end_amdhsa_kernel
	.section	.text._ZN9rocsparseL19gebsrmvn_2xn_kernelILj128ELj10ELj8EfEEvi20rocsparse_direction_NS_24const_host_device_scalarIT2_EEPKiS6_PKS3_S8_S4_PS3_21rocsparse_index_base_b,"axG",@progbits,_ZN9rocsparseL19gebsrmvn_2xn_kernelILj128ELj10ELj8EfEEvi20rocsparse_direction_NS_24const_host_device_scalarIT2_EEPKiS6_PKS3_S8_S4_PS3_21rocsparse_index_base_b,comdat
.Lfunc_end41:
	.size	_ZN9rocsparseL19gebsrmvn_2xn_kernelILj128ELj10ELj8EfEEvi20rocsparse_direction_NS_24const_host_device_scalarIT2_EEPKiS6_PKS3_S8_S4_PS3_21rocsparse_index_base_b, .Lfunc_end41-_ZN9rocsparseL19gebsrmvn_2xn_kernelILj128ELj10ELj8EfEEvi20rocsparse_direction_NS_24const_host_device_scalarIT2_EEPKiS6_PKS3_S8_S4_PS3_21rocsparse_index_base_b
                                        ; -- End function
	.set _ZN9rocsparseL19gebsrmvn_2xn_kernelILj128ELj10ELj8EfEEvi20rocsparse_direction_NS_24const_host_device_scalarIT2_EEPKiS6_PKS3_S8_S4_PS3_21rocsparse_index_base_b.num_vgpr, 43
	.set _ZN9rocsparseL19gebsrmvn_2xn_kernelILj128ELj10ELj8EfEEvi20rocsparse_direction_NS_24const_host_device_scalarIT2_EEPKiS6_PKS3_S8_S4_PS3_21rocsparse_index_base_b.num_agpr, 0
	.set _ZN9rocsparseL19gebsrmvn_2xn_kernelILj128ELj10ELj8EfEEvi20rocsparse_direction_NS_24const_host_device_scalarIT2_EEPKiS6_PKS3_S8_S4_PS3_21rocsparse_index_base_b.numbered_sgpr, 20
	.set _ZN9rocsparseL19gebsrmvn_2xn_kernelILj128ELj10ELj8EfEEvi20rocsparse_direction_NS_24const_host_device_scalarIT2_EEPKiS6_PKS3_S8_S4_PS3_21rocsparse_index_base_b.num_named_barrier, 0
	.set _ZN9rocsparseL19gebsrmvn_2xn_kernelILj128ELj10ELj8EfEEvi20rocsparse_direction_NS_24const_host_device_scalarIT2_EEPKiS6_PKS3_S8_S4_PS3_21rocsparse_index_base_b.private_seg_size, 0
	.set _ZN9rocsparseL19gebsrmvn_2xn_kernelILj128ELj10ELj8EfEEvi20rocsparse_direction_NS_24const_host_device_scalarIT2_EEPKiS6_PKS3_S8_S4_PS3_21rocsparse_index_base_b.uses_vcc, 1
	.set _ZN9rocsparseL19gebsrmvn_2xn_kernelILj128ELj10ELj8EfEEvi20rocsparse_direction_NS_24const_host_device_scalarIT2_EEPKiS6_PKS3_S8_S4_PS3_21rocsparse_index_base_b.uses_flat_scratch, 0
	.set _ZN9rocsparseL19gebsrmvn_2xn_kernelILj128ELj10ELj8EfEEvi20rocsparse_direction_NS_24const_host_device_scalarIT2_EEPKiS6_PKS3_S8_S4_PS3_21rocsparse_index_base_b.has_dyn_sized_stack, 0
	.set _ZN9rocsparseL19gebsrmvn_2xn_kernelILj128ELj10ELj8EfEEvi20rocsparse_direction_NS_24const_host_device_scalarIT2_EEPKiS6_PKS3_S8_S4_PS3_21rocsparse_index_base_b.has_recursion, 0
	.set _ZN9rocsparseL19gebsrmvn_2xn_kernelILj128ELj10ELj8EfEEvi20rocsparse_direction_NS_24const_host_device_scalarIT2_EEPKiS6_PKS3_S8_S4_PS3_21rocsparse_index_base_b.has_indirect_call, 0
	.section	.AMDGPU.csdata,"",@progbits
; Kernel info:
; codeLenInByte = 2388
; TotalNumSgprs: 22
; NumVgprs: 43
; ScratchSize: 0
; MemoryBound: 0
; FloatMode: 240
; IeeeMode: 1
; LDSByteSize: 0 bytes/workgroup (compile time only)
; SGPRBlocks: 0
; VGPRBlocks: 5
; NumSGPRsForWavesPerEU: 22
; NumVGPRsForWavesPerEU: 43
; Occupancy: 16
; WaveLimiterHint : 1
; COMPUTE_PGM_RSRC2:SCRATCH_EN: 0
; COMPUTE_PGM_RSRC2:USER_SGPR: 6
; COMPUTE_PGM_RSRC2:TRAP_HANDLER: 0
; COMPUTE_PGM_RSRC2:TGID_X_EN: 1
; COMPUTE_PGM_RSRC2:TGID_Y_EN: 0
; COMPUTE_PGM_RSRC2:TGID_Z_EN: 0
; COMPUTE_PGM_RSRC2:TIDIG_COMP_CNT: 0
	.section	.text._ZN9rocsparseL19gebsrmvn_2xn_kernelILj128ELj10ELj16EfEEvi20rocsparse_direction_NS_24const_host_device_scalarIT2_EEPKiS6_PKS3_S8_S4_PS3_21rocsparse_index_base_b,"axG",@progbits,_ZN9rocsparseL19gebsrmvn_2xn_kernelILj128ELj10ELj16EfEEvi20rocsparse_direction_NS_24const_host_device_scalarIT2_EEPKiS6_PKS3_S8_S4_PS3_21rocsparse_index_base_b,comdat
	.globl	_ZN9rocsparseL19gebsrmvn_2xn_kernelILj128ELj10ELj16EfEEvi20rocsparse_direction_NS_24const_host_device_scalarIT2_EEPKiS6_PKS3_S8_S4_PS3_21rocsparse_index_base_b ; -- Begin function _ZN9rocsparseL19gebsrmvn_2xn_kernelILj128ELj10ELj16EfEEvi20rocsparse_direction_NS_24const_host_device_scalarIT2_EEPKiS6_PKS3_S8_S4_PS3_21rocsparse_index_base_b
	.p2align	8
	.type	_ZN9rocsparseL19gebsrmvn_2xn_kernelILj128ELj10ELj16EfEEvi20rocsparse_direction_NS_24const_host_device_scalarIT2_EEPKiS6_PKS3_S8_S4_PS3_21rocsparse_index_base_b,@function
_ZN9rocsparseL19gebsrmvn_2xn_kernelILj128ELj10ELj16EfEEvi20rocsparse_direction_NS_24const_host_device_scalarIT2_EEPKiS6_PKS3_S8_S4_PS3_21rocsparse_index_base_b: ; @_ZN9rocsparseL19gebsrmvn_2xn_kernelILj128ELj10ELj16EfEEvi20rocsparse_direction_NS_24const_host_device_scalarIT2_EEPKiS6_PKS3_S8_S4_PS3_21rocsparse_index_base_b
; %bb.0:
	s_clause 0x2
	s_load_dwordx2 s[18:19], s[4:5], 0x40
	s_load_dwordx2 s[16:17], s[4:5], 0x8
	;; [unrolled: 1-line block ×3, first 2 shown]
	s_waitcnt lgkmcnt(0)
	s_bitcmp1_b32 s19, 0
	s_cselect_b32 s0, -1, 0
	s_and_b32 vcc_lo, exec_lo, s0
	s_xor_b32 s0, s0, -1
	s_cbranch_vccnz .LBB42_2
; %bb.1:
	s_load_dword s16, s[16:17], 0x0
.LBB42_2:
	s_andn2_b32 vcc_lo, exec_lo, s0
	s_cbranch_vccnz .LBB42_4
; %bb.3:
	s_load_dword s2, s[2:3], 0x0
.LBB42_4:
	s_waitcnt lgkmcnt(0)
	v_cmp_eq_f32_e64 s0, s16, 0
	v_cmp_eq_f32_e64 s1, s2, 1.0
	s_and_b32 s0, s0, s1
	s_and_b32 vcc_lo, exec_lo, s0
	s_cbranch_vccnz .LBB42_23
; %bb.5:
	s_load_dwordx2 s[0:1], s[4:5], 0x0
	v_lshrrev_b32_e32 v1, 4, v0
	v_lshl_or_b32 v1, s6, 3, v1
	s_waitcnt lgkmcnt(0)
	v_cmp_gt_i32_e32 vcc_lo, s0, v1
	s_and_saveexec_b32 s0, vcc_lo
	s_cbranch_execz .LBB42_23
; %bb.6:
	s_load_dwordx8 s[8:15], s[4:5], 0x10
	v_ashrrev_i32_e32 v2, 31, v1
	v_and_b32_e32 v0, 15, v0
	s_cmp_lg_u32 s1, 0
	v_lshlrev_b64 v[2:3], 2, v[1:2]
	s_waitcnt lgkmcnt(0)
	v_add_co_u32 v2, vcc_lo, s8, v2
	v_add_co_ci_u32_e64 v3, null, s9, v3, vcc_lo
	global_load_dwordx2 v[2:3], v[2:3], off
	s_waitcnt vmcnt(0)
	v_subrev_nc_u32_e32 v2, s18, v2
	v_subrev_nc_u32_e32 v11, s18, v3
	v_add_nc_u32_e32 v2, v2, v0
	v_cmp_lt_i32_e64 s0, v2, v11
	s_cbranch_scc0 .LBB42_12
; %bb.7:
	v_mov_b32_e32 v9, 0
	v_mov_b32_e32 v10, 0
	s_and_saveexec_b32 s3, s0
	s_cbranch_execz .LBB42_11
; %bb.8:
	v_mad_u64_u32 v[3:4], null, v2, 20, 18
	v_mov_b32_e32 v6, 0
	v_mov_b32_e32 v7, v2
	;; [unrolled: 1-line block ×4, first 2 shown]
	s_mov_b32 s6, 0
.LBB42_9:                               ; =>This Inner Loop Header: Depth=1
	v_ashrrev_i32_e32 v8, 31, v7
	v_mov_b32_e32 v17, v6
	v_lshlrev_b64 v[4:5], 2, v[7:8]
	v_add_nc_u32_e32 v7, 16, v7
	v_add_co_u32 v4, vcc_lo, s10, v4
	v_add_co_ci_u32_e64 v5, null, s11, v5, vcc_lo
	global_load_dword v8, v[4:5], off
	v_subrev_nc_u32_e32 v5, 18, v3
	v_mov_b32_e32 v4, v6
	v_lshlrev_b64 v[12:13], 2, v[5:6]
	v_add_nc_u32_e32 v5, -14, v3
	v_lshlrev_b64 v[18:19], 2, v[3:4]
	v_lshlrev_b64 v[4:5], 2, v[5:6]
	v_add_co_u32 v12, vcc_lo, s12, v12
	v_add_co_ci_u32_e64 v13, null, s13, v13, vcc_lo
	v_add_co_u32 v18, vcc_lo, s12, v18
	v_add_co_u32 v4, s1, s12, v4
	v_add_co_ci_u32_e64 v5, null, s13, v5, s1
	s_clause 0x1
	global_load_dwordx4 v[12:15], v[12:13], off
	global_load_dwordx2 v[20:21], v[4:5], off
	v_add_co_ci_u32_e64 v19, null, s13, v19, vcc_lo
	v_cmp_ge_i32_e32 vcc_lo, v7, v11
	s_or_b32 s6, vcc_lo, s6
	s_waitcnt vmcnt(2)
	v_subrev_nc_u32_e32 v4, s18, v8
	v_mul_lo_u32 v16, v4, 10
	v_add_nc_u32_e32 v5, 2, v16
	v_lshlrev_b64 v[22:23], 2, v[16:17]
	v_lshlrev_b64 v[24:25], 2, v[5:6]
	v_add_nc_u32_e32 v5, -12, v3
	v_add_co_u32 v22, s1, s14, v22
	v_add_co_ci_u32_e64 v23, null, s15, v23, s1
	v_lshlrev_b64 v[26:27], 2, v[5:6]
	v_add_nc_u32_e32 v5, -10, v3
	v_add_co_u32 v24, s1, s14, v24
	global_load_dwordx2 v[22:23], v[22:23], off
	v_add_co_ci_u32_e64 v25, null, s15, v25, s1
	v_lshlrev_b64 v[28:29], 2, v[5:6]
	v_add_nc_u32_e32 v5, 4, v16
	v_add_co_u32 v26, s1, s12, v26
	v_add_co_ci_u32_e64 v27, null, s13, v27, s1
	v_lshlrev_b64 v[30:31], 2, v[5:6]
	v_add_nc_u32_e32 v5, -8, v3
	global_load_dwordx2 v[24:25], v[24:25], off
	v_add_co_u32 v28, s1, s12, v28
	v_add_co_ci_u32_e64 v29, null, s13, v29, s1
	v_lshlrev_b64 v[32:33], 2, v[5:6]
	v_add_nc_u32_e32 v5, -6, v3
	v_add_co_u32 v30, s1, s14, v30
	s_clause 0x1
	global_load_dwordx2 v[26:27], v[26:27], off
	global_load_dwordx2 v[28:29], v[28:29], off
	v_lshlrev_b64 v[34:35], 2, v[5:6]
	v_add_nc_u32_e32 v5, 6, v16
	v_add_co_ci_u32_e64 v31, null, s15, v31, s1
	v_add_co_u32 v32, s1, s12, v32
	v_lshlrev_b64 v[36:37], 2, v[5:6]
	v_add_nc_u32_e32 v5, -4, v3
	global_load_dwordx2 v[30:31], v[30:31], off
	v_add_co_ci_u32_e64 v33, null, s13, v33, s1
	v_add_co_u32 v34, s1, s12, v34
	v_lshlrev_b64 v[38:39], 2, v[5:6]
	v_add_nc_u32_e32 v5, -2, v3
	v_add_co_ci_u32_e64 v35, null, s13, v35, s1
	v_add_co_u32 v36, s1, s14, v36
	v_lshlrev_b64 v[40:41], 2, v[5:6]
	v_add_nc_u32_e32 v5, 8, v16
	s_clause 0x1
	global_load_dwordx2 v[32:33], v[32:33], off
	global_load_dwordx2 v[34:35], v[34:35], off
	v_add_co_ci_u32_e64 v37, null, s15, v37, s1
	v_add_co_u32 v16, s1, s12, v38
	v_lshlrev_b64 v[4:5], 2, v[5:6]
	v_add_co_ci_u32_e64 v17, null, s13, v39, s1
	global_load_dwordx2 v[36:37], v[36:37], off
	v_add_co_u32 v38, s1, s12, v40
	global_load_dwordx2 v[16:17], v[16:17], off
	v_add_co_ci_u32_e64 v39, null, s13, v41, s1
	v_add_co_u32 v4, s1, s14, v4
	v_add_co_ci_u32_e64 v5, null, s15, v5, s1
	global_load_dwordx2 v[38:39], v[38:39], off
	global_load_dwordx2 v[4:5], v[4:5], off
	global_load_dwordx2 v[18:19], v[18:19], off
	v_add_nc_u32_e32 v3, 0x140, v3
	s_waitcnt vmcnt(11)
	v_fmac_f32_e32 v9, v12, v22
	v_fmac_f32_e32 v10, v13, v22
	;; [unrolled: 1-line block ×4, first 2 shown]
	s_waitcnt vmcnt(10)
	v_fmac_f32_e32 v9, v20, v24
	v_fmac_f32_e32 v10, v21, v24
	s_waitcnt vmcnt(9)
	v_fmac_f32_e32 v9, v26, v25
	v_fmac_f32_e32 v10, v27, v25
	;; [unrolled: 3-line block ×8, first 2 shown]
	s_andn2_b32 exec_lo, exec_lo, s6
	s_cbranch_execnz .LBB42_9
; %bb.10:
	s_or_b32 exec_lo, exec_lo, s6
.LBB42_11:
	s_or_b32 exec_lo, exec_lo, s3
	s_cbranch_execz .LBB42_13
	s_branch .LBB42_18
.LBB42_12:
                                        ; implicit-def: $vgpr9
                                        ; implicit-def: $vgpr10
.LBB42_13:
	v_mov_b32_e32 v9, 0
	v_mov_b32_e32 v10, 0
	s_and_saveexec_b32 s1, s0
	s_cbranch_execz .LBB42_17
; %bb.14:
	v_mad_u64_u32 v[4:5], null, v2, 20, 19
	v_mov_b32_e32 v7, 0
	v_mov_b32_e32 v9, 0
	;; [unrolled: 1-line block ×3, first 2 shown]
	s_mov_b32 s0, 0
.LBB42_15:                              ; =>This Inner Loop Header: Depth=1
	v_ashrrev_i32_e32 v3, 31, v2
	v_add_nc_u32_e32 v12, -9, v4
	v_mov_b32_e32 v13, v7
	v_mov_b32_e32 v17, v7
	v_lshlrev_b64 v[5:6], 2, v[2:3]
	v_add_nc_u32_e32 v2, 16, v2
	v_lshlrev_b64 v[12:13], 2, v[12:13]
	v_add_co_u32 v5, vcc_lo, s10, v5
	v_add_co_ci_u32_e64 v6, null, s11, v6, vcc_lo
	global_load_dword v3, v[5:6], off
	v_subrev_nc_u32_e32 v6, 19, v4
	v_mov_b32_e32 v5, v7
	v_lshlrev_b64 v[14:15], 2, v[6:7]
	v_add_nc_u32_e32 v6, -8, v4
	v_lshlrev_b64 v[18:19], 2, v[4:5]
	v_lshlrev_b64 v[5:6], 2, v[6:7]
	v_add_co_u32 v14, vcc_lo, s12, v14
	v_add_co_ci_u32_e64 v15, null, s13, v15, vcc_lo
	v_add_co_u32 v20, vcc_lo, s12, v12
	v_add_co_ci_u32_e64 v21, null, s13, v13, vcc_lo
	;; [unrolled: 2-line block ×4, first 2 shown]
	s_clause 0x2
	global_load_dwordx4 v[12:15], v[14:15], off
	global_load_dword v8, v[20:21], off
	global_load_dword v34, v[5:6], off
	s_waitcnt vmcnt(3)
	v_subrev_nc_u32_e32 v3, s18, v3
	v_mul_lo_u32 v16, v3, 10
	v_add_nc_u32_e32 v6, 2, v16
	v_lshlrev_b64 v[20:21], 2, v[16:17]
	v_lshlrev_b64 v[22:23], 2, v[6:7]
	v_add_nc_u32_e32 v6, -7, v4
	v_add_co_u32 v20, vcc_lo, s14, v20
	v_add_co_ci_u32_e64 v21, null, s15, v21, vcc_lo
	v_lshlrev_b64 v[24:25], 2, v[6:7]
	v_add_nc_u32_e32 v6, -6, v4
	v_add_co_u32 v22, vcc_lo, s14, v22
	v_add_co_ci_u32_e64 v23, null, s15, v23, vcc_lo
	;; [unrolled: 4-line block ×3, first 2 shown]
	v_add_co_u32 v26, vcc_lo, s12, v26
	v_lshlrev_b64 v[28:29], 2, v[6:7]
	v_add_nc_u32_e32 v6, 4, v16
	v_add_co_ci_u32_e64 v27, null, s13, v27, vcc_lo
	global_load_dword v3, v[24:25], off
	s_clause 0x1
	global_load_dwordx2 v[20:21], v[20:21], off
	global_load_dwordx2 v[22:23], v[22:23], off
	global_load_dword v35, v[26:27], off
	v_lshlrev_b64 v[24:25], 2, v[6:7]
	v_add_nc_u32_e32 v6, -5, v4
	v_add_co_u32 v26, vcc_lo, s12, v28
	v_add_co_ci_u32_e64 v27, null, s13, v29, vcc_lo
	v_lshlrev_b64 v[28:29], 2, v[6:7]
	v_add_co_u32 v24, vcc_lo, s14, v24
	v_add_co_ci_u32_e64 v25, null, s15, v25, vcc_lo
	v_add_nc_u32_e32 v6, -14, v4
	v_add_co_u32 v28, vcc_lo, s12, v28
	v_add_co_ci_u32_e64 v29, null, s13, v29, vcc_lo
	global_load_dword v36, v[26:27], off
	global_load_dwordx2 v[24:25], v[24:25], off
	global_load_dword v37, v[28:29], off
	v_lshlrev_b64 v[26:27], 2, v[6:7]
	v_add_nc_u32_e32 v6, -4, v4
	v_lshlrev_b64 v[30:31], 2, v[6:7]
	v_add_nc_u32_e32 v6, -13, v4
	v_add_co_u32 v26, vcc_lo, s12, v26
	v_add_co_ci_u32_e64 v27, null, s13, v27, vcc_lo
	v_lshlrev_b64 v[28:29], 2, v[6:7]
	v_add_nc_u32_e32 v6, 6, v16
	global_load_dword v38, v[26:27], off
	v_add_co_u32 v26, vcc_lo, s12, v30
	v_add_co_ci_u32_e64 v27, null, s13, v31, vcc_lo
	v_add_co_u32 v28, vcc_lo, s12, v28
	v_lshlrev_b64 v[30:31], 2, v[6:7]
	v_add_nc_u32_e32 v6, -3, v4
	v_add_co_ci_u32_e64 v29, null, s13, v29, vcc_lo
	s_clause 0x1
	global_load_dword v39, v[26:27], off
	global_load_dword v40, v[28:29], off
	v_lshlrev_b64 v[26:27], 2, v[6:7]
	v_add_nc_u32_e32 v6, -12, v4
	v_add_co_u32 v28, vcc_lo, s14, v30
	v_add_co_ci_u32_e64 v29, null, s15, v31, vcc_lo
	v_lshlrev_b64 v[30:31], 2, v[6:7]
	v_add_nc_u32_e32 v6, -2, v4
	v_add_co_u32 v26, vcc_lo, s12, v26
	v_add_co_ci_u32_e64 v27, null, s13, v27, vcc_lo
	v_lshlrev_b64 v[32:33], 2, v[6:7]
	v_add_nc_u32_e32 v6, -11, v4
	global_load_dwordx2 v[28:29], v[28:29], off
	global_load_dword v41, v[26:27], off
	v_add_co_u32 v26, vcc_lo, s12, v30
	v_add_co_ci_u32_e64 v27, null, s13, v31, vcc_lo
	v_lshlrev_b64 v[30:31], 2, v[6:7]
	v_add_nc_u32_e32 v6, 8, v16
	v_add_co_u32 v16, vcc_lo, s12, v32
	v_add_co_ci_u32_e64 v17, null, s13, v33, vcc_lo
	global_load_dword v32, v[26:27], off
	v_lshlrev_b64 v[26:27], 2, v[6:7]
	v_add_nc_u32_e32 v6, -1, v4
	global_load_dword v33, v[16:17], off
	v_add_co_u32 v16, vcc_lo, s12, v30
	v_add_co_ci_u32_e64 v17, null, s13, v31, vcc_lo
	v_lshlrev_b64 v[30:31], 2, v[6:7]
	v_add_nc_u32_e32 v6, -10, v4
	v_add_co_u32 v26, vcc_lo, s14, v26
	v_add_co_ci_u32_e64 v27, null, s15, v27, vcc_lo
	v_lshlrev_b64 v[5:6], 2, v[6:7]
	global_load_dword v42, v[16:17], off
	v_add_nc_u32_e32 v4, 0x140, v4
	global_load_dwordx2 v[16:17], v[26:27], off
	v_add_co_u32 v26, vcc_lo, s12, v30
	v_add_co_ci_u32_e64 v27, null, s13, v31, vcc_lo
	v_add_co_u32 v5, vcc_lo, s12, v5
	v_add_co_ci_u32_e64 v6, null, s13, v6, vcc_lo
	s_clause 0x2
	global_load_dword v26, v[26:27], off
	global_load_dword v5, v[5:6], off
	;; [unrolled: 1-line block ×3, first 2 shown]
	v_cmp_ge_i32_e32 vcc_lo, v2, v11
	s_or_b32 s0, vcc_lo, s0
	s_waitcnt vmcnt(17)
	v_fmac_f32_e32 v9, v12, v20
	v_fmac_f32_e32 v10, v8, v20
	;; [unrolled: 1-line block ×4, first 2 shown]
	s_waitcnt vmcnt(16)
	v_fmac_f32_e32 v9, v14, v22
	v_fmac_f32_e32 v10, v3, v22
	;; [unrolled: 1-line block ×3, first 2 shown]
	s_waitcnt vmcnt(15)
	v_fmac_f32_e32 v10, v35, v23
	s_waitcnt vmcnt(13)
	v_fmac_f32_e32 v9, v36, v24
	;; [unrolled: 2-line block ×13, first 2 shown]
	s_andn2_b32 exec_lo, exec_lo, s0
	s_cbranch_execnz .LBB42_15
; %bb.16:
	s_or_b32 exec_lo, exec_lo, s0
.LBB42_17:
	s_or_b32 exec_lo, exec_lo, s1
.LBB42_18:
	v_mbcnt_lo_u32_b32 v2, -1, 0
	s_mov_b32 s3, -1
	v_xor_b32_e32 v3, 8, v2
	v_xor_b32_e32 v5, 4, v2
	;; [unrolled: 1-line block ×3, first 2 shown]
	v_cmp_gt_i32_e32 vcc_lo, 32, v3
	v_cndmask_b32_e32 v3, v2, v3, vcc_lo
	v_cmp_gt_i32_e32 vcc_lo, 32, v5
	v_lshlrev_b32_e32 v3, 2, v3
	v_cndmask_b32_e32 v5, v2, v5, vcc_lo
	v_cmp_gt_i32_e32 vcc_lo, 32, v7
	ds_bpermute_b32 v4, v3, v9
	ds_bpermute_b32 v3, v3, v10
	v_lshlrev_b32_e32 v5, 2, v5
	v_cndmask_b32_e32 v7, v2, v7, vcc_lo
	v_lshlrev_b32_e32 v7, 2, v7
	s_waitcnt lgkmcnt(1)
	v_add_f32_e32 v4, v9, v4
	s_waitcnt lgkmcnt(0)
	v_add_f32_e32 v3, v10, v3
	ds_bpermute_b32 v6, v5, v4
	ds_bpermute_b32 v5, v5, v3
	s_waitcnt lgkmcnt(1)
	v_add_f32_e32 v4, v4, v6
	s_waitcnt lgkmcnt(0)
	v_add_f32_e32 v3, v3, v5
	ds_bpermute_b32 v5, v7, v4
	ds_bpermute_b32 v6, v7, v3
	v_xor_b32_e32 v7, 1, v2
	v_cmp_gt_i32_e32 vcc_lo, 32, v7
	v_cndmask_b32_e32 v2, v2, v7, vcc_lo
	v_cmp_eq_u32_e32 vcc_lo, 15, v0
	v_lshlrev_b32_e32 v7, 2, v2
	s_waitcnt lgkmcnt(1)
	v_add_f32_e32 v2, v4, v5
	s_waitcnt lgkmcnt(0)
	v_add_f32_e32 v3, v3, v6
	ds_bpermute_b32 v4, v7, v2
	ds_bpermute_b32 v5, v7, v3
	s_and_b32 exec_lo, exec_lo, vcc_lo
	s_cbranch_execz .LBB42_23
; %bb.19:
	s_load_dwordx2 s[0:1], s[4:5], 0x38
	s_waitcnt lgkmcnt(0)
	v_add_f32_e32 v0, v2, v4
	v_add_f32_e32 v3, v3, v5
	v_cmp_eq_f32_e64 s4, s2, 0
	v_mul_f32_e32 v2, s16, v0
	v_mul_f32_e32 v3, s16, v3
	v_lshlrev_b32_e32 v0, 1, v1
	s_and_b32 vcc_lo, exec_lo, s4
	s_cbranch_vccz .LBB42_21
; %bb.20:
	v_ashrrev_i32_e32 v1, 31, v0
	s_mov_b32 s3, 0
	v_lshlrev_b64 v[4:5], 2, v[0:1]
	v_add_co_u32 v4, vcc_lo, s0, v4
	v_add_co_ci_u32_e64 v5, null, s1, v5, vcc_lo
	global_store_dwordx2 v[4:5], v[2:3], off
.LBB42_21:
	s_andn2_b32 vcc_lo, exec_lo, s3
	s_cbranch_vccnz .LBB42_23
; %bb.22:
	v_ashrrev_i32_e32 v1, 31, v0
	v_lshlrev_b64 v[0:1], 2, v[0:1]
	v_add_co_u32 v0, vcc_lo, s0, v0
	v_add_co_ci_u32_e64 v1, null, s1, v1, vcc_lo
	global_load_dwordx2 v[4:5], v[0:1], off
	s_waitcnt vmcnt(0)
	v_fmac_f32_e32 v2, s2, v4
	v_fmac_f32_e32 v3, s2, v5
	global_store_dwordx2 v[0:1], v[2:3], off
.LBB42_23:
	s_endpgm
	.section	.rodata,"a",@progbits
	.p2align	6, 0x0
	.amdhsa_kernel _ZN9rocsparseL19gebsrmvn_2xn_kernelILj128ELj10ELj16EfEEvi20rocsparse_direction_NS_24const_host_device_scalarIT2_EEPKiS6_PKS3_S8_S4_PS3_21rocsparse_index_base_b
		.amdhsa_group_segment_fixed_size 0
		.amdhsa_private_segment_fixed_size 0
		.amdhsa_kernarg_size 72
		.amdhsa_user_sgpr_count 6
		.amdhsa_user_sgpr_private_segment_buffer 1
		.amdhsa_user_sgpr_dispatch_ptr 0
		.amdhsa_user_sgpr_queue_ptr 0
		.amdhsa_user_sgpr_kernarg_segment_ptr 1
		.amdhsa_user_sgpr_dispatch_id 0
		.amdhsa_user_sgpr_flat_scratch_init 0
		.amdhsa_user_sgpr_private_segment_size 0
		.amdhsa_wavefront_size32 1
		.amdhsa_uses_dynamic_stack 0
		.amdhsa_system_sgpr_private_segment_wavefront_offset 0
		.amdhsa_system_sgpr_workgroup_id_x 1
		.amdhsa_system_sgpr_workgroup_id_y 0
		.amdhsa_system_sgpr_workgroup_id_z 0
		.amdhsa_system_sgpr_workgroup_info 0
		.amdhsa_system_vgpr_workitem_id 0
		.amdhsa_next_free_vgpr 43
		.amdhsa_next_free_sgpr 20
		.amdhsa_reserve_vcc 1
		.amdhsa_reserve_flat_scratch 0
		.amdhsa_float_round_mode_32 0
		.amdhsa_float_round_mode_16_64 0
		.amdhsa_float_denorm_mode_32 3
		.amdhsa_float_denorm_mode_16_64 3
		.amdhsa_dx10_clamp 1
		.amdhsa_ieee_mode 1
		.amdhsa_fp16_overflow 0
		.amdhsa_workgroup_processor_mode 1
		.amdhsa_memory_ordered 1
		.amdhsa_forward_progress 1
		.amdhsa_shared_vgpr_count 0
		.amdhsa_exception_fp_ieee_invalid_op 0
		.amdhsa_exception_fp_denorm_src 0
		.amdhsa_exception_fp_ieee_div_zero 0
		.amdhsa_exception_fp_ieee_overflow 0
		.amdhsa_exception_fp_ieee_underflow 0
		.amdhsa_exception_fp_ieee_inexact 0
		.amdhsa_exception_int_div_zero 0
	.end_amdhsa_kernel
	.section	.text._ZN9rocsparseL19gebsrmvn_2xn_kernelILj128ELj10ELj16EfEEvi20rocsparse_direction_NS_24const_host_device_scalarIT2_EEPKiS6_PKS3_S8_S4_PS3_21rocsparse_index_base_b,"axG",@progbits,_ZN9rocsparseL19gebsrmvn_2xn_kernelILj128ELj10ELj16EfEEvi20rocsparse_direction_NS_24const_host_device_scalarIT2_EEPKiS6_PKS3_S8_S4_PS3_21rocsparse_index_base_b,comdat
.Lfunc_end42:
	.size	_ZN9rocsparseL19gebsrmvn_2xn_kernelILj128ELj10ELj16EfEEvi20rocsparse_direction_NS_24const_host_device_scalarIT2_EEPKiS6_PKS3_S8_S4_PS3_21rocsparse_index_base_b, .Lfunc_end42-_ZN9rocsparseL19gebsrmvn_2xn_kernelILj128ELj10ELj16EfEEvi20rocsparse_direction_NS_24const_host_device_scalarIT2_EEPKiS6_PKS3_S8_S4_PS3_21rocsparse_index_base_b
                                        ; -- End function
	.set _ZN9rocsparseL19gebsrmvn_2xn_kernelILj128ELj10ELj16EfEEvi20rocsparse_direction_NS_24const_host_device_scalarIT2_EEPKiS6_PKS3_S8_S4_PS3_21rocsparse_index_base_b.num_vgpr, 43
	.set _ZN9rocsparseL19gebsrmvn_2xn_kernelILj128ELj10ELj16EfEEvi20rocsparse_direction_NS_24const_host_device_scalarIT2_EEPKiS6_PKS3_S8_S4_PS3_21rocsparse_index_base_b.num_agpr, 0
	.set _ZN9rocsparseL19gebsrmvn_2xn_kernelILj128ELj10ELj16EfEEvi20rocsparse_direction_NS_24const_host_device_scalarIT2_EEPKiS6_PKS3_S8_S4_PS3_21rocsparse_index_base_b.numbered_sgpr, 20
	.set _ZN9rocsparseL19gebsrmvn_2xn_kernelILj128ELj10ELj16EfEEvi20rocsparse_direction_NS_24const_host_device_scalarIT2_EEPKiS6_PKS3_S8_S4_PS3_21rocsparse_index_base_b.num_named_barrier, 0
	.set _ZN9rocsparseL19gebsrmvn_2xn_kernelILj128ELj10ELj16EfEEvi20rocsparse_direction_NS_24const_host_device_scalarIT2_EEPKiS6_PKS3_S8_S4_PS3_21rocsparse_index_base_b.private_seg_size, 0
	.set _ZN9rocsparseL19gebsrmvn_2xn_kernelILj128ELj10ELj16EfEEvi20rocsparse_direction_NS_24const_host_device_scalarIT2_EEPKiS6_PKS3_S8_S4_PS3_21rocsparse_index_base_b.uses_vcc, 1
	.set _ZN9rocsparseL19gebsrmvn_2xn_kernelILj128ELj10ELj16EfEEvi20rocsparse_direction_NS_24const_host_device_scalarIT2_EEPKiS6_PKS3_S8_S4_PS3_21rocsparse_index_base_b.uses_flat_scratch, 0
	.set _ZN9rocsparseL19gebsrmvn_2xn_kernelILj128ELj10ELj16EfEEvi20rocsparse_direction_NS_24const_host_device_scalarIT2_EEPKiS6_PKS3_S8_S4_PS3_21rocsparse_index_base_b.has_dyn_sized_stack, 0
	.set _ZN9rocsparseL19gebsrmvn_2xn_kernelILj128ELj10ELj16EfEEvi20rocsparse_direction_NS_24const_host_device_scalarIT2_EEPKiS6_PKS3_S8_S4_PS3_21rocsparse_index_base_b.has_recursion, 0
	.set _ZN9rocsparseL19gebsrmvn_2xn_kernelILj128ELj10ELj16EfEEvi20rocsparse_direction_NS_24const_host_device_scalarIT2_EEPKiS6_PKS3_S8_S4_PS3_21rocsparse_index_base_b.has_indirect_call, 0
	.section	.AMDGPU.csdata,"",@progbits
; Kernel info:
; codeLenInByte = 2436
; TotalNumSgprs: 22
; NumVgprs: 43
; ScratchSize: 0
; MemoryBound: 0
; FloatMode: 240
; IeeeMode: 1
; LDSByteSize: 0 bytes/workgroup (compile time only)
; SGPRBlocks: 0
; VGPRBlocks: 5
; NumSGPRsForWavesPerEU: 22
; NumVGPRsForWavesPerEU: 43
; Occupancy: 16
; WaveLimiterHint : 1
; COMPUTE_PGM_RSRC2:SCRATCH_EN: 0
; COMPUTE_PGM_RSRC2:USER_SGPR: 6
; COMPUTE_PGM_RSRC2:TRAP_HANDLER: 0
; COMPUTE_PGM_RSRC2:TGID_X_EN: 1
; COMPUTE_PGM_RSRC2:TGID_Y_EN: 0
; COMPUTE_PGM_RSRC2:TGID_Z_EN: 0
; COMPUTE_PGM_RSRC2:TIDIG_COMP_CNT: 0
	.section	.text._ZN9rocsparseL19gebsrmvn_2xn_kernelILj128ELj10ELj32EfEEvi20rocsparse_direction_NS_24const_host_device_scalarIT2_EEPKiS6_PKS3_S8_S4_PS3_21rocsparse_index_base_b,"axG",@progbits,_ZN9rocsparseL19gebsrmvn_2xn_kernelILj128ELj10ELj32EfEEvi20rocsparse_direction_NS_24const_host_device_scalarIT2_EEPKiS6_PKS3_S8_S4_PS3_21rocsparse_index_base_b,comdat
	.globl	_ZN9rocsparseL19gebsrmvn_2xn_kernelILj128ELj10ELj32EfEEvi20rocsparse_direction_NS_24const_host_device_scalarIT2_EEPKiS6_PKS3_S8_S4_PS3_21rocsparse_index_base_b ; -- Begin function _ZN9rocsparseL19gebsrmvn_2xn_kernelILj128ELj10ELj32EfEEvi20rocsparse_direction_NS_24const_host_device_scalarIT2_EEPKiS6_PKS3_S8_S4_PS3_21rocsparse_index_base_b
	.p2align	8
	.type	_ZN9rocsparseL19gebsrmvn_2xn_kernelILj128ELj10ELj32EfEEvi20rocsparse_direction_NS_24const_host_device_scalarIT2_EEPKiS6_PKS3_S8_S4_PS3_21rocsparse_index_base_b,@function
_ZN9rocsparseL19gebsrmvn_2xn_kernelILj128ELj10ELj32EfEEvi20rocsparse_direction_NS_24const_host_device_scalarIT2_EEPKiS6_PKS3_S8_S4_PS3_21rocsparse_index_base_b: ; @_ZN9rocsparseL19gebsrmvn_2xn_kernelILj128ELj10ELj32EfEEvi20rocsparse_direction_NS_24const_host_device_scalarIT2_EEPKiS6_PKS3_S8_S4_PS3_21rocsparse_index_base_b
; %bb.0:
	s_clause 0x2
	s_load_dwordx2 s[18:19], s[4:5], 0x40
	s_load_dwordx2 s[16:17], s[4:5], 0x8
	;; [unrolled: 1-line block ×3, first 2 shown]
	s_waitcnt lgkmcnt(0)
	s_bitcmp1_b32 s19, 0
	s_cselect_b32 s0, -1, 0
	s_and_b32 vcc_lo, exec_lo, s0
	s_xor_b32 s0, s0, -1
	s_cbranch_vccnz .LBB43_2
; %bb.1:
	s_load_dword s16, s[16:17], 0x0
.LBB43_2:
	s_andn2_b32 vcc_lo, exec_lo, s0
	s_cbranch_vccnz .LBB43_4
; %bb.3:
	s_load_dword s2, s[2:3], 0x0
.LBB43_4:
	s_waitcnt lgkmcnt(0)
	v_cmp_eq_f32_e64 s0, s16, 0
	v_cmp_eq_f32_e64 s1, s2, 1.0
	s_and_b32 s0, s0, s1
	s_and_b32 vcc_lo, exec_lo, s0
	s_cbranch_vccnz .LBB43_23
; %bb.5:
	s_load_dwordx2 s[0:1], s[4:5], 0x0
	v_lshrrev_b32_e32 v1, 5, v0
	v_lshl_or_b32 v1, s6, 2, v1
	s_waitcnt lgkmcnt(0)
	v_cmp_gt_i32_e32 vcc_lo, s0, v1
	s_and_saveexec_b32 s0, vcc_lo
	s_cbranch_execz .LBB43_23
; %bb.6:
	s_load_dwordx8 s[8:15], s[4:5], 0x10
	v_ashrrev_i32_e32 v2, 31, v1
	v_and_b32_e32 v0, 31, v0
	s_cmp_lg_u32 s1, 0
	v_lshlrev_b64 v[2:3], 2, v[1:2]
	s_waitcnt lgkmcnt(0)
	v_add_co_u32 v2, vcc_lo, s8, v2
	v_add_co_ci_u32_e64 v3, null, s9, v3, vcc_lo
	global_load_dwordx2 v[2:3], v[2:3], off
	s_waitcnt vmcnt(0)
	v_subrev_nc_u32_e32 v2, s18, v2
	v_subrev_nc_u32_e32 v11, s18, v3
	v_add_nc_u32_e32 v2, v2, v0
	v_cmp_lt_i32_e64 s0, v2, v11
	s_cbranch_scc0 .LBB43_12
; %bb.7:
	v_mov_b32_e32 v9, 0
	v_mov_b32_e32 v10, 0
	s_and_saveexec_b32 s3, s0
	s_cbranch_execz .LBB43_11
; %bb.8:
	v_mad_u64_u32 v[3:4], null, v2, 20, 18
	v_mov_b32_e32 v6, 0
	v_mov_b32_e32 v7, v2
	;; [unrolled: 1-line block ×4, first 2 shown]
	s_mov_b32 s6, 0
.LBB43_9:                               ; =>This Inner Loop Header: Depth=1
	v_ashrrev_i32_e32 v8, 31, v7
	v_mov_b32_e32 v17, v6
	v_lshlrev_b64 v[4:5], 2, v[7:8]
	v_add_nc_u32_e32 v7, 32, v7
	v_add_co_u32 v4, vcc_lo, s10, v4
	v_add_co_ci_u32_e64 v5, null, s11, v5, vcc_lo
	global_load_dword v8, v[4:5], off
	v_subrev_nc_u32_e32 v5, 18, v3
	v_mov_b32_e32 v4, v6
	v_lshlrev_b64 v[12:13], 2, v[5:6]
	v_add_nc_u32_e32 v5, -14, v3
	v_lshlrev_b64 v[18:19], 2, v[3:4]
	v_lshlrev_b64 v[4:5], 2, v[5:6]
	v_add_co_u32 v12, vcc_lo, s12, v12
	v_add_co_ci_u32_e64 v13, null, s13, v13, vcc_lo
	v_add_co_u32 v18, vcc_lo, s12, v18
	v_add_co_u32 v4, s1, s12, v4
	v_add_co_ci_u32_e64 v5, null, s13, v5, s1
	s_clause 0x1
	global_load_dwordx4 v[12:15], v[12:13], off
	global_load_dwordx2 v[20:21], v[4:5], off
	v_add_co_ci_u32_e64 v19, null, s13, v19, vcc_lo
	v_cmp_ge_i32_e32 vcc_lo, v7, v11
	s_or_b32 s6, vcc_lo, s6
	s_waitcnt vmcnt(2)
	v_subrev_nc_u32_e32 v4, s18, v8
	v_mul_lo_u32 v16, v4, 10
	v_add_nc_u32_e32 v5, 2, v16
	v_lshlrev_b64 v[22:23], 2, v[16:17]
	v_lshlrev_b64 v[24:25], 2, v[5:6]
	v_add_nc_u32_e32 v5, -12, v3
	v_add_co_u32 v22, s1, s14, v22
	v_add_co_ci_u32_e64 v23, null, s15, v23, s1
	v_lshlrev_b64 v[26:27], 2, v[5:6]
	v_add_nc_u32_e32 v5, -10, v3
	v_add_co_u32 v24, s1, s14, v24
	global_load_dwordx2 v[22:23], v[22:23], off
	v_add_co_ci_u32_e64 v25, null, s15, v25, s1
	v_lshlrev_b64 v[28:29], 2, v[5:6]
	v_add_nc_u32_e32 v5, 4, v16
	v_add_co_u32 v26, s1, s12, v26
	v_add_co_ci_u32_e64 v27, null, s13, v27, s1
	v_lshlrev_b64 v[30:31], 2, v[5:6]
	v_add_nc_u32_e32 v5, -8, v3
	global_load_dwordx2 v[24:25], v[24:25], off
	v_add_co_u32 v28, s1, s12, v28
	v_add_co_ci_u32_e64 v29, null, s13, v29, s1
	v_lshlrev_b64 v[32:33], 2, v[5:6]
	v_add_nc_u32_e32 v5, -6, v3
	v_add_co_u32 v30, s1, s14, v30
	s_clause 0x1
	global_load_dwordx2 v[26:27], v[26:27], off
	global_load_dwordx2 v[28:29], v[28:29], off
	v_lshlrev_b64 v[34:35], 2, v[5:6]
	v_add_nc_u32_e32 v5, 6, v16
	v_add_co_ci_u32_e64 v31, null, s15, v31, s1
	v_add_co_u32 v32, s1, s12, v32
	v_lshlrev_b64 v[36:37], 2, v[5:6]
	v_add_nc_u32_e32 v5, -4, v3
	global_load_dwordx2 v[30:31], v[30:31], off
	v_add_co_ci_u32_e64 v33, null, s13, v33, s1
	v_add_co_u32 v34, s1, s12, v34
	v_lshlrev_b64 v[38:39], 2, v[5:6]
	v_add_nc_u32_e32 v5, -2, v3
	v_add_co_ci_u32_e64 v35, null, s13, v35, s1
	v_add_co_u32 v36, s1, s14, v36
	v_lshlrev_b64 v[40:41], 2, v[5:6]
	v_add_nc_u32_e32 v5, 8, v16
	s_clause 0x1
	global_load_dwordx2 v[32:33], v[32:33], off
	global_load_dwordx2 v[34:35], v[34:35], off
	v_add_co_ci_u32_e64 v37, null, s15, v37, s1
	v_add_co_u32 v16, s1, s12, v38
	v_lshlrev_b64 v[4:5], 2, v[5:6]
	v_add_co_ci_u32_e64 v17, null, s13, v39, s1
	global_load_dwordx2 v[36:37], v[36:37], off
	v_add_co_u32 v38, s1, s12, v40
	global_load_dwordx2 v[16:17], v[16:17], off
	v_add_co_ci_u32_e64 v39, null, s13, v41, s1
	v_add_co_u32 v4, s1, s14, v4
	v_add_co_ci_u32_e64 v5, null, s15, v5, s1
	global_load_dwordx2 v[38:39], v[38:39], off
	global_load_dwordx2 v[4:5], v[4:5], off
	global_load_dwordx2 v[18:19], v[18:19], off
	v_add_nc_u32_e32 v3, 0x280, v3
	s_waitcnt vmcnt(11)
	v_fmac_f32_e32 v9, v12, v22
	v_fmac_f32_e32 v10, v13, v22
	;; [unrolled: 1-line block ×4, first 2 shown]
	s_waitcnt vmcnt(10)
	v_fmac_f32_e32 v9, v20, v24
	v_fmac_f32_e32 v10, v21, v24
	s_waitcnt vmcnt(9)
	v_fmac_f32_e32 v9, v26, v25
	v_fmac_f32_e32 v10, v27, v25
	;; [unrolled: 3-line block ×8, first 2 shown]
	s_andn2_b32 exec_lo, exec_lo, s6
	s_cbranch_execnz .LBB43_9
; %bb.10:
	s_or_b32 exec_lo, exec_lo, s6
.LBB43_11:
	s_or_b32 exec_lo, exec_lo, s3
	s_cbranch_execz .LBB43_13
	s_branch .LBB43_18
.LBB43_12:
                                        ; implicit-def: $vgpr9
                                        ; implicit-def: $vgpr10
.LBB43_13:
	v_mov_b32_e32 v9, 0
	v_mov_b32_e32 v10, 0
	s_and_saveexec_b32 s1, s0
	s_cbranch_execz .LBB43_17
; %bb.14:
	v_mad_u64_u32 v[4:5], null, v2, 20, 19
	v_mov_b32_e32 v7, 0
	v_mov_b32_e32 v9, 0
	;; [unrolled: 1-line block ×3, first 2 shown]
	s_mov_b32 s0, 0
.LBB43_15:                              ; =>This Inner Loop Header: Depth=1
	v_ashrrev_i32_e32 v3, 31, v2
	v_add_nc_u32_e32 v12, -9, v4
	v_mov_b32_e32 v13, v7
	v_mov_b32_e32 v17, v7
	v_lshlrev_b64 v[5:6], 2, v[2:3]
	v_add_nc_u32_e32 v2, 32, v2
	v_lshlrev_b64 v[12:13], 2, v[12:13]
	v_add_co_u32 v5, vcc_lo, s10, v5
	v_add_co_ci_u32_e64 v6, null, s11, v6, vcc_lo
	global_load_dword v3, v[5:6], off
	v_subrev_nc_u32_e32 v6, 19, v4
	v_mov_b32_e32 v5, v7
	v_lshlrev_b64 v[14:15], 2, v[6:7]
	v_add_nc_u32_e32 v6, -8, v4
	v_lshlrev_b64 v[18:19], 2, v[4:5]
	v_lshlrev_b64 v[5:6], 2, v[6:7]
	v_add_co_u32 v14, vcc_lo, s12, v14
	v_add_co_ci_u32_e64 v15, null, s13, v15, vcc_lo
	v_add_co_u32 v20, vcc_lo, s12, v12
	v_add_co_ci_u32_e64 v21, null, s13, v13, vcc_lo
	;; [unrolled: 2-line block ×4, first 2 shown]
	s_clause 0x2
	global_load_dwordx4 v[12:15], v[14:15], off
	global_load_dword v8, v[20:21], off
	global_load_dword v34, v[5:6], off
	s_waitcnt vmcnt(3)
	v_subrev_nc_u32_e32 v3, s18, v3
	v_mul_lo_u32 v16, v3, 10
	v_add_nc_u32_e32 v6, 2, v16
	v_lshlrev_b64 v[20:21], 2, v[16:17]
	v_lshlrev_b64 v[22:23], 2, v[6:7]
	v_add_nc_u32_e32 v6, -7, v4
	v_add_co_u32 v20, vcc_lo, s14, v20
	v_add_co_ci_u32_e64 v21, null, s15, v21, vcc_lo
	v_lshlrev_b64 v[24:25], 2, v[6:7]
	v_add_nc_u32_e32 v6, -6, v4
	v_add_co_u32 v22, vcc_lo, s14, v22
	v_add_co_ci_u32_e64 v23, null, s15, v23, vcc_lo
	;; [unrolled: 4-line block ×3, first 2 shown]
	v_add_co_u32 v26, vcc_lo, s12, v26
	v_lshlrev_b64 v[28:29], 2, v[6:7]
	v_add_nc_u32_e32 v6, 4, v16
	v_add_co_ci_u32_e64 v27, null, s13, v27, vcc_lo
	global_load_dword v3, v[24:25], off
	s_clause 0x1
	global_load_dwordx2 v[20:21], v[20:21], off
	global_load_dwordx2 v[22:23], v[22:23], off
	global_load_dword v35, v[26:27], off
	v_lshlrev_b64 v[24:25], 2, v[6:7]
	v_add_nc_u32_e32 v6, -5, v4
	v_add_co_u32 v26, vcc_lo, s12, v28
	v_add_co_ci_u32_e64 v27, null, s13, v29, vcc_lo
	v_lshlrev_b64 v[28:29], 2, v[6:7]
	v_add_co_u32 v24, vcc_lo, s14, v24
	v_add_co_ci_u32_e64 v25, null, s15, v25, vcc_lo
	v_add_nc_u32_e32 v6, -14, v4
	v_add_co_u32 v28, vcc_lo, s12, v28
	v_add_co_ci_u32_e64 v29, null, s13, v29, vcc_lo
	global_load_dword v36, v[26:27], off
	global_load_dwordx2 v[24:25], v[24:25], off
	global_load_dword v37, v[28:29], off
	v_lshlrev_b64 v[26:27], 2, v[6:7]
	v_add_nc_u32_e32 v6, -4, v4
	v_lshlrev_b64 v[30:31], 2, v[6:7]
	v_add_nc_u32_e32 v6, -13, v4
	v_add_co_u32 v26, vcc_lo, s12, v26
	v_add_co_ci_u32_e64 v27, null, s13, v27, vcc_lo
	v_lshlrev_b64 v[28:29], 2, v[6:7]
	v_add_nc_u32_e32 v6, 6, v16
	global_load_dword v38, v[26:27], off
	v_add_co_u32 v26, vcc_lo, s12, v30
	v_add_co_ci_u32_e64 v27, null, s13, v31, vcc_lo
	v_add_co_u32 v28, vcc_lo, s12, v28
	v_lshlrev_b64 v[30:31], 2, v[6:7]
	v_add_nc_u32_e32 v6, -3, v4
	v_add_co_ci_u32_e64 v29, null, s13, v29, vcc_lo
	s_clause 0x1
	global_load_dword v39, v[26:27], off
	global_load_dword v40, v[28:29], off
	v_lshlrev_b64 v[26:27], 2, v[6:7]
	v_add_nc_u32_e32 v6, -12, v4
	v_add_co_u32 v28, vcc_lo, s14, v30
	v_add_co_ci_u32_e64 v29, null, s15, v31, vcc_lo
	v_lshlrev_b64 v[30:31], 2, v[6:7]
	v_add_nc_u32_e32 v6, -2, v4
	v_add_co_u32 v26, vcc_lo, s12, v26
	v_add_co_ci_u32_e64 v27, null, s13, v27, vcc_lo
	v_lshlrev_b64 v[32:33], 2, v[6:7]
	v_add_nc_u32_e32 v6, -11, v4
	global_load_dwordx2 v[28:29], v[28:29], off
	global_load_dword v41, v[26:27], off
	v_add_co_u32 v26, vcc_lo, s12, v30
	v_add_co_ci_u32_e64 v27, null, s13, v31, vcc_lo
	v_lshlrev_b64 v[30:31], 2, v[6:7]
	v_add_nc_u32_e32 v6, 8, v16
	v_add_co_u32 v16, vcc_lo, s12, v32
	v_add_co_ci_u32_e64 v17, null, s13, v33, vcc_lo
	global_load_dword v32, v[26:27], off
	v_lshlrev_b64 v[26:27], 2, v[6:7]
	v_add_nc_u32_e32 v6, -1, v4
	global_load_dword v33, v[16:17], off
	v_add_co_u32 v16, vcc_lo, s12, v30
	v_add_co_ci_u32_e64 v17, null, s13, v31, vcc_lo
	v_lshlrev_b64 v[30:31], 2, v[6:7]
	v_add_nc_u32_e32 v6, -10, v4
	v_add_co_u32 v26, vcc_lo, s14, v26
	v_add_co_ci_u32_e64 v27, null, s15, v27, vcc_lo
	v_lshlrev_b64 v[5:6], 2, v[6:7]
	global_load_dword v42, v[16:17], off
	v_add_nc_u32_e32 v4, 0x280, v4
	global_load_dwordx2 v[16:17], v[26:27], off
	v_add_co_u32 v26, vcc_lo, s12, v30
	v_add_co_ci_u32_e64 v27, null, s13, v31, vcc_lo
	v_add_co_u32 v5, vcc_lo, s12, v5
	v_add_co_ci_u32_e64 v6, null, s13, v6, vcc_lo
	s_clause 0x2
	global_load_dword v26, v[26:27], off
	global_load_dword v5, v[5:6], off
	;; [unrolled: 1-line block ×3, first 2 shown]
	v_cmp_ge_i32_e32 vcc_lo, v2, v11
	s_or_b32 s0, vcc_lo, s0
	s_waitcnt vmcnt(17)
	v_fmac_f32_e32 v9, v12, v20
	v_fmac_f32_e32 v10, v8, v20
	;; [unrolled: 1-line block ×4, first 2 shown]
	s_waitcnt vmcnt(16)
	v_fmac_f32_e32 v9, v14, v22
	v_fmac_f32_e32 v10, v3, v22
	;; [unrolled: 1-line block ×3, first 2 shown]
	s_waitcnt vmcnt(15)
	v_fmac_f32_e32 v10, v35, v23
	s_waitcnt vmcnt(13)
	v_fmac_f32_e32 v9, v36, v24
	;; [unrolled: 2-line block ×13, first 2 shown]
	s_andn2_b32 exec_lo, exec_lo, s0
	s_cbranch_execnz .LBB43_15
; %bb.16:
	s_or_b32 exec_lo, exec_lo, s0
.LBB43_17:
	s_or_b32 exec_lo, exec_lo, s1
.LBB43_18:
	v_mbcnt_lo_u32_b32 v2, -1, 0
	s_mov_b32 s3, -1
	v_xor_b32_e32 v3, 16, v2
	v_xor_b32_e32 v5, 8, v2
	;; [unrolled: 1-line block ×3, first 2 shown]
	v_cmp_gt_i32_e32 vcc_lo, 32, v3
	v_cndmask_b32_e32 v3, v2, v3, vcc_lo
	v_cmp_gt_i32_e32 vcc_lo, 32, v5
	v_lshlrev_b32_e32 v3, 2, v3
	v_cndmask_b32_e32 v5, v2, v5, vcc_lo
	v_cmp_gt_i32_e32 vcc_lo, 32, v7
	ds_bpermute_b32 v4, v3, v9
	ds_bpermute_b32 v3, v3, v10
	v_lshlrev_b32_e32 v5, 2, v5
	v_cndmask_b32_e32 v7, v2, v7, vcc_lo
	v_lshlrev_b32_e32 v7, 2, v7
	s_waitcnt lgkmcnt(1)
	v_add_f32_e32 v4, v9, v4
	s_waitcnt lgkmcnt(0)
	v_add_f32_e32 v3, v10, v3
	ds_bpermute_b32 v6, v5, v4
	ds_bpermute_b32 v5, v5, v3
	s_waitcnt lgkmcnt(1)
	v_add_f32_e32 v4, v4, v6
	s_waitcnt lgkmcnt(0)
	v_add_f32_e32 v3, v3, v5
	ds_bpermute_b32 v5, v7, v4
	ds_bpermute_b32 v6, v7, v3
	v_xor_b32_e32 v7, 2, v2
	v_cmp_gt_i32_e32 vcc_lo, 32, v7
	v_cndmask_b32_e32 v7, v2, v7, vcc_lo
	v_lshlrev_b32_e32 v7, 2, v7
	s_waitcnt lgkmcnt(1)
	v_add_f32_e32 v4, v4, v5
	s_waitcnt lgkmcnt(0)
	v_add_f32_e32 v3, v3, v6
	ds_bpermute_b32 v5, v7, v4
	ds_bpermute_b32 v6, v7, v3
	v_xor_b32_e32 v7, 1, v2
	v_cmp_gt_i32_e32 vcc_lo, 32, v7
	v_cndmask_b32_e32 v2, v2, v7, vcc_lo
	v_cmp_eq_u32_e32 vcc_lo, 31, v0
	v_lshlrev_b32_e32 v7, 2, v2
	s_waitcnt lgkmcnt(1)
	v_add_f32_e32 v2, v4, v5
	s_waitcnt lgkmcnt(0)
	v_add_f32_e32 v3, v3, v6
	ds_bpermute_b32 v4, v7, v2
	ds_bpermute_b32 v5, v7, v3
	s_and_b32 exec_lo, exec_lo, vcc_lo
	s_cbranch_execz .LBB43_23
; %bb.19:
	s_load_dwordx2 s[0:1], s[4:5], 0x38
	s_waitcnt lgkmcnt(0)
	v_add_f32_e32 v0, v2, v4
	v_add_f32_e32 v3, v3, v5
	v_cmp_eq_f32_e64 s4, s2, 0
	v_mul_f32_e32 v2, s16, v0
	v_mul_f32_e32 v3, s16, v3
	v_lshlrev_b32_e32 v0, 1, v1
	s_and_b32 vcc_lo, exec_lo, s4
	s_cbranch_vccz .LBB43_21
; %bb.20:
	v_ashrrev_i32_e32 v1, 31, v0
	s_mov_b32 s3, 0
	v_lshlrev_b64 v[4:5], 2, v[0:1]
	v_add_co_u32 v4, vcc_lo, s0, v4
	v_add_co_ci_u32_e64 v5, null, s1, v5, vcc_lo
	global_store_dwordx2 v[4:5], v[2:3], off
.LBB43_21:
	s_andn2_b32 vcc_lo, exec_lo, s3
	s_cbranch_vccnz .LBB43_23
; %bb.22:
	v_ashrrev_i32_e32 v1, 31, v0
	v_lshlrev_b64 v[0:1], 2, v[0:1]
	v_add_co_u32 v0, vcc_lo, s0, v0
	v_add_co_ci_u32_e64 v1, null, s1, v1, vcc_lo
	global_load_dwordx2 v[4:5], v[0:1], off
	s_waitcnt vmcnt(0)
	v_fmac_f32_e32 v2, s2, v4
	v_fmac_f32_e32 v3, s2, v5
	global_store_dwordx2 v[0:1], v[2:3], off
.LBB43_23:
	s_endpgm
	.section	.rodata,"a",@progbits
	.p2align	6, 0x0
	.amdhsa_kernel _ZN9rocsparseL19gebsrmvn_2xn_kernelILj128ELj10ELj32EfEEvi20rocsparse_direction_NS_24const_host_device_scalarIT2_EEPKiS6_PKS3_S8_S4_PS3_21rocsparse_index_base_b
		.amdhsa_group_segment_fixed_size 0
		.amdhsa_private_segment_fixed_size 0
		.amdhsa_kernarg_size 72
		.amdhsa_user_sgpr_count 6
		.amdhsa_user_sgpr_private_segment_buffer 1
		.amdhsa_user_sgpr_dispatch_ptr 0
		.amdhsa_user_sgpr_queue_ptr 0
		.amdhsa_user_sgpr_kernarg_segment_ptr 1
		.amdhsa_user_sgpr_dispatch_id 0
		.amdhsa_user_sgpr_flat_scratch_init 0
		.amdhsa_user_sgpr_private_segment_size 0
		.amdhsa_wavefront_size32 1
		.amdhsa_uses_dynamic_stack 0
		.amdhsa_system_sgpr_private_segment_wavefront_offset 0
		.amdhsa_system_sgpr_workgroup_id_x 1
		.amdhsa_system_sgpr_workgroup_id_y 0
		.amdhsa_system_sgpr_workgroup_id_z 0
		.amdhsa_system_sgpr_workgroup_info 0
		.amdhsa_system_vgpr_workitem_id 0
		.amdhsa_next_free_vgpr 43
		.amdhsa_next_free_sgpr 20
		.amdhsa_reserve_vcc 1
		.amdhsa_reserve_flat_scratch 0
		.amdhsa_float_round_mode_32 0
		.amdhsa_float_round_mode_16_64 0
		.amdhsa_float_denorm_mode_32 3
		.amdhsa_float_denorm_mode_16_64 3
		.amdhsa_dx10_clamp 1
		.amdhsa_ieee_mode 1
		.amdhsa_fp16_overflow 0
		.amdhsa_workgroup_processor_mode 1
		.amdhsa_memory_ordered 1
		.amdhsa_forward_progress 1
		.amdhsa_shared_vgpr_count 0
		.amdhsa_exception_fp_ieee_invalid_op 0
		.amdhsa_exception_fp_denorm_src 0
		.amdhsa_exception_fp_ieee_div_zero 0
		.amdhsa_exception_fp_ieee_overflow 0
		.amdhsa_exception_fp_ieee_underflow 0
		.amdhsa_exception_fp_ieee_inexact 0
		.amdhsa_exception_int_div_zero 0
	.end_amdhsa_kernel
	.section	.text._ZN9rocsparseL19gebsrmvn_2xn_kernelILj128ELj10ELj32EfEEvi20rocsparse_direction_NS_24const_host_device_scalarIT2_EEPKiS6_PKS3_S8_S4_PS3_21rocsparse_index_base_b,"axG",@progbits,_ZN9rocsparseL19gebsrmvn_2xn_kernelILj128ELj10ELj32EfEEvi20rocsparse_direction_NS_24const_host_device_scalarIT2_EEPKiS6_PKS3_S8_S4_PS3_21rocsparse_index_base_b,comdat
.Lfunc_end43:
	.size	_ZN9rocsparseL19gebsrmvn_2xn_kernelILj128ELj10ELj32EfEEvi20rocsparse_direction_NS_24const_host_device_scalarIT2_EEPKiS6_PKS3_S8_S4_PS3_21rocsparse_index_base_b, .Lfunc_end43-_ZN9rocsparseL19gebsrmvn_2xn_kernelILj128ELj10ELj32EfEEvi20rocsparse_direction_NS_24const_host_device_scalarIT2_EEPKiS6_PKS3_S8_S4_PS3_21rocsparse_index_base_b
                                        ; -- End function
	.set _ZN9rocsparseL19gebsrmvn_2xn_kernelILj128ELj10ELj32EfEEvi20rocsparse_direction_NS_24const_host_device_scalarIT2_EEPKiS6_PKS3_S8_S4_PS3_21rocsparse_index_base_b.num_vgpr, 43
	.set _ZN9rocsparseL19gebsrmvn_2xn_kernelILj128ELj10ELj32EfEEvi20rocsparse_direction_NS_24const_host_device_scalarIT2_EEPKiS6_PKS3_S8_S4_PS3_21rocsparse_index_base_b.num_agpr, 0
	.set _ZN9rocsparseL19gebsrmvn_2xn_kernelILj128ELj10ELj32EfEEvi20rocsparse_direction_NS_24const_host_device_scalarIT2_EEPKiS6_PKS3_S8_S4_PS3_21rocsparse_index_base_b.numbered_sgpr, 20
	.set _ZN9rocsparseL19gebsrmvn_2xn_kernelILj128ELj10ELj32EfEEvi20rocsparse_direction_NS_24const_host_device_scalarIT2_EEPKiS6_PKS3_S8_S4_PS3_21rocsparse_index_base_b.num_named_barrier, 0
	.set _ZN9rocsparseL19gebsrmvn_2xn_kernelILj128ELj10ELj32EfEEvi20rocsparse_direction_NS_24const_host_device_scalarIT2_EEPKiS6_PKS3_S8_S4_PS3_21rocsparse_index_base_b.private_seg_size, 0
	.set _ZN9rocsparseL19gebsrmvn_2xn_kernelILj128ELj10ELj32EfEEvi20rocsparse_direction_NS_24const_host_device_scalarIT2_EEPKiS6_PKS3_S8_S4_PS3_21rocsparse_index_base_b.uses_vcc, 1
	.set _ZN9rocsparseL19gebsrmvn_2xn_kernelILj128ELj10ELj32EfEEvi20rocsparse_direction_NS_24const_host_device_scalarIT2_EEPKiS6_PKS3_S8_S4_PS3_21rocsparse_index_base_b.uses_flat_scratch, 0
	.set _ZN9rocsparseL19gebsrmvn_2xn_kernelILj128ELj10ELj32EfEEvi20rocsparse_direction_NS_24const_host_device_scalarIT2_EEPKiS6_PKS3_S8_S4_PS3_21rocsparse_index_base_b.has_dyn_sized_stack, 0
	.set _ZN9rocsparseL19gebsrmvn_2xn_kernelILj128ELj10ELj32EfEEvi20rocsparse_direction_NS_24const_host_device_scalarIT2_EEPKiS6_PKS3_S8_S4_PS3_21rocsparse_index_base_b.has_recursion, 0
	.set _ZN9rocsparseL19gebsrmvn_2xn_kernelILj128ELj10ELj32EfEEvi20rocsparse_direction_NS_24const_host_device_scalarIT2_EEPKiS6_PKS3_S8_S4_PS3_21rocsparse_index_base_b.has_indirect_call, 0
	.section	.AMDGPU.csdata,"",@progbits
; Kernel info:
; codeLenInByte = 2484
; TotalNumSgprs: 22
; NumVgprs: 43
; ScratchSize: 0
; MemoryBound: 0
; FloatMode: 240
; IeeeMode: 1
; LDSByteSize: 0 bytes/workgroup (compile time only)
; SGPRBlocks: 0
; VGPRBlocks: 5
; NumSGPRsForWavesPerEU: 22
; NumVGPRsForWavesPerEU: 43
; Occupancy: 16
; WaveLimiterHint : 1
; COMPUTE_PGM_RSRC2:SCRATCH_EN: 0
; COMPUTE_PGM_RSRC2:USER_SGPR: 6
; COMPUTE_PGM_RSRC2:TRAP_HANDLER: 0
; COMPUTE_PGM_RSRC2:TGID_X_EN: 1
; COMPUTE_PGM_RSRC2:TGID_Y_EN: 0
; COMPUTE_PGM_RSRC2:TGID_Z_EN: 0
; COMPUTE_PGM_RSRC2:TIDIG_COMP_CNT: 0
	.section	.text._ZN9rocsparseL19gebsrmvn_2xn_kernelILj128ELj10ELj64EfEEvi20rocsparse_direction_NS_24const_host_device_scalarIT2_EEPKiS6_PKS3_S8_S4_PS3_21rocsparse_index_base_b,"axG",@progbits,_ZN9rocsparseL19gebsrmvn_2xn_kernelILj128ELj10ELj64EfEEvi20rocsparse_direction_NS_24const_host_device_scalarIT2_EEPKiS6_PKS3_S8_S4_PS3_21rocsparse_index_base_b,comdat
	.globl	_ZN9rocsparseL19gebsrmvn_2xn_kernelILj128ELj10ELj64EfEEvi20rocsparse_direction_NS_24const_host_device_scalarIT2_EEPKiS6_PKS3_S8_S4_PS3_21rocsparse_index_base_b ; -- Begin function _ZN9rocsparseL19gebsrmvn_2xn_kernelILj128ELj10ELj64EfEEvi20rocsparse_direction_NS_24const_host_device_scalarIT2_EEPKiS6_PKS3_S8_S4_PS3_21rocsparse_index_base_b
	.p2align	8
	.type	_ZN9rocsparseL19gebsrmvn_2xn_kernelILj128ELj10ELj64EfEEvi20rocsparse_direction_NS_24const_host_device_scalarIT2_EEPKiS6_PKS3_S8_S4_PS3_21rocsparse_index_base_b,@function
_ZN9rocsparseL19gebsrmvn_2xn_kernelILj128ELj10ELj64EfEEvi20rocsparse_direction_NS_24const_host_device_scalarIT2_EEPKiS6_PKS3_S8_S4_PS3_21rocsparse_index_base_b: ; @_ZN9rocsparseL19gebsrmvn_2xn_kernelILj128ELj10ELj64EfEEvi20rocsparse_direction_NS_24const_host_device_scalarIT2_EEPKiS6_PKS3_S8_S4_PS3_21rocsparse_index_base_b
; %bb.0:
	s_clause 0x2
	s_load_dwordx2 s[18:19], s[4:5], 0x40
	s_load_dwordx2 s[16:17], s[4:5], 0x8
	;; [unrolled: 1-line block ×3, first 2 shown]
	s_waitcnt lgkmcnt(0)
	s_bitcmp1_b32 s19, 0
	s_cselect_b32 s0, -1, 0
	s_and_b32 vcc_lo, exec_lo, s0
	s_xor_b32 s0, s0, -1
	s_cbranch_vccnz .LBB44_2
; %bb.1:
	s_load_dword s16, s[16:17], 0x0
.LBB44_2:
	s_andn2_b32 vcc_lo, exec_lo, s0
	s_cbranch_vccnz .LBB44_4
; %bb.3:
	s_load_dword s2, s[2:3], 0x0
.LBB44_4:
	s_waitcnt lgkmcnt(0)
	v_cmp_eq_f32_e64 s0, s16, 0
	v_cmp_eq_f32_e64 s1, s2, 1.0
	s_and_b32 s0, s0, s1
	s_and_b32 vcc_lo, exec_lo, s0
	s_cbranch_vccnz .LBB44_23
; %bb.5:
	s_load_dwordx2 s[0:1], s[4:5], 0x0
	v_lshrrev_b32_e32 v1, 6, v0
	v_lshl_or_b32 v1, s6, 1, v1
	s_waitcnt lgkmcnt(0)
	v_cmp_gt_i32_e32 vcc_lo, s0, v1
	s_and_saveexec_b32 s0, vcc_lo
	s_cbranch_execz .LBB44_23
; %bb.6:
	s_load_dwordx8 s[8:15], s[4:5], 0x10
	v_ashrrev_i32_e32 v2, 31, v1
	v_and_b32_e32 v0, 63, v0
	s_cmp_lg_u32 s1, 0
	v_lshlrev_b64 v[2:3], 2, v[1:2]
	s_waitcnt lgkmcnt(0)
	v_add_co_u32 v2, vcc_lo, s8, v2
	v_add_co_ci_u32_e64 v3, null, s9, v3, vcc_lo
	global_load_dwordx2 v[2:3], v[2:3], off
	s_waitcnt vmcnt(0)
	v_subrev_nc_u32_e32 v2, s18, v2
	v_subrev_nc_u32_e32 v11, s18, v3
	v_add_nc_u32_e32 v2, v2, v0
	v_cmp_lt_i32_e64 s0, v2, v11
	s_cbranch_scc0 .LBB44_12
; %bb.7:
	v_mov_b32_e32 v9, 0
	v_mov_b32_e32 v10, 0
	s_and_saveexec_b32 s3, s0
	s_cbranch_execz .LBB44_11
; %bb.8:
	v_mad_u64_u32 v[3:4], null, v2, 20, 18
	v_mov_b32_e32 v6, 0
	v_mov_b32_e32 v7, v2
	;; [unrolled: 1-line block ×4, first 2 shown]
	s_mov_b32 s6, 0
.LBB44_9:                               ; =>This Inner Loop Header: Depth=1
	v_ashrrev_i32_e32 v8, 31, v7
	v_mov_b32_e32 v17, v6
	v_lshlrev_b64 v[4:5], 2, v[7:8]
	v_add_nc_u32_e32 v7, 64, v7
	v_add_co_u32 v4, vcc_lo, s10, v4
	v_add_co_ci_u32_e64 v5, null, s11, v5, vcc_lo
	global_load_dword v8, v[4:5], off
	v_subrev_nc_u32_e32 v5, 18, v3
	v_mov_b32_e32 v4, v6
	v_lshlrev_b64 v[12:13], 2, v[5:6]
	v_add_nc_u32_e32 v5, -14, v3
	v_lshlrev_b64 v[18:19], 2, v[3:4]
	v_lshlrev_b64 v[4:5], 2, v[5:6]
	v_add_co_u32 v12, vcc_lo, s12, v12
	v_add_co_ci_u32_e64 v13, null, s13, v13, vcc_lo
	v_add_co_u32 v18, vcc_lo, s12, v18
	v_add_co_u32 v4, s1, s12, v4
	v_add_co_ci_u32_e64 v5, null, s13, v5, s1
	s_clause 0x1
	global_load_dwordx4 v[12:15], v[12:13], off
	global_load_dwordx2 v[20:21], v[4:5], off
	v_add_co_ci_u32_e64 v19, null, s13, v19, vcc_lo
	v_cmp_ge_i32_e32 vcc_lo, v7, v11
	s_or_b32 s6, vcc_lo, s6
	s_waitcnt vmcnt(2)
	v_subrev_nc_u32_e32 v4, s18, v8
	v_mul_lo_u32 v16, v4, 10
	v_add_nc_u32_e32 v5, 2, v16
	v_lshlrev_b64 v[22:23], 2, v[16:17]
	v_lshlrev_b64 v[24:25], 2, v[5:6]
	v_add_nc_u32_e32 v5, -12, v3
	v_add_co_u32 v22, s1, s14, v22
	v_add_co_ci_u32_e64 v23, null, s15, v23, s1
	v_lshlrev_b64 v[26:27], 2, v[5:6]
	v_add_nc_u32_e32 v5, -10, v3
	v_add_co_u32 v24, s1, s14, v24
	global_load_dwordx2 v[22:23], v[22:23], off
	v_add_co_ci_u32_e64 v25, null, s15, v25, s1
	v_lshlrev_b64 v[28:29], 2, v[5:6]
	v_add_nc_u32_e32 v5, 4, v16
	v_add_co_u32 v26, s1, s12, v26
	v_add_co_ci_u32_e64 v27, null, s13, v27, s1
	v_lshlrev_b64 v[30:31], 2, v[5:6]
	v_add_nc_u32_e32 v5, -8, v3
	global_load_dwordx2 v[24:25], v[24:25], off
	v_add_co_u32 v28, s1, s12, v28
	v_add_co_ci_u32_e64 v29, null, s13, v29, s1
	v_lshlrev_b64 v[32:33], 2, v[5:6]
	v_add_nc_u32_e32 v5, -6, v3
	v_add_co_u32 v30, s1, s14, v30
	s_clause 0x1
	global_load_dwordx2 v[26:27], v[26:27], off
	global_load_dwordx2 v[28:29], v[28:29], off
	v_lshlrev_b64 v[34:35], 2, v[5:6]
	v_add_nc_u32_e32 v5, 6, v16
	v_add_co_ci_u32_e64 v31, null, s15, v31, s1
	v_add_co_u32 v32, s1, s12, v32
	v_lshlrev_b64 v[36:37], 2, v[5:6]
	v_add_nc_u32_e32 v5, -4, v3
	global_load_dwordx2 v[30:31], v[30:31], off
	v_add_co_ci_u32_e64 v33, null, s13, v33, s1
	v_add_co_u32 v34, s1, s12, v34
	v_lshlrev_b64 v[38:39], 2, v[5:6]
	v_add_nc_u32_e32 v5, -2, v3
	v_add_co_ci_u32_e64 v35, null, s13, v35, s1
	v_add_co_u32 v36, s1, s14, v36
	v_lshlrev_b64 v[40:41], 2, v[5:6]
	v_add_nc_u32_e32 v5, 8, v16
	s_clause 0x1
	global_load_dwordx2 v[32:33], v[32:33], off
	global_load_dwordx2 v[34:35], v[34:35], off
	v_add_co_ci_u32_e64 v37, null, s15, v37, s1
	v_add_co_u32 v16, s1, s12, v38
	v_lshlrev_b64 v[4:5], 2, v[5:6]
	v_add_co_ci_u32_e64 v17, null, s13, v39, s1
	global_load_dwordx2 v[36:37], v[36:37], off
	v_add_co_u32 v38, s1, s12, v40
	global_load_dwordx2 v[16:17], v[16:17], off
	v_add_co_ci_u32_e64 v39, null, s13, v41, s1
	v_add_co_u32 v4, s1, s14, v4
	v_add_co_ci_u32_e64 v5, null, s15, v5, s1
	global_load_dwordx2 v[38:39], v[38:39], off
	global_load_dwordx2 v[4:5], v[4:5], off
	;; [unrolled: 1-line block ×3, first 2 shown]
	v_add_nc_u32_e32 v3, 0x500, v3
	s_waitcnt vmcnt(11)
	v_fmac_f32_e32 v9, v12, v22
	v_fmac_f32_e32 v10, v13, v22
	;; [unrolled: 1-line block ×4, first 2 shown]
	s_waitcnt vmcnt(10)
	v_fmac_f32_e32 v9, v20, v24
	v_fmac_f32_e32 v10, v21, v24
	s_waitcnt vmcnt(9)
	v_fmac_f32_e32 v9, v26, v25
	v_fmac_f32_e32 v10, v27, v25
	s_waitcnt vmcnt(7)
	v_fmac_f32_e32 v9, v28, v30
	v_fmac_f32_e32 v10, v29, v30
	s_waitcnt vmcnt(6)
	v_fmac_f32_e32 v9, v32, v31
	v_fmac_f32_e32 v10, v33, v31
	s_waitcnt vmcnt(4)
	v_fmac_f32_e32 v9, v34, v36
	v_fmac_f32_e32 v10, v35, v36
	s_waitcnt vmcnt(3)
	v_fmac_f32_e32 v9, v16, v37
	v_fmac_f32_e32 v10, v17, v37
	s_waitcnt vmcnt(1)
	v_fmac_f32_e32 v9, v38, v4
	v_fmac_f32_e32 v10, v39, v4
	s_waitcnt vmcnt(0)
	v_fmac_f32_e32 v9, v18, v5
	v_fmac_f32_e32 v10, v19, v5
	s_andn2_b32 exec_lo, exec_lo, s6
	s_cbranch_execnz .LBB44_9
; %bb.10:
	s_or_b32 exec_lo, exec_lo, s6
.LBB44_11:
	s_or_b32 exec_lo, exec_lo, s3
	s_cbranch_execz .LBB44_13
	s_branch .LBB44_18
.LBB44_12:
                                        ; implicit-def: $vgpr9
                                        ; implicit-def: $vgpr10
.LBB44_13:
	v_mov_b32_e32 v9, 0
	v_mov_b32_e32 v10, 0
	s_and_saveexec_b32 s1, s0
	s_cbranch_execz .LBB44_17
; %bb.14:
	v_mad_u64_u32 v[4:5], null, v2, 20, 19
	v_mov_b32_e32 v7, 0
	v_mov_b32_e32 v9, 0
	;; [unrolled: 1-line block ×3, first 2 shown]
	s_mov_b32 s0, 0
.LBB44_15:                              ; =>This Inner Loop Header: Depth=1
	v_ashrrev_i32_e32 v3, 31, v2
	v_add_nc_u32_e32 v12, -9, v4
	v_mov_b32_e32 v13, v7
	v_mov_b32_e32 v17, v7
	v_lshlrev_b64 v[5:6], 2, v[2:3]
	v_add_nc_u32_e32 v2, 64, v2
	v_lshlrev_b64 v[12:13], 2, v[12:13]
	v_add_co_u32 v5, vcc_lo, s10, v5
	v_add_co_ci_u32_e64 v6, null, s11, v6, vcc_lo
	global_load_dword v3, v[5:6], off
	v_subrev_nc_u32_e32 v6, 19, v4
	v_mov_b32_e32 v5, v7
	v_lshlrev_b64 v[14:15], 2, v[6:7]
	v_add_nc_u32_e32 v6, -8, v4
	v_lshlrev_b64 v[18:19], 2, v[4:5]
	v_lshlrev_b64 v[5:6], 2, v[6:7]
	v_add_co_u32 v14, vcc_lo, s12, v14
	v_add_co_ci_u32_e64 v15, null, s13, v15, vcc_lo
	v_add_co_u32 v20, vcc_lo, s12, v12
	v_add_co_ci_u32_e64 v21, null, s13, v13, vcc_lo
	;; [unrolled: 2-line block ×4, first 2 shown]
	s_clause 0x2
	global_load_dwordx4 v[12:15], v[14:15], off
	global_load_dword v8, v[20:21], off
	global_load_dword v34, v[5:6], off
	s_waitcnt vmcnt(3)
	v_subrev_nc_u32_e32 v3, s18, v3
	v_mul_lo_u32 v16, v3, 10
	v_add_nc_u32_e32 v6, 2, v16
	v_lshlrev_b64 v[20:21], 2, v[16:17]
	v_lshlrev_b64 v[22:23], 2, v[6:7]
	v_add_nc_u32_e32 v6, -7, v4
	v_add_co_u32 v20, vcc_lo, s14, v20
	v_add_co_ci_u32_e64 v21, null, s15, v21, vcc_lo
	v_lshlrev_b64 v[24:25], 2, v[6:7]
	v_add_nc_u32_e32 v6, -6, v4
	v_add_co_u32 v22, vcc_lo, s14, v22
	v_add_co_ci_u32_e64 v23, null, s15, v23, vcc_lo
	v_lshlrev_b64 v[26:27], 2, v[6:7]
	v_add_nc_u32_e32 v6, -15, v4
	v_add_co_u32 v24, vcc_lo, s12, v24
	v_add_co_ci_u32_e64 v25, null, s13, v25, vcc_lo
	v_add_co_u32 v26, vcc_lo, s12, v26
	v_lshlrev_b64 v[28:29], 2, v[6:7]
	v_add_nc_u32_e32 v6, 4, v16
	v_add_co_ci_u32_e64 v27, null, s13, v27, vcc_lo
	global_load_dword v3, v[24:25], off
	s_clause 0x1
	global_load_dwordx2 v[20:21], v[20:21], off
	global_load_dwordx2 v[22:23], v[22:23], off
	global_load_dword v35, v[26:27], off
	v_lshlrev_b64 v[24:25], 2, v[6:7]
	v_add_nc_u32_e32 v6, -5, v4
	v_add_co_u32 v26, vcc_lo, s12, v28
	v_add_co_ci_u32_e64 v27, null, s13, v29, vcc_lo
	v_lshlrev_b64 v[28:29], 2, v[6:7]
	v_add_co_u32 v24, vcc_lo, s14, v24
	v_add_co_ci_u32_e64 v25, null, s15, v25, vcc_lo
	v_add_nc_u32_e32 v6, -14, v4
	v_add_co_u32 v28, vcc_lo, s12, v28
	v_add_co_ci_u32_e64 v29, null, s13, v29, vcc_lo
	global_load_dword v36, v[26:27], off
	global_load_dwordx2 v[24:25], v[24:25], off
	global_load_dword v37, v[28:29], off
	v_lshlrev_b64 v[26:27], 2, v[6:7]
	v_add_nc_u32_e32 v6, -4, v4
	v_lshlrev_b64 v[30:31], 2, v[6:7]
	v_add_nc_u32_e32 v6, -13, v4
	v_add_co_u32 v26, vcc_lo, s12, v26
	v_add_co_ci_u32_e64 v27, null, s13, v27, vcc_lo
	v_lshlrev_b64 v[28:29], 2, v[6:7]
	v_add_nc_u32_e32 v6, 6, v16
	global_load_dword v38, v[26:27], off
	v_add_co_u32 v26, vcc_lo, s12, v30
	v_add_co_ci_u32_e64 v27, null, s13, v31, vcc_lo
	v_add_co_u32 v28, vcc_lo, s12, v28
	v_lshlrev_b64 v[30:31], 2, v[6:7]
	v_add_nc_u32_e32 v6, -3, v4
	v_add_co_ci_u32_e64 v29, null, s13, v29, vcc_lo
	s_clause 0x1
	global_load_dword v39, v[26:27], off
	global_load_dword v40, v[28:29], off
	v_lshlrev_b64 v[26:27], 2, v[6:7]
	v_add_nc_u32_e32 v6, -12, v4
	v_add_co_u32 v28, vcc_lo, s14, v30
	v_add_co_ci_u32_e64 v29, null, s15, v31, vcc_lo
	v_lshlrev_b64 v[30:31], 2, v[6:7]
	v_add_nc_u32_e32 v6, -2, v4
	v_add_co_u32 v26, vcc_lo, s12, v26
	v_add_co_ci_u32_e64 v27, null, s13, v27, vcc_lo
	v_lshlrev_b64 v[32:33], 2, v[6:7]
	v_add_nc_u32_e32 v6, -11, v4
	global_load_dwordx2 v[28:29], v[28:29], off
	global_load_dword v41, v[26:27], off
	v_add_co_u32 v26, vcc_lo, s12, v30
	v_add_co_ci_u32_e64 v27, null, s13, v31, vcc_lo
	v_lshlrev_b64 v[30:31], 2, v[6:7]
	v_add_nc_u32_e32 v6, 8, v16
	v_add_co_u32 v16, vcc_lo, s12, v32
	v_add_co_ci_u32_e64 v17, null, s13, v33, vcc_lo
	global_load_dword v32, v[26:27], off
	v_lshlrev_b64 v[26:27], 2, v[6:7]
	v_add_nc_u32_e32 v6, -1, v4
	global_load_dword v33, v[16:17], off
	v_add_co_u32 v16, vcc_lo, s12, v30
	v_add_co_ci_u32_e64 v17, null, s13, v31, vcc_lo
	v_lshlrev_b64 v[30:31], 2, v[6:7]
	v_add_nc_u32_e32 v6, -10, v4
	v_add_co_u32 v26, vcc_lo, s14, v26
	v_add_co_ci_u32_e64 v27, null, s15, v27, vcc_lo
	v_lshlrev_b64 v[5:6], 2, v[6:7]
	global_load_dword v42, v[16:17], off
	v_add_nc_u32_e32 v4, 0x500, v4
	global_load_dwordx2 v[16:17], v[26:27], off
	v_add_co_u32 v26, vcc_lo, s12, v30
	v_add_co_ci_u32_e64 v27, null, s13, v31, vcc_lo
	v_add_co_u32 v5, vcc_lo, s12, v5
	v_add_co_ci_u32_e64 v6, null, s13, v6, vcc_lo
	s_clause 0x2
	global_load_dword v26, v[26:27], off
	global_load_dword v5, v[5:6], off
	;; [unrolled: 1-line block ×3, first 2 shown]
	v_cmp_ge_i32_e32 vcc_lo, v2, v11
	s_or_b32 s0, vcc_lo, s0
	s_waitcnt vmcnt(17)
	v_fmac_f32_e32 v9, v12, v20
	v_fmac_f32_e32 v10, v8, v20
	;; [unrolled: 1-line block ×4, first 2 shown]
	s_waitcnt vmcnt(16)
	v_fmac_f32_e32 v9, v14, v22
	v_fmac_f32_e32 v10, v3, v22
	v_fmac_f32_e32 v9, v15, v23
	s_waitcnt vmcnt(15)
	v_fmac_f32_e32 v10, v35, v23
	s_waitcnt vmcnt(13)
	v_fmac_f32_e32 v9, v36, v24
	;; [unrolled: 2-line block ×13, first 2 shown]
	s_andn2_b32 exec_lo, exec_lo, s0
	s_cbranch_execnz .LBB44_15
; %bb.16:
	s_or_b32 exec_lo, exec_lo, s0
.LBB44_17:
	s_or_b32 exec_lo, exec_lo, s1
.LBB44_18:
	v_mbcnt_lo_u32_b32 v2, -1, 0
	s_mov_b32 s3, -1
	v_or_b32_e32 v3, 32, v2
	v_xor_b32_e32 v5, 16, v2
	v_xor_b32_e32 v7, 8, v2
	v_cmp_gt_i32_e32 vcc_lo, 32, v3
	v_cndmask_b32_e32 v3, v2, v3, vcc_lo
	v_cmp_gt_i32_e32 vcc_lo, 32, v5
	v_lshlrev_b32_e32 v3, 2, v3
	v_cndmask_b32_e32 v5, v2, v5, vcc_lo
	v_cmp_gt_i32_e32 vcc_lo, 32, v7
	ds_bpermute_b32 v4, v3, v9
	ds_bpermute_b32 v3, v3, v10
	v_lshlrev_b32_e32 v5, 2, v5
	v_cndmask_b32_e32 v7, v2, v7, vcc_lo
	v_lshlrev_b32_e32 v7, 2, v7
	s_waitcnt lgkmcnt(1)
	v_add_f32_e32 v4, v9, v4
	s_waitcnt lgkmcnt(0)
	v_add_f32_e32 v3, v10, v3
	ds_bpermute_b32 v6, v5, v4
	ds_bpermute_b32 v5, v5, v3
	s_waitcnt lgkmcnt(1)
	v_add_f32_e32 v4, v4, v6
	s_waitcnt lgkmcnt(0)
	v_add_f32_e32 v3, v3, v5
	ds_bpermute_b32 v5, v7, v4
	ds_bpermute_b32 v6, v7, v3
	v_xor_b32_e32 v7, 4, v2
	v_cmp_gt_i32_e32 vcc_lo, 32, v7
	v_cndmask_b32_e32 v7, v2, v7, vcc_lo
	v_lshlrev_b32_e32 v7, 2, v7
	s_waitcnt lgkmcnt(1)
	v_add_f32_e32 v4, v4, v5
	s_waitcnt lgkmcnt(0)
	v_add_f32_e32 v3, v3, v6
	ds_bpermute_b32 v5, v7, v4
	ds_bpermute_b32 v6, v7, v3
	v_xor_b32_e32 v7, 2, v2
	v_cmp_gt_i32_e32 vcc_lo, 32, v7
	v_cndmask_b32_e32 v7, v2, v7, vcc_lo
	v_lshlrev_b32_e32 v7, 2, v7
	s_waitcnt lgkmcnt(1)
	v_add_f32_e32 v4, v4, v5
	s_waitcnt lgkmcnt(0)
	v_add_f32_e32 v3, v3, v6
	ds_bpermute_b32 v5, v7, v4
	ds_bpermute_b32 v6, v7, v3
	v_xor_b32_e32 v7, 1, v2
	v_cmp_gt_i32_e32 vcc_lo, 32, v7
	v_cndmask_b32_e32 v2, v2, v7, vcc_lo
	v_cmp_eq_u32_e32 vcc_lo, 63, v0
	v_lshlrev_b32_e32 v7, 2, v2
	s_waitcnt lgkmcnt(1)
	v_add_f32_e32 v2, v4, v5
	s_waitcnt lgkmcnt(0)
	v_add_f32_e32 v3, v3, v6
	ds_bpermute_b32 v4, v7, v2
	ds_bpermute_b32 v5, v7, v3
	s_and_b32 exec_lo, exec_lo, vcc_lo
	s_cbranch_execz .LBB44_23
; %bb.19:
	s_load_dwordx2 s[0:1], s[4:5], 0x38
	s_waitcnt lgkmcnt(0)
	v_add_f32_e32 v0, v2, v4
	v_add_f32_e32 v3, v3, v5
	v_cmp_eq_f32_e64 s4, s2, 0
	v_mul_f32_e32 v2, s16, v0
	v_mul_f32_e32 v3, s16, v3
	v_lshlrev_b32_e32 v0, 1, v1
	s_and_b32 vcc_lo, exec_lo, s4
	s_cbranch_vccz .LBB44_21
; %bb.20:
	v_ashrrev_i32_e32 v1, 31, v0
	s_mov_b32 s3, 0
	v_lshlrev_b64 v[4:5], 2, v[0:1]
	v_add_co_u32 v4, vcc_lo, s0, v4
	v_add_co_ci_u32_e64 v5, null, s1, v5, vcc_lo
	global_store_dwordx2 v[4:5], v[2:3], off
.LBB44_21:
	s_andn2_b32 vcc_lo, exec_lo, s3
	s_cbranch_vccnz .LBB44_23
; %bb.22:
	v_ashrrev_i32_e32 v1, 31, v0
	v_lshlrev_b64 v[0:1], 2, v[0:1]
	v_add_co_u32 v0, vcc_lo, s0, v0
	v_add_co_ci_u32_e64 v1, null, s1, v1, vcc_lo
	global_load_dwordx2 v[4:5], v[0:1], off
	s_waitcnt vmcnt(0)
	v_fmac_f32_e32 v2, s2, v4
	v_fmac_f32_e32 v3, s2, v5
	global_store_dwordx2 v[0:1], v[2:3], off
.LBB44_23:
	s_endpgm
	.section	.rodata,"a",@progbits
	.p2align	6, 0x0
	.amdhsa_kernel _ZN9rocsparseL19gebsrmvn_2xn_kernelILj128ELj10ELj64EfEEvi20rocsparse_direction_NS_24const_host_device_scalarIT2_EEPKiS6_PKS3_S8_S4_PS3_21rocsparse_index_base_b
		.amdhsa_group_segment_fixed_size 0
		.amdhsa_private_segment_fixed_size 0
		.amdhsa_kernarg_size 72
		.amdhsa_user_sgpr_count 6
		.amdhsa_user_sgpr_private_segment_buffer 1
		.amdhsa_user_sgpr_dispatch_ptr 0
		.amdhsa_user_sgpr_queue_ptr 0
		.amdhsa_user_sgpr_kernarg_segment_ptr 1
		.amdhsa_user_sgpr_dispatch_id 0
		.amdhsa_user_sgpr_flat_scratch_init 0
		.amdhsa_user_sgpr_private_segment_size 0
		.amdhsa_wavefront_size32 1
		.amdhsa_uses_dynamic_stack 0
		.amdhsa_system_sgpr_private_segment_wavefront_offset 0
		.amdhsa_system_sgpr_workgroup_id_x 1
		.amdhsa_system_sgpr_workgroup_id_y 0
		.amdhsa_system_sgpr_workgroup_id_z 0
		.amdhsa_system_sgpr_workgroup_info 0
		.amdhsa_system_vgpr_workitem_id 0
		.amdhsa_next_free_vgpr 43
		.amdhsa_next_free_sgpr 20
		.amdhsa_reserve_vcc 1
		.amdhsa_reserve_flat_scratch 0
		.amdhsa_float_round_mode_32 0
		.amdhsa_float_round_mode_16_64 0
		.amdhsa_float_denorm_mode_32 3
		.amdhsa_float_denorm_mode_16_64 3
		.amdhsa_dx10_clamp 1
		.amdhsa_ieee_mode 1
		.amdhsa_fp16_overflow 0
		.amdhsa_workgroup_processor_mode 1
		.amdhsa_memory_ordered 1
		.amdhsa_forward_progress 1
		.amdhsa_shared_vgpr_count 0
		.amdhsa_exception_fp_ieee_invalid_op 0
		.amdhsa_exception_fp_denorm_src 0
		.amdhsa_exception_fp_ieee_div_zero 0
		.amdhsa_exception_fp_ieee_overflow 0
		.amdhsa_exception_fp_ieee_underflow 0
		.amdhsa_exception_fp_ieee_inexact 0
		.amdhsa_exception_int_div_zero 0
	.end_amdhsa_kernel
	.section	.text._ZN9rocsparseL19gebsrmvn_2xn_kernelILj128ELj10ELj64EfEEvi20rocsparse_direction_NS_24const_host_device_scalarIT2_EEPKiS6_PKS3_S8_S4_PS3_21rocsparse_index_base_b,"axG",@progbits,_ZN9rocsparseL19gebsrmvn_2xn_kernelILj128ELj10ELj64EfEEvi20rocsparse_direction_NS_24const_host_device_scalarIT2_EEPKiS6_PKS3_S8_S4_PS3_21rocsparse_index_base_b,comdat
.Lfunc_end44:
	.size	_ZN9rocsparseL19gebsrmvn_2xn_kernelILj128ELj10ELj64EfEEvi20rocsparse_direction_NS_24const_host_device_scalarIT2_EEPKiS6_PKS3_S8_S4_PS3_21rocsparse_index_base_b, .Lfunc_end44-_ZN9rocsparseL19gebsrmvn_2xn_kernelILj128ELj10ELj64EfEEvi20rocsparse_direction_NS_24const_host_device_scalarIT2_EEPKiS6_PKS3_S8_S4_PS3_21rocsparse_index_base_b
                                        ; -- End function
	.set _ZN9rocsparseL19gebsrmvn_2xn_kernelILj128ELj10ELj64EfEEvi20rocsparse_direction_NS_24const_host_device_scalarIT2_EEPKiS6_PKS3_S8_S4_PS3_21rocsparse_index_base_b.num_vgpr, 43
	.set _ZN9rocsparseL19gebsrmvn_2xn_kernelILj128ELj10ELj64EfEEvi20rocsparse_direction_NS_24const_host_device_scalarIT2_EEPKiS6_PKS3_S8_S4_PS3_21rocsparse_index_base_b.num_agpr, 0
	.set _ZN9rocsparseL19gebsrmvn_2xn_kernelILj128ELj10ELj64EfEEvi20rocsparse_direction_NS_24const_host_device_scalarIT2_EEPKiS6_PKS3_S8_S4_PS3_21rocsparse_index_base_b.numbered_sgpr, 20
	.set _ZN9rocsparseL19gebsrmvn_2xn_kernelILj128ELj10ELj64EfEEvi20rocsparse_direction_NS_24const_host_device_scalarIT2_EEPKiS6_PKS3_S8_S4_PS3_21rocsparse_index_base_b.num_named_barrier, 0
	.set _ZN9rocsparseL19gebsrmvn_2xn_kernelILj128ELj10ELj64EfEEvi20rocsparse_direction_NS_24const_host_device_scalarIT2_EEPKiS6_PKS3_S8_S4_PS3_21rocsparse_index_base_b.private_seg_size, 0
	.set _ZN9rocsparseL19gebsrmvn_2xn_kernelILj128ELj10ELj64EfEEvi20rocsparse_direction_NS_24const_host_device_scalarIT2_EEPKiS6_PKS3_S8_S4_PS3_21rocsparse_index_base_b.uses_vcc, 1
	.set _ZN9rocsparseL19gebsrmvn_2xn_kernelILj128ELj10ELj64EfEEvi20rocsparse_direction_NS_24const_host_device_scalarIT2_EEPKiS6_PKS3_S8_S4_PS3_21rocsparse_index_base_b.uses_flat_scratch, 0
	.set _ZN9rocsparseL19gebsrmvn_2xn_kernelILj128ELj10ELj64EfEEvi20rocsparse_direction_NS_24const_host_device_scalarIT2_EEPKiS6_PKS3_S8_S4_PS3_21rocsparse_index_base_b.has_dyn_sized_stack, 0
	.set _ZN9rocsparseL19gebsrmvn_2xn_kernelILj128ELj10ELj64EfEEvi20rocsparse_direction_NS_24const_host_device_scalarIT2_EEPKiS6_PKS3_S8_S4_PS3_21rocsparse_index_base_b.has_recursion, 0
	.set _ZN9rocsparseL19gebsrmvn_2xn_kernelILj128ELj10ELj64EfEEvi20rocsparse_direction_NS_24const_host_device_scalarIT2_EEPKiS6_PKS3_S8_S4_PS3_21rocsparse_index_base_b.has_indirect_call, 0
	.section	.AMDGPU.csdata,"",@progbits
; Kernel info:
; codeLenInByte = 2532
; TotalNumSgprs: 22
; NumVgprs: 43
; ScratchSize: 0
; MemoryBound: 0
; FloatMode: 240
; IeeeMode: 1
; LDSByteSize: 0 bytes/workgroup (compile time only)
; SGPRBlocks: 0
; VGPRBlocks: 5
; NumSGPRsForWavesPerEU: 22
; NumVGPRsForWavesPerEU: 43
; Occupancy: 16
; WaveLimiterHint : 1
; COMPUTE_PGM_RSRC2:SCRATCH_EN: 0
; COMPUTE_PGM_RSRC2:USER_SGPR: 6
; COMPUTE_PGM_RSRC2:TRAP_HANDLER: 0
; COMPUTE_PGM_RSRC2:TGID_X_EN: 1
; COMPUTE_PGM_RSRC2:TGID_Y_EN: 0
; COMPUTE_PGM_RSRC2:TGID_Z_EN: 0
; COMPUTE_PGM_RSRC2:TIDIG_COMP_CNT: 0
	.section	.text._ZN9rocsparseL19gebsrmvn_2xn_kernelILj128ELj11ELj4EfEEvi20rocsparse_direction_NS_24const_host_device_scalarIT2_EEPKiS6_PKS3_S8_S4_PS3_21rocsparse_index_base_b,"axG",@progbits,_ZN9rocsparseL19gebsrmvn_2xn_kernelILj128ELj11ELj4EfEEvi20rocsparse_direction_NS_24const_host_device_scalarIT2_EEPKiS6_PKS3_S8_S4_PS3_21rocsparse_index_base_b,comdat
	.globl	_ZN9rocsparseL19gebsrmvn_2xn_kernelILj128ELj11ELj4EfEEvi20rocsparse_direction_NS_24const_host_device_scalarIT2_EEPKiS6_PKS3_S8_S4_PS3_21rocsparse_index_base_b ; -- Begin function _ZN9rocsparseL19gebsrmvn_2xn_kernelILj128ELj11ELj4EfEEvi20rocsparse_direction_NS_24const_host_device_scalarIT2_EEPKiS6_PKS3_S8_S4_PS3_21rocsparse_index_base_b
	.p2align	8
	.type	_ZN9rocsparseL19gebsrmvn_2xn_kernelILj128ELj11ELj4EfEEvi20rocsparse_direction_NS_24const_host_device_scalarIT2_EEPKiS6_PKS3_S8_S4_PS3_21rocsparse_index_base_b,@function
_ZN9rocsparseL19gebsrmvn_2xn_kernelILj128ELj11ELj4EfEEvi20rocsparse_direction_NS_24const_host_device_scalarIT2_EEPKiS6_PKS3_S8_S4_PS3_21rocsparse_index_base_b: ; @_ZN9rocsparseL19gebsrmvn_2xn_kernelILj128ELj11ELj4EfEEvi20rocsparse_direction_NS_24const_host_device_scalarIT2_EEPKiS6_PKS3_S8_S4_PS3_21rocsparse_index_base_b
; %bb.0:
	s_clause 0x2
	s_load_dwordx2 s[18:19], s[4:5], 0x40
	s_load_dwordx2 s[16:17], s[4:5], 0x8
	;; [unrolled: 1-line block ×3, first 2 shown]
	s_waitcnt lgkmcnt(0)
	s_bitcmp1_b32 s19, 0
	s_cselect_b32 s0, -1, 0
	s_and_b32 vcc_lo, exec_lo, s0
	s_xor_b32 s0, s0, -1
	s_cbranch_vccnz .LBB45_2
; %bb.1:
	s_load_dword s16, s[16:17], 0x0
.LBB45_2:
	s_andn2_b32 vcc_lo, exec_lo, s0
	s_cbranch_vccnz .LBB45_4
; %bb.3:
	s_load_dword s2, s[2:3], 0x0
.LBB45_4:
	s_waitcnt lgkmcnt(0)
	v_cmp_eq_f32_e64 s0, s16, 0
	v_cmp_eq_f32_e64 s1, s2, 1.0
	s_and_b32 s0, s0, s1
	s_and_b32 vcc_lo, exec_lo, s0
	s_cbranch_vccnz .LBB45_23
; %bb.5:
	s_load_dwordx2 s[0:1], s[4:5], 0x0
	v_lshrrev_b32_e32 v1, 2, v0
	v_lshl_or_b32 v1, s6, 5, v1
	s_waitcnt lgkmcnt(0)
	v_cmp_gt_i32_e32 vcc_lo, s0, v1
	s_and_saveexec_b32 s0, vcc_lo
	s_cbranch_execz .LBB45_23
; %bb.6:
	s_load_dwordx8 s[8:15], s[4:5], 0x10
	v_ashrrev_i32_e32 v2, 31, v1
	v_and_b32_e32 v0, 3, v0
	s_cmp_lg_u32 s1, 0
	v_lshlrev_b64 v[2:3], 2, v[1:2]
	s_waitcnt lgkmcnt(0)
	v_add_co_u32 v2, vcc_lo, s8, v2
	v_add_co_ci_u32_e64 v3, null, s9, v3, vcc_lo
	global_load_dwordx2 v[2:3], v[2:3], off
	s_waitcnt vmcnt(0)
	v_subrev_nc_u32_e32 v2, s18, v2
	v_subrev_nc_u32_e32 v11, s18, v3
	v_add_nc_u32_e32 v2, v2, v0
	v_cmp_lt_i32_e64 s0, v2, v11
	s_cbranch_scc0 .LBB45_12
; %bb.7:
	v_mov_b32_e32 v9, 0
	v_mov_b32_e32 v10, 0
	s_and_saveexec_b32 s1, s0
	s_cbranch_execz .LBB45_11
; %bb.8:
	v_mad_u64_u32 v[3:4], null, v2, 22, 20
	v_mov_b32_e32 v6, 0
	v_mov_b32_e32 v7, v2
	;; [unrolled: 1-line block ×4, first 2 shown]
	s_mov_b32 s3, 0
.LBB45_9:                               ; =>This Inner Loop Header: Depth=1
	v_ashrrev_i32_e32 v8, 31, v7
	v_mov_b32_e32 v13, v6
	v_lshlrev_b64 v[4:5], 2, v[7:8]
	v_add_nc_u32_e32 v7, 4, v7
	v_add_co_u32 v4, vcc_lo, s10, v4
	v_add_co_ci_u32_e64 v5, null, s11, v5, vcc_lo
	global_load_dword v8, v[4:5], off
	v_subrev_nc_u32_e32 v5, 20, v3
	v_mov_b32_e32 v4, v6
	v_lshlrev_b64 v[14:15], 2, v[5:6]
	v_subrev_nc_u32_e32 v5, 18, v3
	v_lshlrev_b64 v[16:17], 2, v[3:4]
	v_lshlrev_b64 v[4:5], 2, v[5:6]
	v_add_co_u32 v14, vcc_lo, s12, v14
	v_add_co_ci_u32_e64 v15, null, s13, v15, vcc_lo
	v_add_co_u32 v16, vcc_lo, s12, v16
	v_add_co_ci_u32_e64 v17, null, s13, v17, vcc_lo
	;; [unrolled: 2-line block ×3, first 2 shown]
	s_clause 0x1
	global_load_dwordx2 v[14:15], v[14:15], off
	global_load_dwordx2 v[18:19], v[4:5], off
	s_waitcnt vmcnt(2)
	v_subrev_nc_u32_e32 v4, s18, v8
	v_mul_lo_u32 v12, v4, 11
	v_add_nc_u32_e32 v5, 1, v12
	v_lshlrev_b64 v[20:21], 2, v[12:13]
	v_lshlrev_b64 v[22:23], 2, v[5:6]
	v_add_nc_u32_e32 v5, -16, v3
	v_add_co_u32 v20, vcc_lo, s14, v20
	v_add_co_ci_u32_e64 v21, null, s15, v21, vcc_lo
	v_add_co_u32 v22, vcc_lo, s14, v22
	v_lshlrev_b64 v[24:25], 2, v[5:6]
	v_add_nc_u32_e32 v5, 2, v12
	v_add_co_ci_u32_e64 v23, null, s15, v23, vcc_lo
	s_clause 0x1
	global_load_dword v8, v[20:21], off
	global_load_dword v40, v[22:23], off
	v_lshlrev_b64 v[20:21], 2, v[5:6]
	v_add_nc_u32_e32 v5, -14, v3
	v_add_co_u32 v22, vcc_lo, s12, v24
	v_add_co_ci_u32_e64 v23, null, s13, v25, vcc_lo
	v_lshlrev_b64 v[24:25], 2, v[5:6]
	v_add_nc_u32_e32 v5, 3, v12
	v_add_co_u32 v20, vcc_lo, s14, v20
	v_add_co_ci_u32_e64 v21, null, s15, v21, vcc_lo
	v_lshlrev_b64 v[26:27], 2, v[5:6]
	v_add_nc_u32_e32 v5, -12, v3
	global_load_dwordx2 v[22:23], v[22:23], off
	global_load_dword v41, v[20:21], off
	v_add_co_u32 v20, vcc_lo, s12, v24
	v_add_co_ci_u32_e64 v21, null, s13, v25, vcc_lo
	v_lshlrev_b64 v[24:25], 2, v[5:6]
	v_add_nc_u32_e32 v5, 4, v12
	v_add_co_u32 v26, vcc_lo, s14, v26
	v_add_co_ci_u32_e64 v27, null, s15, v27, vcc_lo
	v_lshlrev_b64 v[28:29], 2, v[5:6]
	v_add_co_u32 v24, vcc_lo, s12, v24
	v_add_co_ci_u32_e64 v25, null, s13, v25, vcc_lo
	v_add_nc_u32_e32 v5, -10, v3
	v_add_co_u32 v28, vcc_lo, s14, v28
	v_add_co_ci_u32_e64 v29, null, s15, v29, vcc_lo
	global_load_dword v42, v[26:27], off
	s_clause 0x1
	global_load_dwordx2 v[24:25], v[24:25], off
	global_load_dwordx2 v[20:21], v[20:21], off
	global_load_dword v43, v[28:29], off
	v_lshlrev_b64 v[26:27], 2, v[5:6]
	v_add_nc_u32_e32 v5, 5, v12
	v_lshlrev_b64 v[30:31], 2, v[5:6]
	v_add_nc_u32_e32 v5, -8, v3
	v_add_co_u32 v26, vcc_lo, s12, v26
	v_add_co_ci_u32_e64 v27, null, s13, v27, vcc_lo
	v_lshlrev_b64 v[28:29], 2, v[5:6]
	v_add_nc_u32_e32 v5, 6, v12
	v_add_co_u32 v30, vcc_lo, s14, v30
	v_add_co_ci_u32_e64 v31, null, s15, v31, vcc_lo
	v_lshlrev_b64 v[32:33], 2, v[5:6]
	v_add_co_u32 v28, vcc_lo, s12, v28
	v_add_co_ci_u32_e64 v29, null, s13, v29, vcc_lo
	v_add_nc_u32_e32 v5, -6, v3
	v_add_co_u32 v32, vcc_lo, s14, v32
	v_add_co_ci_u32_e64 v33, null, s15, v33, vcc_lo
	global_load_dword v44, v[30:31], off
	s_clause 0x1
	global_load_dwordx2 v[26:27], v[26:27], off
	global_load_dwordx2 v[28:29], v[28:29], off
	global_load_dword v45, v[32:33], off
	v_lshlrev_b64 v[30:31], 2, v[5:6]
	v_add_nc_u32_e32 v5, 7, v12
	v_lshlrev_b64 v[34:35], 2, v[5:6]
	v_add_nc_u32_e32 v5, -4, v3
	v_add_co_u32 v30, vcc_lo, s12, v30
	v_add_co_ci_u32_e64 v31, null, s13, v31, vcc_lo
	v_lshlrev_b64 v[32:33], 2, v[5:6]
	v_add_nc_u32_e32 v5, 8, v12
	v_add_co_u32 v34, vcc_lo, s14, v34
	v_add_co_ci_u32_e64 v35, null, s15, v35, vcc_lo
	v_lshlrev_b64 v[36:37], 2, v[5:6]
	v_add_co_u32 v32, vcc_lo, s12, v32
	v_add_co_ci_u32_e64 v33, null, s13, v33, vcc_lo
	v_add_nc_u32_e32 v5, -2, v3
	v_add_co_u32 v36, vcc_lo, s14, v36
	v_add_co_ci_u32_e64 v37, null, s15, v37, vcc_lo
	global_load_dword v46, v[34:35], off
	s_clause 0x1
	global_load_dwordx2 v[30:31], v[30:31], off
	global_load_dwordx2 v[32:33], v[32:33], off
	global_load_dword v36, v[36:37], off
	v_lshlrev_b64 v[34:35], 2, v[5:6]
	v_add_nc_u32_e32 v5, 9, v12
	v_add_nc_u32_e32 v3, 0x58, v3
	v_lshlrev_b64 v[38:39], 2, v[5:6]
	v_add_nc_u32_e32 v5, 10, v12
	v_add_co_u32 v12, vcc_lo, s12, v34
	v_add_co_ci_u32_e64 v13, null, s13, v35, vcc_lo
	v_lshlrev_b64 v[4:5], 2, v[5:6]
	v_add_co_u32 v34, vcc_lo, s14, v38
	v_add_co_ci_u32_e64 v35, null, s15, v39, vcc_lo
	global_load_dwordx2 v[12:13], v[12:13], off
	global_load_dword v34, v[34:35], off
	v_add_co_u32 v4, vcc_lo, s14, v4
	v_add_co_ci_u32_e64 v5, null, s15, v5, vcc_lo
	global_load_dwordx2 v[16:17], v[16:17], off
	global_load_dword v4, v[4:5], off
	v_cmp_ge_i32_e32 vcc_lo, v7, v11
	s_or_b32 s3, vcc_lo, s3
	s_waitcnt vmcnt(19)
	v_fmac_f32_e32 v9, v14, v8
	v_fmac_f32_e32 v10, v15, v8
	s_waitcnt vmcnt(18)
	v_fmac_f32_e32 v9, v18, v40
	v_fmac_f32_e32 v10, v19, v40
	s_waitcnt vmcnt(16)
	v_fmac_f32_e32 v9, v22, v41
	v_fmac_f32_e32 v10, v23, v41
	s_waitcnt vmcnt(13)
	v_fmac_f32_e32 v9, v20, v42
	v_fmac_f32_e32 v10, v21, v42
	s_waitcnt vmcnt(12)
	v_fmac_f32_e32 v9, v24, v43
	v_fmac_f32_e32 v10, v25, v43
	s_waitcnt vmcnt(10)
	v_fmac_f32_e32 v9, v26, v44
	v_fmac_f32_e32 v10, v27, v44
	s_waitcnt vmcnt(8)
	v_fmac_f32_e32 v9, v28, v45
	v_fmac_f32_e32 v10, v29, v45
	s_waitcnt vmcnt(6)
	v_fmac_f32_e32 v9, v30, v46
	v_fmac_f32_e32 v10, v31, v46
	s_waitcnt vmcnt(4)
	v_fmac_f32_e32 v9, v32, v36
	v_fmac_f32_e32 v10, v33, v36
	s_waitcnt vmcnt(2)
	v_fmac_f32_e32 v9, v12, v34
	v_fmac_f32_e32 v10, v13, v34
	s_waitcnt vmcnt(0)
	v_fmac_f32_e32 v9, v16, v4
	v_fmac_f32_e32 v10, v17, v4
	s_andn2_b32 exec_lo, exec_lo, s3
	s_cbranch_execnz .LBB45_9
; %bb.10:
	s_or_b32 exec_lo, exec_lo, s3
.LBB45_11:
	s_or_b32 exec_lo, exec_lo, s1
	s_cbranch_execz .LBB45_13
	s_branch .LBB45_18
.LBB45_12:
                                        ; implicit-def: $vgpr9
                                        ; implicit-def: $vgpr10
.LBB45_13:
	v_mov_b32_e32 v9, 0
	v_mov_b32_e32 v10, 0
	s_and_saveexec_b32 s1, s0
	s_cbranch_execz .LBB45_17
; %bb.14:
	v_mad_u64_u32 v[4:5], null, v2, 22, 21
	v_mov_b32_e32 v7, 0
	v_mov_b32_e32 v9, 0
	;; [unrolled: 1-line block ×3, first 2 shown]
	s_mov_b32 s0, 0
.LBB45_15:                              ; =>This Inner Loop Header: Depth=1
	v_ashrrev_i32_e32 v3, 31, v2
	v_add_nc_u32_e32 v12, -10, v4
	v_mov_b32_e32 v13, v7
	v_mov_b32_e32 v14, v7
	v_lshlrev_b64 v[5:6], 2, v[2:3]
	v_add_nc_u32_e32 v2, 4, v2
	v_lshlrev_b64 v[12:13], 2, v[12:13]
	v_add_co_u32 v5, vcc_lo, s10, v5
	v_add_co_ci_u32_e64 v6, null, s11, v6, vcc_lo
	global_load_dword v3, v[5:6], off
	v_subrev_nc_u32_e32 v6, 21, v4
	v_mov_b32_e32 v5, v7
	v_lshlrev_b64 v[15:16], 2, v[6:7]
	v_lshlrev_b64 v[5:6], 2, v[4:5]
	v_add_co_u32 v15, vcc_lo, s12, v15
	v_add_co_ci_u32_e64 v16, null, s13, v16, vcc_lo
	v_add_co_u32 v12, vcc_lo, s12, v12
	v_add_co_ci_u32_e64 v13, null, s13, v13, vcc_lo
	s_clause 0x1
	global_load_dwordx2 v[15:16], v[15:16], off
	global_load_dword v8, v[12:13], off
	v_add_co_u32 v17, vcc_lo, s12, v5
	v_add_co_ci_u32_e64 v18, null, s13, v6, vcc_lo
	s_waitcnt vmcnt(2)
	v_subrev_nc_u32_e32 v3, s18, v3
	v_mul_lo_u32 v13, v3, 11
	v_add_nc_u32_e32 v6, 1, v13
	v_lshlrev_b64 v[19:20], 2, v[13:14]
	v_lshlrev_b64 v[21:22], 2, v[6:7]
	v_add_nc_u32_e32 v6, -9, v4
	v_add_co_u32 v19, vcc_lo, s14, v19
	v_add_co_ci_u32_e64 v20, null, s15, v20, vcc_lo
	v_lshlrev_b64 v[23:24], 2, v[6:7]
	v_subrev_nc_u32_e32 v6, 19, v4
	global_load_dword v3, v[19:20], off
	v_add_co_u32 v19, vcc_lo, s14, v21
	v_add_co_ci_u32_e64 v20, null, s15, v22, vcc_lo
	v_lshlrev_b64 v[21:22], 2, v[6:7]
	v_add_nc_u32_e32 v6, 2, v13
	v_add_co_u32 v23, vcc_lo, s12, v23
	v_add_co_ci_u32_e64 v24, null, s13, v24, vcc_lo
	global_load_dword v14, v[19:20], off
	v_lshlrev_b64 v[19:20], 2, v[6:7]
	v_add_co_u32 v21, vcc_lo, s12, v21
	v_add_nc_u32_e32 v6, -8, v4
	v_add_co_ci_u32_e64 v22, null, s13, v22, vcc_lo
	v_add_co_u32 v19, vcc_lo, s14, v19
	s_clause 0x1
	global_load_dword v25, v[23:24], off
	global_load_dword v26, v[21:22], off
	v_lshlrev_b64 v[23:24], 2, v[6:7]
	v_add_co_ci_u32_e64 v20, null, s15, v20, vcc_lo
	v_subrev_nc_u32_e32 v6, 18, v4
	global_load_dword v27, v[19:20], off
	v_add_co_u32 v19, vcc_lo, s12, v23
	v_add_co_ci_u32_e64 v20, null, s13, v24, vcc_lo
	global_load_dword v28, v[19:20], off
	v_lshlrev_b64 v[21:22], 2, v[6:7]
	v_add_nc_u32_e32 v6, 3, v13
	v_lshlrev_b64 v[23:24], 2, v[6:7]
	v_add_nc_u32_e32 v6, -7, v4
	v_add_co_u32 v21, vcc_lo, s12, v21
	v_add_co_ci_u32_e64 v22, null, s13, v22, vcc_lo
	v_lshlrev_b64 v[19:20], 2, v[6:7]
	v_subrev_nc_u32_e32 v6, 17, v4
	global_load_dword v29, v[21:22], off
	v_add_co_u32 v21, vcc_lo, s14, v23
	v_add_co_ci_u32_e64 v22, null, s15, v24, vcc_lo
	v_lshlrev_b64 v[23:24], 2, v[6:7]
	v_add_nc_u32_e32 v6, 4, v13
	v_add_co_u32 v19, vcc_lo, s12, v19
	v_add_co_ci_u32_e64 v20, null, s13, v20, vcc_lo
	global_load_dword v30, v[21:22], off
	v_lshlrev_b64 v[21:22], 2, v[6:7]
	v_add_nc_u32_e32 v6, -6, v4
	global_load_dword v31, v[19:20], off
	v_add_co_u32 v19, vcc_lo, s12, v23
	v_add_co_ci_u32_e64 v20, null, s13, v24, vcc_lo
	v_lshlrev_b64 v[23:24], 2, v[6:7]
	v_add_nc_u32_e32 v6, -16, v4
	v_add_co_u32 v21, vcc_lo, s14, v21
	v_add_co_ci_u32_e64 v22, null, s15, v22, vcc_lo
	global_load_dword v32, v[19:20], off
	v_lshlrev_b64 v[19:20], 2, v[6:7]
	v_add_nc_u32_e32 v6, 5, v13
	global_load_dword v33, v[21:22], off
	v_add_co_u32 v21, vcc_lo, s12, v23
	v_add_co_ci_u32_e64 v22, null, s13, v24, vcc_lo
	v_add_co_u32 v19, vcc_lo, s12, v19
	v_lshlrev_b64 v[23:24], 2, v[6:7]
	v_add_nc_u32_e32 v6, -5, v4
	v_add_co_ci_u32_e64 v20, null, s13, v20, vcc_lo
	s_clause 0x1
	global_load_dword v34, v[21:22], off
	global_load_dword v35, v[19:20], off
	v_lshlrev_b64 v[21:22], 2, v[6:7]
	v_add_nc_u32_e32 v6, -15, v4
	v_add_co_u32 v19, vcc_lo, s14, v23
	v_add_co_ci_u32_e64 v20, null, s15, v24, vcc_lo
	v_lshlrev_b64 v[23:24], 2, v[6:7]
	v_add_nc_u32_e32 v6, 6, v13
	v_add_co_u32 v21, vcc_lo, s12, v21
	v_add_co_ci_u32_e64 v22, null, s13, v22, vcc_lo
	global_load_dword v36, v[19:20], off
	v_lshlrev_b64 v[19:20], 2, v[6:7]
	v_add_nc_u32_e32 v6, -4, v4
	global_load_dword v37, v[21:22], off
	v_add_co_u32 v21, vcc_lo, s12, v23
	v_add_co_ci_u32_e64 v22, null, s13, v24, vcc_lo
	v_add_co_u32 v19, vcc_lo, s14, v19
	v_lshlrev_b64 v[23:24], 2, v[6:7]
	v_add_co_ci_u32_e64 v20, null, s15, v20, vcc_lo
	v_add_nc_u32_e32 v6, -14, v4
	global_load_dword v38, v[21:22], off
	global_load_dword v39, v[19:20], off
	v_add_co_u32 v19, vcc_lo, s12, v23
	v_add_co_ci_u32_e64 v20, null, s13, v24, vcc_lo
	global_load_dword v40, v[19:20], off
	v_lshlrev_b64 v[21:22], 2, v[6:7]
	v_add_nc_u32_e32 v6, 7, v13
	v_lshlrev_b64 v[23:24], 2, v[6:7]
	v_add_nc_u32_e32 v6, -3, v4
	v_add_co_u32 v21, vcc_lo, s12, v21
	v_add_co_ci_u32_e64 v22, null, s13, v22, vcc_lo
	v_lshlrev_b64 v[19:20], 2, v[6:7]
	v_add_nc_u32_e32 v6, -13, v4
	global_load_dword v41, v[21:22], off
	v_add_co_u32 v21, vcc_lo, s14, v23
	v_add_co_ci_u32_e64 v22, null, s15, v24, vcc_lo
	v_lshlrev_b64 v[23:24], 2, v[6:7]
	v_add_nc_u32_e32 v6, 8, v13
	v_add_co_u32 v19, vcc_lo, s12, v19
	v_add_co_ci_u32_e64 v20, null, s13, v20, vcc_lo
	global_load_dword v42, v[21:22], off
	v_lshlrev_b64 v[21:22], 2, v[6:7]
	v_add_nc_u32_e32 v6, -2, v4
	global_load_dword v43, v[19:20], off
	v_add_co_u32 v19, vcc_lo, s12, v23
	v_add_co_ci_u32_e64 v20, null, s13, v24, vcc_lo
	v_lshlrev_b64 v[23:24], 2, v[6:7]
	v_add_nc_u32_e32 v6, -12, v4
	v_add_co_u32 v21, vcc_lo, s14, v21
	v_add_co_ci_u32_e64 v22, null, s15, v22, vcc_lo
	global_load_dword v44, v[19:20], off
	v_lshlrev_b64 v[19:20], 2, v[6:7]
	v_add_nc_u32_e32 v6, 9, v13
	global_load_dword v45, v[21:22], off
	v_add_co_u32 v21, vcc_lo, s12, v23
	v_add_co_ci_u32_e64 v22, null, s13, v24, vcc_lo
	v_add_co_u32 v19, vcc_lo, s12, v19
	v_lshlrev_b64 v[23:24], 2, v[6:7]
	v_add_nc_u32_e32 v6, -1, v4
	v_add_co_ci_u32_e64 v20, null, s13, v20, vcc_lo
	s_clause 0x1
	global_load_dword v46, v[21:22], off
	global_load_dword v47, v[19:20], off
	v_lshlrev_b64 v[21:22], 2, v[6:7]
	v_add_nc_u32_e32 v6, -11, v4
	v_add_co_u32 v19, vcc_lo, s14, v23
	v_add_co_ci_u32_e64 v20, null, s15, v24, vcc_lo
	v_lshlrev_b64 v[23:24], 2, v[6:7]
	v_add_nc_u32_e32 v6, 10, v13
	v_add_co_u32 v12, vcc_lo, s12, v21
	v_add_co_ci_u32_e64 v13, null, s13, v22, vcc_lo
	v_lshlrev_b64 v[5:6], 2, v[6:7]
	global_load_dword v19, v[19:20], off
	v_add_nc_u32_e32 v4, 0x58, v4
	global_load_dword v20, v[12:13], off
	v_add_co_u32 v12, vcc_lo, s12, v23
	v_add_co_ci_u32_e64 v13, null, s13, v24, vcc_lo
	v_add_co_u32 v5, vcc_lo, s14, v5
	v_add_co_ci_u32_e64 v6, null, s15, v6, vcc_lo
	s_clause 0x1
	global_load_dword v17, v[17:18], off
	global_load_dword v12, v[12:13], off
	;; [unrolled: 1-line block ×3, first 2 shown]
	v_cmp_ge_i32_e32 vcc_lo, v2, v11
	s_or_b32 s0, vcc_lo, s0
	s_waitcnt vmcnt(29)
	v_fmac_f32_e32 v9, v15, v3
	v_fmac_f32_e32 v10, v8, v3
	s_waitcnt vmcnt(28)
	v_fmac_f32_e32 v9, v16, v14
	s_waitcnt vmcnt(27)
	v_fmac_f32_e32 v10, v25, v14
	s_waitcnt vmcnt(25)
	v_fmac_f32_e32 v9, v26, v27
	s_waitcnt vmcnt(24)
	v_fmac_f32_e32 v10, v28, v27
	s_waitcnt vmcnt(22)
	v_fmac_f32_e32 v9, v29, v30
	s_waitcnt vmcnt(21)
	v_fmac_f32_e32 v10, v31, v30
	s_waitcnt vmcnt(19)
	v_fmac_f32_e32 v9, v32, v33
	s_waitcnt vmcnt(18)
	v_fmac_f32_e32 v10, v34, v33
	s_waitcnt vmcnt(16)
	v_fmac_f32_e32 v9, v35, v36
	s_waitcnt vmcnt(15)
	v_fmac_f32_e32 v10, v37, v36
	s_waitcnt vmcnt(13)
	v_fmac_f32_e32 v9, v38, v39
	s_waitcnt vmcnt(12)
	v_fmac_f32_e32 v10, v40, v39
	s_waitcnt vmcnt(10)
	v_fmac_f32_e32 v9, v41, v42
	s_waitcnt vmcnt(9)
	v_fmac_f32_e32 v10, v43, v42
	s_waitcnt vmcnt(7)
	v_fmac_f32_e32 v9, v44, v45
	s_waitcnt vmcnt(6)
	v_fmac_f32_e32 v10, v46, v45
	s_waitcnt vmcnt(4)
	v_fmac_f32_e32 v9, v47, v19
	s_waitcnt vmcnt(3)
	v_fmac_f32_e32 v10, v20, v19
	s_waitcnt vmcnt(0)
	v_fmac_f32_e32 v9, v12, v5
	v_fmac_f32_e32 v10, v17, v5
	s_andn2_b32 exec_lo, exec_lo, s0
	s_cbranch_execnz .LBB45_15
; %bb.16:
	s_or_b32 exec_lo, exec_lo, s0
.LBB45_17:
	s_or_b32 exec_lo, exec_lo, s1
.LBB45_18:
	v_mbcnt_lo_u32_b32 v2, -1, 0
	s_mov_b32 s3, -1
	v_xor_b32_e32 v3, 2, v2
	v_xor_b32_e32 v5, 1, v2
	v_cmp_gt_i32_e32 vcc_lo, 32, v3
	v_cndmask_b32_e32 v3, v2, v3, vcc_lo
	v_cmp_gt_i32_e32 vcc_lo, 32, v5
	v_lshlrev_b32_e32 v3, 2, v3
	v_cndmask_b32_e32 v2, v2, v5, vcc_lo
	v_cmp_eq_u32_e32 vcc_lo, 3, v0
	ds_bpermute_b32 v4, v3, v9
	ds_bpermute_b32 v3, v3, v10
	v_lshlrev_b32_e32 v5, 2, v2
	s_waitcnt lgkmcnt(1)
	v_add_f32_e32 v2, v9, v4
	s_waitcnt lgkmcnt(0)
	v_add_f32_e32 v3, v10, v3
	ds_bpermute_b32 v4, v5, v2
	ds_bpermute_b32 v5, v5, v3
	s_and_b32 exec_lo, exec_lo, vcc_lo
	s_cbranch_execz .LBB45_23
; %bb.19:
	s_load_dwordx2 s[0:1], s[4:5], 0x38
	s_waitcnt lgkmcnt(0)
	v_add_f32_e32 v0, v2, v4
	v_add_f32_e32 v3, v3, v5
	v_cmp_eq_f32_e64 s4, s2, 0
	v_mul_f32_e32 v2, s16, v0
	v_mul_f32_e32 v3, s16, v3
	v_lshlrev_b32_e32 v0, 1, v1
	s_and_b32 vcc_lo, exec_lo, s4
	s_cbranch_vccz .LBB45_21
; %bb.20:
	v_ashrrev_i32_e32 v1, 31, v0
	s_mov_b32 s3, 0
	v_lshlrev_b64 v[4:5], 2, v[0:1]
	v_add_co_u32 v4, vcc_lo, s0, v4
	v_add_co_ci_u32_e64 v5, null, s1, v5, vcc_lo
	global_store_dwordx2 v[4:5], v[2:3], off
.LBB45_21:
	s_andn2_b32 vcc_lo, exec_lo, s3
	s_cbranch_vccnz .LBB45_23
; %bb.22:
	v_ashrrev_i32_e32 v1, 31, v0
	v_lshlrev_b64 v[0:1], 2, v[0:1]
	v_add_co_u32 v0, vcc_lo, s0, v0
	v_add_co_ci_u32_e64 v1, null, s1, v1, vcc_lo
	global_load_dwordx2 v[4:5], v[0:1], off
	s_waitcnt vmcnt(0)
	v_fmac_f32_e32 v2, s2, v4
	v_fmac_f32_e32 v3, s2, v5
	global_store_dwordx2 v[0:1], v[2:3], off
.LBB45_23:
	s_endpgm
	.section	.rodata,"a",@progbits
	.p2align	6, 0x0
	.amdhsa_kernel _ZN9rocsparseL19gebsrmvn_2xn_kernelILj128ELj11ELj4EfEEvi20rocsparse_direction_NS_24const_host_device_scalarIT2_EEPKiS6_PKS3_S8_S4_PS3_21rocsparse_index_base_b
		.amdhsa_group_segment_fixed_size 0
		.amdhsa_private_segment_fixed_size 0
		.amdhsa_kernarg_size 72
		.amdhsa_user_sgpr_count 6
		.amdhsa_user_sgpr_private_segment_buffer 1
		.amdhsa_user_sgpr_dispatch_ptr 0
		.amdhsa_user_sgpr_queue_ptr 0
		.amdhsa_user_sgpr_kernarg_segment_ptr 1
		.amdhsa_user_sgpr_dispatch_id 0
		.amdhsa_user_sgpr_flat_scratch_init 0
		.amdhsa_user_sgpr_private_segment_size 0
		.amdhsa_wavefront_size32 1
		.amdhsa_uses_dynamic_stack 0
		.amdhsa_system_sgpr_private_segment_wavefront_offset 0
		.amdhsa_system_sgpr_workgroup_id_x 1
		.amdhsa_system_sgpr_workgroup_id_y 0
		.amdhsa_system_sgpr_workgroup_id_z 0
		.amdhsa_system_sgpr_workgroup_info 0
		.amdhsa_system_vgpr_workitem_id 0
		.amdhsa_next_free_vgpr 48
		.amdhsa_next_free_sgpr 20
		.amdhsa_reserve_vcc 1
		.amdhsa_reserve_flat_scratch 0
		.amdhsa_float_round_mode_32 0
		.amdhsa_float_round_mode_16_64 0
		.amdhsa_float_denorm_mode_32 3
		.amdhsa_float_denorm_mode_16_64 3
		.amdhsa_dx10_clamp 1
		.amdhsa_ieee_mode 1
		.amdhsa_fp16_overflow 0
		.amdhsa_workgroup_processor_mode 1
		.amdhsa_memory_ordered 1
		.amdhsa_forward_progress 1
		.amdhsa_shared_vgpr_count 0
		.amdhsa_exception_fp_ieee_invalid_op 0
		.amdhsa_exception_fp_denorm_src 0
		.amdhsa_exception_fp_ieee_div_zero 0
		.amdhsa_exception_fp_ieee_overflow 0
		.amdhsa_exception_fp_ieee_underflow 0
		.amdhsa_exception_fp_ieee_inexact 0
		.amdhsa_exception_int_div_zero 0
	.end_amdhsa_kernel
	.section	.text._ZN9rocsparseL19gebsrmvn_2xn_kernelILj128ELj11ELj4EfEEvi20rocsparse_direction_NS_24const_host_device_scalarIT2_EEPKiS6_PKS3_S8_S4_PS3_21rocsparse_index_base_b,"axG",@progbits,_ZN9rocsparseL19gebsrmvn_2xn_kernelILj128ELj11ELj4EfEEvi20rocsparse_direction_NS_24const_host_device_scalarIT2_EEPKiS6_PKS3_S8_S4_PS3_21rocsparse_index_base_b,comdat
.Lfunc_end45:
	.size	_ZN9rocsparseL19gebsrmvn_2xn_kernelILj128ELj11ELj4EfEEvi20rocsparse_direction_NS_24const_host_device_scalarIT2_EEPKiS6_PKS3_S8_S4_PS3_21rocsparse_index_base_b, .Lfunc_end45-_ZN9rocsparseL19gebsrmvn_2xn_kernelILj128ELj11ELj4EfEEvi20rocsparse_direction_NS_24const_host_device_scalarIT2_EEPKiS6_PKS3_S8_S4_PS3_21rocsparse_index_base_b
                                        ; -- End function
	.set _ZN9rocsparseL19gebsrmvn_2xn_kernelILj128ELj11ELj4EfEEvi20rocsparse_direction_NS_24const_host_device_scalarIT2_EEPKiS6_PKS3_S8_S4_PS3_21rocsparse_index_base_b.num_vgpr, 48
	.set _ZN9rocsparseL19gebsrmvn_2xn_kernelILj128ELj11ELj4EfEEvi20rocsparse_direction_NS_24const_host_device_scalarIT2_EEPKiS6_PKS3_S8_S4_PS3_21rocsparse_index_base_b.num_agpr, 0
	.set _ZN9rocsparseL19gebsrmvn_2xn_kernelILj128ELj11ELj4EfEEvi20rocsparse_direction_NS_24const_host_device_scalarIT2_EEPKiS6_PKS3_S8_S4_PS3_21rocsparse_index_base_b.numbered_sgpr, 20
	.set _ZN9rocsparseL19gebsrmvn_2xn_kernelILj128ELj11ELj4EfEEvi20rocsparse_direction_NS_24const_host_device_scalarIT2_EEPKiS6_PKS3_S8_S4_PS3_21rocsparse_index_base_b.num_named_barrier, 0
	.set _ZN9rocsparseL19gebsrmvn_2xn_kernelILj128ELj11ELj4EfEEvi20rocsparse_direction_NS_24const_host_device_scalarIT2_EEPKiS6_PKS3_S8_S4_PS3_21rocsparse_index_base_b.private_seg_size, 0
	.set _ZN9rocsparseL19gebsrmvn_2xn_kernelILj128ELj11ELj4EfEEvi20rocsparse_direction_NS_24const_host_device_scalarIT2_EEPKiS6_PKS3_S8_S4_PS3_21rocsparse_index_base_b.uses_vcc, 1
	.set _ZN9rocsparseL19gebsrmvn_2xn_kernelILj128ELj11ELj4EfEEvi20rocsparse_direction_NS_24const_host_device_scalarIT2_EEPKiS6_PKS3_S8_S4_PS3_21rocsparse_index_base_b.uses_flat_scratch, 0
	.set _ZN9rocsparseL19gebsrmvn_2xn_kernelILj128ELj11ELj4EfEEvi20rocsparse_direction_NS_24const_host_device_scalarIT2_EEPKiS6_PKS3_S8_S4_PS3_21rocsparse_index_base_b.has_dyn_sized_stack, 0
	.set _ZN9rocsparseL19gebsrmvn_2xn_kernelILj128ELj11ELj4EfEEvi20rocsparse_direction_NS_24const_host_device_scalarIT2_EEPKiS6_PKS3_S8_S4_PS3_21rocsparse_index_base_b.has_recursion, 0
	.set _ZN9rocsparseL19gebsrmvn_2xn_kernelILj128ELj11ELj4EfEEvi20rocsparse_direction_NS_24const_host_device_scalarIT2_EEPKiS6_PKS3_S8_S4_PS3_21rocsparse_index_base_b.has_indirect_call, 0
	.section	.AMDGPU.csdata,"",@progbits
; Kernel info:
; codeLenInByte = 3044
; TotalNumSgprs: 22
; NumVgprs: 48
; ScratchSize: 0
; MemoryBound: 0
; FloatMode: 240
; IeeeMode: 1
; LDSByteSize: 0 bytes/workgroup (compile time only)
; SGPRBlocks: 0
; VGPRBlocks: 5
; NumSGPRsForWavesPerEU: 22
; NumVGPRsForWavesPerEU: 48
; Occupancy: 16
; WaveLimiterHint : 1
; COMPUTE_PGM_RSRC2:SCRATCH_EN: 0
; COMPUTE_PGM_RSRC2:USER_SGPR: 6
; COMPUTE_PGM_RSRC2:TRAP_HANDLER: 0
; COMPUTE_PGM_RSRC2:TGID_X_EN: 1
; COMPUTE_PGM_RSRC2:TGID_Y_EN: 0
; COMPUTE_PGM_RSRC2:TGID_Z_EN: 0
; COMPUTE_PGM_RSRC2:TIDIG_COMP_CNT: 0
	.section	.text._ZN9rocsparseL19gebsrmvn_2xn_kernelILj128ELj11ELj8EfEEvi20rocsparse_direction_NS_24const_host_device_scalarIT2_EEPKiS6_PKS3_S8_S4_PS3_21rocsparse_index_base_b,"axG",@progbits,_ZN9rocsparseL19gebsrmvn_2xn_kernelILj128ELj11ELj8EfEEvi20rocsparse_direction_NS_24const_host_device_scalarIT2_EEPKiS6_PKS3_S8_S4_PS3_21rocsparse_index_base_b,comdat
	.globl	_ZN9rocsparseL19gebsrmvn_2xn_kernelILj128ELj11ELj8EfEEvi20rocsparse_direction_NS_24const_host_device_scalarIT2_EEPKiS6_PKS3_S8_S4_PS3_21rocsparse_index_base_b ; -- Begin function _ZN9rocsparseL19gebsrmvn_2xn_kernelILj128ELj11ELj8EfEEvi20rocsparse_direction_NS_24const_host_device_scalarIT2_EEPKiS6_PKS3_S8_S4_PS3_21rocsparse_index_base_b
	.p2align	8
	.type	_ZN9rocsparseL19gebsrmvn_2xn_kernelILj128ELj11ELj8EfEEvi20rocsparse_direction_NS_24const_host_device_scalarIT2_EEPKiS6_PKS3_S8_S4_PS3_21rocsparse_index_base_b,@function
_ZN9rocsparseL19gebsrmvn_2xn_kernelILj128ELj11ELj8EfEEvi20rocsparse_direction_NS_24const_host_device_scalarIT2_EEPKiS6_PKS3_S8_S4_PS3_21rocsparse_index_base_b: ; @_ZN9rocsparseL19gebsrmvn_2xn_kernelILj128ELj11ELj8EfEEvi20rocsparse_direction_NS_24const_host_device_scalarIT2_EEPKiS6_PKS3_S8_S4_PS3_21rocsparse_index_base_b
; %bb.0:
	s_clause 0x2
	s_load_dwordx2 s[18:19], s[4:5], 0x40
	s_load_dwordx2 s[16:17], s[4:5], 0x8
	;; [unrolled: 1-line block ×3, first 2 shown]
	s_waitcnt lgkmcnt(0)
	s_bitcmp1_b32 s19, 0
	s_cselect_b32 s0, -1, 0
	s_and_b32 vcc_lo, exec_lo, s0
	s_xor_b32 s0, s0, -1
	s_cbranch_vccnz .LBB46_2
; %bb.1:
	s_load_dword s16, s[16:17], 0x0
.LBB46_2:
	s_andn2_b32 vcc_lo, exec_lo, s0
	s_cbranch_vccnz .LBB46_4
; %bb.3:
	s_load_dword s2, s[2:3], 0x0
.LBB46_4:
	s_waitcnt lgkmcnt(0)
	v_cmp_eq_f32_e64 s0, s16, 0
	v_cmp_eq_f32_e64 s1, s2, 1.0
	s_and_b32 s0, s0, s1
	s_and_b32 vcc_lo, exec_lo, s0
	s_cbranch_vccnz .LBB46_23
; %bb.5:
	s_load_dwordx2 s[0:1], s[4:5], 0x0
	v_lshrrev_b32_e32 v1, 3, v0
	v_lshl_or_b32 v1, s6, 4, v1
	s_waitcnt lgkmcnt(0)
	v_cmp_gt_i32_e32 vcc_lo, s0, v1
	s_and_saveexec_b32 s0, vcc_lo
	s_cbranch_execz .LBB46_23
; %bb.6:
	s_load_dwordx8 s[8:15], s[4:5], 0x10
	v_ashrrev_i32_e32 v2, 31, v1
	v_and_b32_e32 v0, 7, v0
	s_cmp_lg_u32 s1, 0
	v_lshlrev_b64 v[2:3], 2, v[1:2]
	s_waitcnt lgkmcnt(0)
	v_add_co_u32 v2, vcc_lo, s8, v2
	v_add_co_ci_u32_e64 v3, null, s9, v3, vcc_lo
	global_load_dwordx2 v[2:3], v[2:3], off
	s_waitcnt vmcnt(0)
	v_subrev_nc_u32_e32 v2, s18, v2
	v_subrev_nc_u32_e32 v11, s18, v3
	v_add_nc_u32_e32 v2, v2, v0
	v_cmp_lt_i32_e64 s0, v2, v11
	s_cbranch_scc0 .LBB46_12
; %bb.7:
	v_mov_b32_e32 v9, 0
	v_mov_b32_e32 v10, 0
	s_and_saveexec_b32 s1, s0
	s_cbranch_execz .LBB46_11
; %bb.8:
	v_mad_u64_u32 v[3:4], null, v2, 22, 20
	v_mov_b32_e32 v6, 0
	v_mov_b32_e32 v7, v2
	;; [unrolled: 1-line block ×4, first 2 shown]
	s_mov_b32 s3, 0
.LBB46_9:                               ; =>This Inner Loop Header: Depth=1
	v_ashrrev_i32_e32 v8, 31, v7
	v_mov_b32_e32 v13, v6
	v_lshlrev_b64 v[4:5], 2, v[7:8]
	v_add_nc_u32_e32 v7, 8, v7
	v_add_co_u32 v4, vcc_lo, s10, v4
	v_add_co_ci_u32_e64 v5, null, s11, v5, vcc_lo
	global_load_dword v8, v[4:5], off
	v_subrev_nc_u32_e32 v5, 20, v3
	v_mov_b32_e32 v4, v6
	v_lshlrev_b64 v[14:15], 2, v[5:6]
	v_subrev_nc_u32_e32 v5, 18, v3
	v_lshlrev_b64 v[16:17], 2, v[3:4]
	v_lshlrev_b64 v[4:5], 2, v[5:6]
	v_add_co_u32 v14, vcc_lo, s12, v14
	v_add_co_ci_u32_e64 v15, null, s13, v15, vcc_lo
	v_add_co_u32 v16, vcc_lo, s12, v16
	v_add_co_ci_u32_e64 v17, null, s13, v17, vcc_lo
	;; [unrolled: 2-line block ×3, first 2 shown]
	s_clause 0x1
	global_load_dwordx2 v[14:15], v[14:15], off
	global_load_dwordx2 v[18:19], v[4:5], off
	s_waitcnt vmcnt(2)
	v_subrev_nc_u32_e32 v4, s18, v8
	v_mul_lo_u32 v12, v4, 11
	v_add_nc_u32_e32 v5, 1, v12
	v_lshlrev_b64 v[20:21], 2, v[12:13]
	v_lshlrev_b64 v[22:23], 2, v[5:6]
	v_add_nc_u32_e32 v5, -16, v3
	v_add_co_u32 v20, vcc_lo, s14, v20
	v_add_co_ci_u32_e64 v21, null, s15, v21, vcc_lo
	v_add_co_u32 v22, vcc_lo, s14, v22
	v_lshlrev_b64 v[24:25], 2, v[5:6]
	v_add_nc_u32_e32 v5, 2, v12
	v_add_co_ci_u32_e64 v23, null, s15, v23, vcc_lo
	s_clause 0x1
	global_load_dword v8, v[20:21], off
	global_load_dword v40, v[22:23], off
	v_lshlrev_b64 v[20:21], 2, v[5:6]
	v_add_nc_u32_e32 v5, -14, v3
	v_add_co_u32 v22, vcc_lo, s12, v24
	v_add_co_ci_u32_e64 v23, null, s13, v25, vcc_lo
	v_lshlrev_b64 v[24:25], 2, v[5:6]
	v_add_nc_u32_e32 v5, 3, v12
	v_add_co_u32 v20, vcc_lo, s14, v20
	v_add_co_ci_u32_e64 v21, null, s15, v21, vcc_lo
	v_lshlrev_b64 v[26:27], 2, v[5:6]
	v_add_nc_u32_e32 v5, -12, v3
	global_load_dwordx2 v[22:23], v[22:23], off
	global_load_dword v41, v[20:21], off
	v_add_co_u32 v20, vcc_lo, s12, v24
	v_add_co_ci_u32_e64 v21, null, s13, v25, vcc_lo
	v_lshlrev_b64 v[24:25], 2, v[5:6]
	v_add_nc_u32_e32 v5, 4, v12
	v_add_co_u32 v26, vcc_lo, s14, v26
	v_add_co_ci_u32_e64 v27, null, s15, v27, vcc_lo
	v_lshlrev_b64 v[28:29], 2, v[5:6]
	v_add_co_u32 v24, vcc_lo, s12, v24
	v_add_co_ci_u32_e64 v25, null, s13, v25, vcc_lo
	v_add_nc_u32_e32 v5, -10, v3
	v_add_co_u32 v28, vcc_lo, s14, v28
	v_add_co_ci_u32_e64 v29, null, s15, v29, vcc_lo
	global_load_dword v42, v[26:27], off
	s_clause 0x1
	global_load_dwordx2 v[24:25], v[24:25], off
	global_load_dwordx2 v[20:21], v[20:21], off
	global_load_dword v43, v[28:29], off
	v_lshlrev_b64 v[26:27], 2, v[5:6]
	v_add_nc_u32_e32 v5, 5, v12
	v_lshlrev_b64 v[30:31], 2, v[5:6]
	v_add_nc_u32_e32 v5, -8, v3
	v_add_co_u32 v26, vcc_lo, s12, v26
	v_add_co_ci_u32_e64 v27, null, s13, v27, vcc_lo
	v_lshlrev_b64 v[28:29], 2, v[5:6]
	v_add_nc_u32_e32 v5, 6, v12
	v_add_co_u32 v30, vcc_lo, s14, v30
	v_add_co_ci_u32_e64 v31, null, s15, v31, vcc_lo
	v_lshlrev_b64 v[32:33], 2, v[5:6]
	v_add_co_u32 v28, vcc_lo, s12, v28
	v_add_co_ci_u32_e64 v29, null, s13, v29, vcc_lo
	v_add_nc_u32_e32 v5, -6, v3
	v_add_co_u32 v32, vcc_lo, s14, v32
	v_add_co_ci_u32_e64 v33, null, s15, v33, vcc_lo
	global_load_dword v44, v[30:31], off
	s_clause 0x1
	global_load_dwordx2 v[26:27], v[26:27], off
	global_load_dwordx2 v[28:29], v[28:29], off
	global_load_dword v45, v[32:33], off
	v_lshlrev_b64 v[30:31], 2, v[5:6]
	v_add_nc_u32_e32 v5, 7, v12
	v_lshlrev_b64 v[34:35], 2, v[5:6]
	v_add_nc_u32_e32 v5, -4, v3
	v_add_co_u32 v30, vcc_lo, s12, v30
	v_add_co_ci_u32_e64 v31, null, s13, v31, vcc_lo
	v_lshlrev_b64 v[32:33], 2, v[5:6]
	v_add_nc_u32_e32 v5, 8, v12
	v_add_co_u32 v34, vcc_lo, s14, v34
	v_add_co_ci_u32_e64 v35, null, s15, v35, vcc_lo
	v_lshlrev_b64 v[36:37], 2, v[5:6]
	v_add_co_u32 v32, vcc_lo, s12, v32
	v_add_co_ci_u32_e64 v33, null, s13, v33, vcc_lo
	v_add_nc_u32_e32 v5, -2, v3
	v_add_co_u32 v36, vcc_lo, s14, v36
	v_add_co_ci_u32_e64 v37, null, s15, v37, vcc_lo
	global_load_dword v46, v[34:35], off
	s_clause 0x1
	global_load_dwordx2 v[30:31], v[30:31], off
	global_load_dwordx2 v[32:33], v[32:33], off
	global_load_dword v36, v[36:37], off
	v_lshlrev_b64 v[34:35], 2, v[5:6]
	v_add_nc_u32_e32 v5, 9, v12
	v_add_nc_u32_e32 v3, 0xb0, v3
	v_lshlrev_b64 v[38:39], 2, v[5:6]
	v_add_nc_u32_e32 v5, 10, v12
	v_add_co_u32 v12, vcc_lo, s12, v34
	v_add_co_ci_u32_e64 v13, null, s13, v35, vcc_lo
	v_lshlrev_b64 v[4:5], 2, v[5:6]
	v_add_co_u32 v34, vcc_lo, s14, v38
	v_add_co_ci_u32_e64 v35, null, s15, v39, vcc_lo
	global_load_dwordx2 v[12:13], v[12:13], off
	global_load_dword v34, v[34:35], off
	v_add_co_u32 v4, vcc_lo, s14, v4
	v_add_co_ci_u32_e64 v5, null, s15, v5, vcc_lo
	global_load_dwordx2 v[16:17], v[16:17], off
	global_load_dword v4, v[4:5], off
	v_cmp_ge_i32_e32 vcc_lo, v7, v11
	s_or_b32 s3, vcc_lo, s3
	s_waitcnt vmcnt(19)
	v_fmac_f32_e32 v9, v14, v8
	v_fmac_f32_e32 v10, v15, v8
	s_waitcnt vmcnt(18)
	v_fmac_f32_e32 v9, v18, v40
	v_fmac_f32_e32 v10, v19, v40
	;; [unrolled: 3-line block ×11, first 2 shown]
	s_andn2_b32 exec_lo, exec_lo, s3
	s_cbranch_execnz .LBB46_9
; %bb.10:
	s_or_b32 exec_lo, exec_lo, s3
.LBB46_11:
	s_or_b32 exec_lo, exec_lo, s1
	s_cbranch_execz .LBB46_13
	s_branch .LBB46_18
.LBB46_12:
                                        ; implicit-def: $vgpr9
                                        ; implicit-def: $vgpr10
.LBB46_13:
	v_mov_b32_e32 v9, 0
	v_mov_b32_e32 v10, 0
	s_and_saveexec_b32 s1, s0
	s_cbranch_execz .LBB46_17
; %bb.14:
	v_mad_u64_u32 v[4:5], null, v2, 22, 21
	v_mov_b32_e32 v7, 0
	v_mov_b32_e32 v9, 0
	;; [unrolled: 1-line block ×3, first 2 shown]
	s_mov_b32 s0, 0
.LBB46_15:                              ; =>This Inner Loop Header: Depth=1
	v_ashrrev_i32_e32 v3, 31, v2
	v_add_nc_u32_e32 v12, -10, v4
	v_mov_b32_e32 v13, v7
	v_mov_b32_e32 v14, v7
	v_lshlrev_b64 v[5:6], 2, v[2:3]
	v_add_nc_u32_e32 v2, 8, v2
	v_lshlrev_b64 v[12:13], 2, v[12:13]
	v_add_co_u32 v5, vcc_lo, s10, v5
	v_add_co_ci_u32_e64 v6, null, s11, v6, vcc_lo
	global_load_dword v3, v[5:6], off
	v_subrev_nc_u32_e32 v6, 21, v4
	v_mov_b32_e32 v5, v7
	v_lshlrev_b64 v[15:16], 2, v[6:7]
	v_lshlrev_b64 v[5:6], 2, v[4:5]
	v_add_co_u32 v15, vcc_lo, s12, v15
	v_add_co_ci_u32_e64 v16, null, s13, v16, vcc_lo
	v_add_co_u32 v12, vcc_lo, s12, v12
	v_add_co_ci_u32_e64 v13, null, s13, v13, vcc_lo
	s_clause 0x1
	global_load_dwordx2 v[15:16], v[15:16], off
	global_load_dword v8, v[12:13], off
	v_add_co_u32 v17, vcc_lo, s12, v5
	v_add_co_ci_u32_e64 v18, null, s13, v6, vcc_lo
	s_waitcnt vmcnt(2)
	v_subrev_nc_u32_e32 v3, s18, v3
	v_mul_lo_u32 v13, v3, 11
	v_add_nc_u32_e32 v6, 1, v13
	v_lshlrev_b64 v[19:20], 2, v[13:14]
	v_lshlrev_b64 v[21:22], 2, v[6:7]
	v_add_nc_u32_e32 v6, -9, v4
	v_add_co_u32 v19, vcc_lo, s14, v19
	v_add_co_ci_u32_e64 v20, null, s15, v20, vcc_lo
	v_lshlrev_b64 v[23:24], 2, v[6:7]
	v_subrev_nc_u32_e32 v6, 19, v4
	global_load_dword v3, v[19:20], off
	v_add_co_u32 v19, vcc_lo, s14, v21
	v_add_co_ci_u32_e64 v20, null, s15, v22, vcc_lo
	v_lshlrev_b64 v[21:22], 2, v[6:7]
	v_add_nc_u32_e32 v6, 2, v13
	v_add_co_u32 v23, vcc_lo, s12, v23
	v_add_co_ci_u32_e64 v24, null, s13, v24, vcc_lo
	global_load_dword v14, v[19:20], off
	v_lshlrev_b64 v[19:20], 2, v[6:7]
	v_add_co_u32 v21, vcc_lo, s12, v21
	v_add_nc_u32_e32 v6, -8, v4
	v_add_co_ci_u32_e64 v22, null, s13, v22, vcc_lo
	v_add_co_u32 v19, vcc_lo, s14, v19
	s_clause 0x1
	global_load_dword v25, v[23:24], off
	global_load_dword v26, v[21:22], off
	v_lshlrev_b64 v[23:24], 2, v[6:7]
	v_add_co_ci_u32_e64 v20, null, s15, v20, vcc_lo
	v_subrev_nc_u32_e32 v6, 18, v4
	global_load_dword v27, v[19:20], off
	v_add_co_u32 v19, vcc_lo, s12, v23
	v_add_co_ci_u32_e64 v20, null, s13, v24, vcc_lo
	global_load_dword v28, v[19:20], off
	v_lshlrev_b64 v[21:22], 2, v[6:7]
	v_add_nc_u32_e32 v6, 3, v13
	v_lshlrev_b64 v[23:24], 2, v[6:7]
	v_add_nc_u32_e32 v6, -7, v4
	v_add_co_u32 v21, vcc_lo, s12, v21
	v_add_co_ci_u32_e64 v22, null, s13, v22, vcc_lo
	v_lshlrev_b64 v[19:20], 2, v[6:7]
	v_subrev_nc_u32_e32 v6, 17, v4
	global_load_dword v29, v[21:22], off
	v_add_co_u32 v21, vcc_lo, s14, v23
	v_add_co_ci_u32_e64 v22, null, s15, v24, vcc_lo
	v_lshlrev_b64 v[23:24], 2, v[6:7]
	v_add_nc_u32_e32 v6, 4, v13
	v_add_co_u32 v19, vcc_lo, s12, v19
	v_add_co_ci_u32_e64 v20, null, s13, v20, vcc_lo
	global_load_dword v30, v[21:22], off
	v_lshlrev_b64 v[21:22], 2, v[6:7]
	v_add_nc_u32_e32 v6, -6, v4
	global_load_dword v31, v[19:20], off
	v_add_co_u32 v19, vcc_lo, s12, v23
	v_add_co_ci_u32_e64 v20, null, s13, v24, vcc_lo
	v_lshlrev_b64 v[23:24], 2, v[6:7]
	v_add_nc_u32_e32 v6, -16, v4
	v_add_co_u32 v21, vcc_lo, s14, v21
	v_add_co_ci_u32_e64 v22, null, s15, v22, vcc_lo
	global_load_dword v32, v[19:20], off
	v_lshlrev_b64 v[19:20], 2, v[6:7]
	v_add_nc_u32_e32 v6, 5, v13
	global_load_dword v33, v[21:22], off
	v_add_co_u32 v21, vcc_lo, s12, v23
	v_add_co_ci_u32_e64 v22, null, s13, v24, vcc_lo
	v_add_co_u32 v19, vcc_lo, s12, v19
	v_lshlrev_b64 v[23:24], 2, v[6:7]
	v_add_nc_u32_e32 v6, -5, v4
	v_add_co_ci_u32_e64 v20, null, s13, v20, vcc_lo
	s_clause 0x1
	global_load_dword v34, v[21:22], off
	global_load_dword v35, v[19:20], off
	v_lshlrev_b64 v[21:22], 2, v[6:7]
	v_add_nc_u32_e32 v6, -15, v4
	v_add_co_u32 v19, vcc_lo, s14, v23
	v_add_co_ci_u32_e64 v20, null, s15, v24, vcc_lo
	v_lshlrev_b64 v[23:24], 2, v[6:7]
	v_add_nc_u32_e32 v6, 6, v13
	v_add_co_u32 v21, vcc_lo, s12, v21
	v_add_co_ci_u32_e64 v22, null, s13, v22, vcc_lo
	global_load_dword v36, v[19:20], off
	v_lshlrev_b64 v[19:20], 2, v[6:7]
	v_add_nc_u32_e32 v6, -4, v4
	global_load_dword v37, v[21:22], off
	v_add_co_u32 v21, vcc_lo, s12, v23
	v_add_co_ci_u32_e64 v22, null, s13, v24, vcc_lo
	v_add_co_u32 v19, vcc_lo, s14, v19
	v_lshlrev_b64 v[23:24], 2, v[6:7]
	v_add_co_ci_u32_e64 v20, null, s15, v20, vcc_lo
	v_add_nc_u32_e32 v6, -14, v4
	global_load_dword v38, v[21:22], off
	global_load_dword v39, v[19:20], off
	v_add_co_u32 v19, vcc_lo, s12, v23
	v_add_co_ci_u32_e64 v20, null, s13, v24, vcc_lo
	global_load_dword v40, v[19:20], off
	v_lshlrev_b64 v[21:22], 2, v[6:7]
	v_add_nc_u32_e32 v6, 7, v13
	v_lshlrev_b64 v[23:24], 2, v[6:7]
	v_add_nc_u32_e32 v6, -3, v4
	v_add_co_u32 v21, vcc_lo, s12, v21
	v_add_co_ci_u32_e64 v22, null, s13, v22, vcc_lo
	v_lshlrev_b64 v[19:20], 2, v[6:7]
	v_add_nc_u32_e32 v6, -13, v4
	global_load_dword v41, v[21:22], off
	v_add_co_u32 v21, vcc_lo, s14, v23
	v_add_co_ci_u32_e64 v22, null, s15, v24, vcc_lo
	v_lshlrev_b64 v[23:24], 2, v[6:7]
	v_add_nc_u32_e32 v6, 8, v13
	v_add_co_u32 v19, vcc_lo, s12, v19
	v_add_co_ci_u32_e64 v20, null, s13, v20, vcc_lo
	global_load_dword v42, v[21:22], off
	v_lshlrev_b64 v[21:22], 2, v[6:7]
	v_add_nc_u32_e32 v6, -2, v4
	global_load_dword v43, v[19:20], off
	v_add_co_u32 v19, vcc_lo, s12, v23
	v_add_co_ci_u32_e64 v20, null, s13, v24, vcc_lo
	v_lshlrev_b64 v[23:24], 2, v[6:7]
	v_add_nc_u32_e32 v6, -12, v4
	v_add_co_u32 v21, vcc_lo, s14, v21
	v_add_co_ci_u32_e64 v22, null, s15, v22, vcc_lo
	global_load_dword v44, v[19:20], off
	v_lshlrev_b64 v[19:20], 2, v[6:7]
	v_add_nc_u32_e32 v6, 9, v13
	global_load_dword v45, v[21:22], off
	v_add_co_u32 v21, vcc_lo, s12, v23
	v_add_co_ci_u32_e64 v22, null, s13, v24, vcc_lo
	v_add_co_u32 v19, vcc_lo, s12, v19
	v_lshlrev_b64 v[23:24], 2, v[6:7]
	v_add_nc_u32_e32 v6, -1, v4
	v_add_co_ci_u32_e64 v20, null, s13, v20, vcc_lo
	s_clause 0x1
	global_load_dword v46, v[21:22], off
	global_load_dword v47, v[19:20], off
	v_lshlrev_b64 v[21:22], 2, v[6:7]
	v_add_nc_u32_e32 v6, -11, v4
	v_add_co_u32 v19, vcc_lo, s14, v23
	v_add_co_ci_u32_e64 v20, null, s15, v24, vcc_lo
	v_lshlrev_b64 v[23:24], 2, v[6:7]
	v_add_nc_u32_e32 v6, 10, v13
	v_add_co_u32 v12, vcc_lo, s12, v21
	v_add_co_ci_u32_e64 v13, null, s13, v22, vcc_lo
	v_lshlrev_b64 v[5:6], 2, v[6:7]
	global_load_dword v19, v[19:20], off
	v_add_nc_u32_e32 v4, 0xb0, v4
	global_load_dword v20, v[12:13], off
	v_add_co_u32 v12, vcc_lo, s12, v23
	v_add_co_ci_u32_e64 v13, null, s13, v24, vcc_lo
	v_add_co_u32 v5, vcc_lo, s14, v5
	v_add_co_ci_u32_e64 v6, null, s15, v6, vcc_lo
	s_clause 0x1
	global_load_dword v17, v[17:18], off
	global_load_dword v12, v[12:13], off
	global_load_dword v5, v[5:6], off
	v_cmp_ge_i32_e32 vcc_lo, v2, v11
	s_or_b32 s0, vcc_lo, s0
	s_waitcnt vmcnt(29)
	v_fmac_f32_e32 v9, v15, v3
	v_fmac_f32_e32 v10, v8, v3
	s_waitcnt vmcnt(28)
	v_fmac_f32_e32 v9, v16, v14
	s_waitcnt vmcnt(27)
	;; [unrolled: 2-line block ×19, first 2 shown]
	v_fmac_f32_e32 v9, v12, v5
	v_fmac_f32_e32 v10, v17, v5
	s_andn2_b32 exec_lo, exec_lo, s0
	s_cbranch_execnz .LBB46_15
; %bb.16:
	s_or_b32 exec_lo, exec_lo, s0
.LBB46_17:
	s_or_b32 exec_lo, exec_lo, s1
.LBB46_18:
	v_mbcnt_lo_u32_b32 v2, -1, 0
	s_mov_b32 s3, -1
	v_xor_b32_e32 v3, 4, v2
	v_xor_b32_e32 v5, 2, v2
	;; [unrolled: 1-line block ×3, first 2 shown]
	v_cmp_gt_i32_e32 vcc_lo, 32, v3
	v_cndmask_b32_e32 v3, v2, v3, vcc_lo
	v_cmp_gt_i32_e32 vcc_lo, 32, v5
	v_lshlrev_b32_e32 v3, 2, v3
	v_cndmask_b32_e32 v5, v2, v5, vcc_lo
	v_cmp_gt_i32_e32 vcc_lo, 32, v7
	ds_bpermute_b32 v4, v3, v9
	ds_bpermute_b32 v3, v3, v10
	v_lshlrev_b32_e32 v5, 2, v5
	v_cndmask_b32_e32 v2, v2, v7, vcc_lo
	v_cmp_eq_u32_e32 vcc_lo, 7, v0
	v_lshlrev_b32_e32 v7, 2, v2
	s_waitcnt lgkmcnt(1)
	v_add_f32_e32 v4, v9, v4
	s_waitcnt lgkmcnt(0)
	v_add_f32_e32 v3, v10, v3
	ds_bpermute_b32 v6, v5, v4
	ds_bpermute_b32 v5, v5, v3
	s_waitcnt lgkmcnt(1)
	v_add_f32_e32 v2, v4, v6
	s_waitcnt lgkmcnt(0)
	v_add_f32_e32 v3, v3, v5
	ds_bpermute_b32 v4, v7, v2
	ds_bpermute_b32 v5, v7, v3
	s_and_b32 exec_lo, exec_lo, vcc_lo
	s_cbranch_execz .LBB46_23
; %bb.19:
	s_load_dwordx2 s[0:1], s[4:5], 0x38
	s_waitcnt lgkmcnt(0)
	v_add_f32_e32 v0, v2, v4
	v_add_f32_e32 v3, v3, v5
	v_cmp_eq_f32_e64 s4, s2, 0
	v_mul_f32_e32 v2, s16, v0
	v_mul_f32_e32 v3, s16, v3
	v_lshlrev_b32_e32 v0, 1, v1
	s_and_b32 vcc_lo, exec_lo, s4
	s_cbranch_vccz .LBB46_21
; %bb.20:
	v_ashrrev_i32_e32 v1, 31, v0
	s_mov_b32 s3, 0
	v_lshlrev_b64 v[4:5], 2, v[0:1]
	v_add_co_u32 v4, vcc_lo, s0, v4
	v_add_co_ci_u32_e64 v5, null, s1, v5, vcc_lo
	global_store_dwordx2 v[4:5], v[2:3], off
.LBB46_21:
	s_andn2_b32 vcc_lo, exec_lo, s3
	s_cbranch_vccnz .LBB46_23
; %bb.22:
	v_ashrrev_i32_e32 v1, 31, v0
	v_lshlrev_b64 v[0:1], 2, v[0:1]
	v_add_co_u32 v0, vcc_lo, s0, v0
	v_add_co_ci_u32_e64 v1, null, s1, v1, vcc_lo
	global_load_dwordx2 v[4:5], v[0:1], off
	s_waitcnt vmcnt(0)
	v_fmac_f32_e32 v2, s2, v4
	v_fmac_f32_e32 v3, s2, v5
	global_store_dwordx2 v[0:1], v[2:3], off
.LBB46_23:
	s_endpgm
	.section	.rodata,"a",@progbits
	.p2align	6, 0x0
	.amdhsa_kernel _ZN9rocsparseL19gebsrmvn_2xn_kernelILj128ELj11ELj8EfEEvi20rocsparse_direction_NS_24const_host_device_scalarIT2_EEPKiS6_PKS3_S8_S4_PS3_21rocsparse_index_base_b
		.amdhsa_group_segment_fixed_size 0
		.amdhsa_private_segment_fixed_size 0
		.amdhsa_kernarg_size 72
		.amdhsa_user_sgpr_count 6
		.amdhsa_user_sgpr_private_segment_buffer 1
		.amdhsa_user_sgpr_dispatch_ptr 0
		.amdhsa_user_sgpr_queue_ptr 0
		.amdhsa_user_sgpr_kernarg_segment_ptr 1
		.amdhsa_user_sgpr_dispatch_id 0
		.amdhsa_user_sgpr_flat_scratch_init 0
		.amdhsa_user_sgpr_private_segment_size 0
		.amdhsa_wavefront_size32 1
		.amdhsa_uses_dynamic_stack 0
		.amdhsa_system_sgpr_private_segment_wavefront_offset 0
		.amdhsa_system_sgpr_workgroup_id_x 1
		.amdhsa_system_sgpr_workgroup_id_y 0
		.amdhsa_system_sgpr_workgroup_id_z 0
		.amdhsa_system_sgpr_workgroup_info 0
		.amdhsa_system_vgpr_workitem_id 0
		.amdhsa_next_free_vgpr 48
		.amdhsa_next_free_sgpr 20
		.amdhsa_reserve_vcc 1
		.amdhsa_reserve_flat_scratch 0
		.amdhsa_float_round_mode_32 0
		.amdhsa_float_round_mode_16_64 0
		.amdhsa_float_denorm_mode_32 3
		.amdhsa_float_denorm_mode_16_64 3
		.amdhsa_dx10_clamp 1
		.amdhsa_ieee_mode 1
		.amdhsa_fp16_overflow 0
		.amdhsa_workgroup_processor_mode 1
		.amdhsa_memory_ordered 1
		.amdhsa_forward_progress 1
		.amdhsa_shared_vgpr_count 0
		.amdhsa_exception_fp_ieee_invalid_op 0
		.amdhsa_exception_fp_denorm_src 0
		.amdhsa_exception_fp_ieee_div_zero 0
		.amdhsa_exception_fp_ieee_overflow 0
		.amdhsa_exception_fp_ieee_underflow 0
		.amdhsa_exception_fp_ieee_inexact 0
		.amdhsa_exception_int_div_zero 0
	.end_amdhsa_kernel
	.section	.text._ZN9rocsparseL19gebsrmvn_2xn_kernelILj128ELj11ELj8EfEEvi20rocsparse_direction_NS_24const_host_device_scalarIT2_EEPKiS6_PKS3_S8_S4_PS3_21rocsparse_index_base_b,"axG",@progbits,_ZN9rocsparseL19gebsrmvn_2xn_kernelILj128ELj11ELj8EfEEvi20rocsparse_direction_NS_24const_host_device_scalarIT2_EEPKiS6_PKS3_S8_S4_PS3_21rocsparse_index_base_b,comdat
.Lfunc_end46:
	.size	_ZN9rocsparseL19gebsrmvn_2xn_kernelILj128ELj11ELj8EfEEvi20rocsparse_direction_NS_24const_host_device_scalarIT2_EEPKiS6_PKS3_S8_S4_PS3_21rocsparse_index_base_b, .Lfunc_end46-_ZN9rocsparseL19gebsrmvn_2xn_kernelILj128ELj11ELj8EfEEvi20rocsparse_direction_NS_24const_host_device_scalarIT2_EEPKiS6_PKS3_S8_S4_PS3_21rocsparse_index_base_b
                                        ; -- End function
	.set _ZN9rocsparseL19gebsrmvn_2xn_kernelILj128ELj11ELj8EfEEvi20rocsparse_direction_NS_24const_host_device_scalarIT2_EEPKiS6_PKS3_S8_S4_PS3_21rocsparse_index_base_b.num_vgpr, 48
	.set _ZN9rocsparseL19gebsrmvn_2xn_kernelILj128ELj11ELj8EfEEvi20rocsparse_direction_NS_24const_host_device_scalarIT2_EEPKiS6_PKS3_S8_S4_PS3_21rocsparse_index_base_b.num_agpr, 0
	.set _ZN9rocsparseL19gebsrmvn_2xn_kernelILj128ELj11ELj8EfEEvi20rocsparse_direction_NS_24const_host_device_scalarIT2_EEPKiS6_PKS3_S8_S4_PS3_21rocsparse_index_base_b.numbered_sgpr, 20
	.set _ZN9rocsparseL19gebsrmvn_2xn_kernelILj128ELj11ELj8EfEEvi20rocsparse_direction_NS_24const_host_device_scalarIT2_EEPKiS6_PKS3_S8_S4_PS3_21rocsparse_index_base_b.num_named_barrier, 0
	.set _ZN9rocsparseL19gebsrmvn_2xn_kernelILj128ELj11ELj8EfEEvi20rocsparse_direction_NS_24const_host_device_scalarIT2_EEPKiS6_PKS3_S8_S4_PS3_21rocsparse_index_base_b.private_seg_size, 0
	.set _ZN9rocsparseL19gebsrmvn_2xn_kernelILj128ELj11ELj8EfEEvi20rocsparse_direction_NS_24const_host_device_scalarIT2_EEPKiS6_PKS3_S8_S4_PS3_21rocsparse_index_base_b.uses_vcc, 1
	.set _ZN9rocsparseL19gebsrmvn_2xn_kernelILj128ELj11ELj8EfEEvi20rocsparse_direction_NS_24const_host_device_scalarIT2_EEPKiS6_PKS3_S8_S4_PS3_21rocsparse_index_base_b.uses_flat_scratch, 0
	.set _ZN9rocsparseL19gebsrmvn_2xn_kernelILj128ELj11ELj8EfEEvi20rocsparse_direction_NS_24const_host_device_scalarIT2_EEPKiS6_PKS3_S8_S4_PS3_21rocsparse_index_base_b.has_dyn_sized_stack, 0
	.set _ZN9rocsparseL19gebsrmvn_2xn_kernelILj128ELj11ELj8EfEEvi20rocsparse_direction_NS_24const_host_device_scalarIT2_EEPKiS6_PKS3_S8_S4_PS3_21rocsparse_index_base_b.has_recursion, 0
	.set _ZN9rocsparseL19gebsrmvn_2xn_kernelILj128ELj11ELj8EfEEvi20rocsparse_direction_NS_24const_host_device_scalarIT2_EEPKiS6_PKS3_S8_S4_PS3_21rocsparse_index_base_b.has_indirect_call, 0
	.section	.AMDGPU.csdata,"",@progbits
; Kernel info:
; codeLenInByte = 3092
; TotalNumSgprs: 22
; NumVgprs: 48
; ScratchSize: 0
; MemoryBound: 0
; FloatMode: 240
; IeeeMode: 1
; LDSByteSize: 0 bytes/workgroup (compile time only)
; SGPRBlocks: 0
; VGPRBlocks: 5
; NumSGPRsForWavesPerEU: 22
; NumVGPRsForWavesPerEU: 48
; Occupancy: 16
; WaveLimiterHint : 1
; COMPUTE_PGM_RSRC2:SCRATCH_EN: 0
; COMPUTE_PGM_RSRC2:USER_SGPR: 6
; COMPUTE_PGM_RSRC2:TRAP_HANDLER: 0
; COMPUTE_PGM_RSRC2:TGID_X_EN: 1
; COMPUTE_PGM_RSRC2:TGID_Y_EN: 0
; COMPUTE_PGM_RSRC2:TGID_Z_EN: 0
; COMPUTE_PGM_RSRC2:TIDIG_COMP_CNT: 0
	.section	.text._ZN9rocsparseL19gebsrmvn_2xn_kernelILj128ELj11ELj16EfEEvi20rocsparse_direction_NS_24const_host_device_scalarIT2_EEPKiS6_PKS3_S8_S4_PS3_21rocsparse_index_base_b,"axG",@progbits,_ZN9rocsparseL19gebsrmvn_2xn_kernelILj128ELj11ELj16EfEEvi20rocsparse_direction_NS_24const_host_device_scalarIT2_EEPKiS6_PKS3_S8_S4_PS3_21rocsparse_index_base_b,comdat
	.globl	_ZN9rocsparseL19gebsrmvn_2xn_kernelILj128ELj11ELj16EfEEvi20rocsparse_direction_NS_24const_host_device_scalarIT2_EEPKiS6_PKS3_S8_S4_PS3_21rocsparse_index_base_b ; -- Begin function _ZN9rocsparseL19gebsrmvn_2xn_kernelILj128ELj11ELj16EfEEvi20rocsparse_direction_NS_24const_host_device_scalarIT2_EEPKiS6_PKS3_S8_S4_PS3_21rocsparse_index_base_b
	.p2align	8
	.type	_ZN9rocsparseL19gebsrmvn_2xn_kernelILj128ELj11ELj16EfEEvi20rocsparse_direction_NS_24const_host_device_scalarIT2_EEPKiS6_PKS3_S8_S4_PS3_21rocsparse_index_base_b,@function
_ZN9rocsparseL19gebsrmvn_2xn_kernelILj128ELj11ELj16EfEEvi20rocsparse_direction_NS_24const_host_device_scalarIT2_EEPKiS6_PKS3_S8_S4_PS3_21rocsparse_index_base_b: ; @_ZN9rocsparseL19gebsrmvn_2xn_kernelILj128ELj11ELj16EfEEvi20rocsparse_direction_NS_24const_host_device_scalarIT2_EEPKiS6_PKS3_S8_S4_PS3_21rocsparse_index_base_b
; %bb.0:
	s_clause 0x2
	s_load_dwordx2 s[18:19], s[4:5], 0x40
	s_load_dwordx2 s[16:17], s[4:5], 0x8
	;; [unrolled: 1-line block ×3, first 2 shown]
	s_waitcnt lgkmcnt(0)
	s_bitcmp1_b32 s19, 0
	s_cselect_b32 s0, -1, 0
	s_and_b32 vcc_lo, exec_lo, s0
	s_xor_b32 s0, s0, -1
	s_cbranch_vccnz .LBB47_2
; %bb.1:
	s_load_dword s16, s[16:17], 0x0
.LBB47_2:
	s_andn2_b32 vcc_lo, exec_lo, s0
	s_cbranch_vccnz .LBB47_4
; %bb.3:
	s_load_dword s2, s[2:3], 0x0
.LBB47_4:
	s_waitcnt lgkmcnt(0)
	v_cmp_eq_f32_e64 s0, s16, 0
	v_cmp_eq_f32_e64 s1, s2, 1.0
	s_and_b32 s0, s0, s1
	s_and_b32 vcc_lo, exec_lo, s0
	s_cbranch_vccnz .LBB47_23
; %bb.5:
	s_load_dwordx2 s[0:1], s[4:5], 0x0
	v_lshrrev_b32_e32 v1, 4, v0
	v_lshl_or_b32 v1, s6, 3, v1
	s_waitcnt lgkmcnt(0)
	v_cmp_gt_i32_e32 vcc_lo, s0, v1
	s_and_saveexec_b32 s0, vcc_lo
	s_cbranch_execz .LBB47_23
; %bb.6:
	s_load_dwordx8 s[8:15], s[4:5], 0x10
	v_ashrrev_i32_e32 v2, 31, v1
	v_and_b32_e32 v0, 15, v0
	s_cmp_lg_u32 s1, 0
	v_lshlrev_b64 v[2:3], 2, v[1:2]
	s_waitcnt lgkmcnt(0)
	v_add_co_u32 v2, vcc_lo, s8, v2
	v_add_co_ci_u32_e64 v3, null, s9, v3, vcc_lo
	global_load_dwordx2 v[2:3], v[2:3], off
	s_waitcnt vmcnt(0)
	v_subrev_nc_u32_e32 v2, s18, v2
	v_subrev_nc_u32_e32 v11, s18, v3
	v_add_nc_u32_e32 v2, v2, v0
	v_cmp_lt_i32_e64 s0, v2, v11
	s_cbranch_scc0 .LBB47_12
; %bb.7:
	v_mov_b32_e32 v9, 0
	v_mov_b32_e32 v10, 0
	s_and_saveexec_b32 s1, s0
	s_cbranch_execz .LBB47_11
; %bb.8:
	v_mad_u64_u32 v[3:4], null, v2, 22, 20
	v_mov_b32_e32 v6, 0
	v_mov_b32_e32 v7, v2
	;; [unrolled: 1-line block ×4, first 2 shown]
	s_mov_b32 s3, 0
.LBB47_9:                               ; =>This Inner Loop Header: Depth=1
	v_ashrrev_i32_e32 v8, 31, v7
	v_mov_b32_e32 v13, v6
	v_lshlrev_b64 v[4:5], 2, v[7:8]
	v_add_nc_u32_e32 v7, 16, v7
	v_add_co_u32 v4, vcc_lo, s10, v4
	v_add_co_ci_u32_e64 v5, null, s11, v5, vcc_lo
	global_load_dword v8, v[4:5], off
	v_subrev_nc_u32_e32 v5, 20, v3
	v_mov_b32_e32 v4, v6
	v_lshlrev_b64 v[14:15], 2, v[5:6]
	v_subrev_nc_u32_e32 v5, 18, v3
	v_lshlrev_b64 v[16:17], 2, v[3:4]
	v_lshlrev_b64 v[4:5], 2, v[5:6]
	v_add_co_u32 v14, vcc_lo, s12, v14
	v_add_co_ci_u32_e64 v15, null, s13, v15, vcc_lo
	v_add_co_u32 v16, vcc_lo, s12, v16
	v_add_co_ci_u32_e64 v17, null, s13, v17, vcc_lo
	v_add_co_u32 v4, vcc_lo, s12, v4
	v_add_co_ci_u32_e64 v5, null, s13, v5, vcc_lo
	s_clause 0x1
	global_load_dwordx2 v[14:15], v[14:15], off
	global_load_dwordx2 v[18:19], v[4:5], off
	s_waitcnt vmcnt(2)
	v_subrev_nc_u32_e32 v4, s18, v8
	v_mul_lo_u32 v12, v4, 11
	v_add_nc_u32_e32 v5, 1, v12
	v_lshlrev_b64 v[20:21], 2, v[12:13]
	v_lshlrev_b64 v[22:23], 2, v[5:6]
	v_add_nc_u32_e32 v5, -16, v3
	v_add_co_u32 v20, vcc_lo, s14, v20
	v_add_co_ci_u32_e64 v21, null, s15, v21, vcc_lo
	v_add_co_u32 v22, vcc_lo, s14, v22
	v_lshlrev_b64 v[24:25], 2, v[5:6]
	v_add_nc_u32_e32 v5, 2, v12
	v_add_co_ci_u32_e64 v23, null, s15, v23, vcc_lo
	s_clause 0x1
	global_load_dword v8, v[20:21], off
	global_load_dword v40, v[22:23], off
	v_lshlrev_b64 v[20:21], 2, v[5:6]
	v_add_nc_u32_e32 v5, -14, v3
	v_add_co_u32 v22, vcc_lo, s12, v24
	v_add_co_ci_u32_e64 v23, null, s13, v25, vcc_lo
	v_lshlrev_b64 v[24:25], 2, v[5:6]
	v_add_nc_u32_e32 v5, 3, v12
	v_add_co_u32 v20, vcc_lo, s14, v20
	v_add_co_ci_u32_e64 v21, null, s15, v21, vcc_lo
	v_lshlrev_b64 v[26:27], 2, v[5:6]
	v_add_nc_u32_e32 v5, -12, v3
	global_load_dwordx2 v[22:23], v[22:23], off
	global_load_dword v41, v[20:21], off
	v_add_co_u32 v20, vcc_lo, s12, v24
	v_add_co_ci_u32_e64 v21, null, s13, v25, vcc_lo
	v_lshlrev_b64 v[24:25], 2, v[5:6]
	v_add_nc_u32_e32 v5, 4, v12
	v_add_co_u32 v26, vcc_lo, s14, v26
	v_add_co_ci_u32_e64 v27, null, s15, v27, vcc_lo
	v_lshlrev_b64 v[28:29], 2, v[5:6]
	v_add_co_u32 v24, vcc_lo, s12, v24
	v_add_co_ci_u32_e64 v25, null, s13, v25, vcc_lo
	v_add_nc_u32_e32 v5, -10, v3
	v_add_co_u32 v28, vcc_lo, s14, v28
	v_add_co_ci_u32_e64 v29, null, s15, v29, vcc_lo
	global_load_dword v42, v[26:27], off
	s_clause 0x1
	global_load_dwordx2 v[24:25], v[24:25], off
	global_load_dwordx2 v[20:21], v[20:21], off
	global_load_dword v43, v[28:29], off
	v_lshlrev_b64 v[26:27], 2, v[5:6]
	v_add_nc_u32_e32 v5, 5, v12
	v_lshlrev_b64 v[30:31], 2, v[5:6]
	v_add_nc_u32_e32 v5, -8, v3
	v_add_co_u32 v26, vcc_lo, s12, v26
	v_add_co_ci_u32_e64 v27, null, s13, v27, vcc_lo
	v_lshlrev_b64 v[28:29], 2, v[5:6]
	v_add_nc_u32_e32 v5, 6, v12
	v_add_co_u32 v30, vcc_lo, s14, v30
	v_add_co_ci_u32_e64 v31, null, s15, v31, vcc_lo
	v_lshlrev_b64 v[32:33], 2, v[5:6]
	v_add_co_u32 v28, vcc_lo, s12, v28
	v_add_co_ci_u32_e64 v29, null, s13, v29, vcc_lo
	v_add_nc_u32_e32 v5, -6, v3
	v_add_co_u32 v32, vcc_lo, s14, v32
	v_add_co_ci_u32_e64 v33, null, s15, v33, vcc_lo
	global_load_dword v44, v[30:31], off
	s_clause 0x1
	global_load_dwordx2 v[26:27], v[26:27], off
	global_load_dwordx2 v[28:29], v[28:29], off
	global_load_dword v45, v[32:33], off
	v_lshlrev_b64 v[30:31], 2, v[5:6]
	v_add_nc_u32_e32 v5, 7, v12
	v_lshlrev_b64 v[34:35], 2, v[5:6]
	v_add_nc_u32_e32 v5, -4, v3
	v_add_co_u32 v30, vcc_lo, s12, v30
	v_add_co_ci_u32_e64 v31, null, s13, v31, vcc_lo
	v_lshlrev_b64 v[32:33], 2, v[5:6]
	v_add_nc_u32_e32 v5, 8, v12
	v_add_co_u32 v34, vcc_lo, s14, v34
	v_add_co_ci_u32_e64 v35, null, s15, v35, vcc_lo
	v_lshlrev_b64 v[36:37], 2, v[5:6]
	v_add_co_u32 v32, vcc_lo, s12, v32
	v_add_co_ci_u32_e64 v33, null, s13, v33, vcc_lo
	v_add_nc_u32_e32 v5, -2, v3
	v_add_co_u32 v36, vcc_lo, s14, v36
	v_add_co_ci_u32_e64 v37, null, s15, v37, vcc_lo
	global_load_dword v46, v[34:35], off
	s_clause 0x1
	global_load_dwordx2 v[30:31], v[30:31], off
	global_load_dwordx2 v[32:33], v[32:33], off
	global_load_dword v36, v[36:37], off
	v_lshlrev_b64 v[34:35], 2, v[5:6]
	v_add_nc_u32_e32 v5, 9, v12
	v_add_nc_u32_e32 v3, 0x160, v3
	v_lshlrev_b64 v[38:39], 2, v[5:6]
	v_add_nc_u32_e32 v5, 10, v12
	v_add_co_u32 v12, vcc_lo, s12, v34
	v_add_co_ci_u32_e64 v13, null, s13, v35, vcc_lo
	v_lshlrev_b64 v[4:5], 2, v[5:6]
	v_add_co_u32 v34, vcc_lo, s14, v38
	v_add_co_ci_u32_e64 v35, null, s15, v39, vcc_lo
	global_load_dwordx2 v[12:13], v[12:13], off
	global_load_dword v34, v[34:35], off
	v_add_co_u32 v4, vcc_lo, s14, v4
	v_add_co_ci_u32_e64 v5, null, s15, v5, vcc_lo
	global_load_dwordx2 v[16:17], v[16:17], off
	global_load_dword v4, v[4:5], off
	v_cmp_ge_i32_e32 vcc_lo, v7, v11
	s_or_b32 s3, vcc_lo, s3
	s_waitcnt vmcnt(19)
	v_fmac_f32_e32 v9, v14, v8
	v_fmac_f32_e32 v10, v15, v8
	s_waitcnt vmcnt(18)
	v_fmac_f32_e32 v9, v18, v40
	v_fmac_f32_e32 v10, v19, v40
	;; [unrolled: 3-line block ×11, first 2 shown]
	s_andn2_b32 exec_lo, exec_lo, s3
	s_cbranch_execnz .LBB47_9
; %bb.10:
	s_or_b32 exec_lo, exec_lo, s3
.LBB47_11:
	s_or_b32 exec_lo, exec_lo, s1
	s_cbranch_execz .LBB47_13
	s_branch .LBB47_18
.LBB47_12:
                                        ; implicit-def: $vgpr9
                                        ; implicit-def: $vgpr10
.LBB47_13:
	v_mov_b32_e32 v9, 0
	v_mov_b32_e32 v10, 0
	s_and_saveexec_b32 s1, s0
	s_cbranch_execz .LBB47_17
; %bb.14:
	v_mad_u64_u32 v[4:5], null, v2, 22, 21
	v_mov_b32_e32 v7, 0
	v_mov_b32_e32 v9, 0
	v_mov_b32_e32 v10, 0
	s_mov_b32 s0, 0
.LBB47_15:                              ; =>This Inner Loop Header: Depth=1
	v_ashrrev_i32_e32 v3, 31, v2
	v_add_nc_u32_e32 v12, -10, v4
	v_mov_b32_e32 v13, v7
	v_mov_b32_e32 v14, v7
	v_lshlrev_b64 v[5:6], 2, v[2:3]
	v_add_nc_u32_e32 v2, 16, v2
	v_lshlrev_b64 v[12:13], 2, v[12:13]
	v_add_co_u32 v5, vcc_lo, s10, v5
	v_add_co_ci_u32_e64 v6, null, s11, v6, vcc_lo
	global_load_dword v3, v[5:6], off
	v_subrev_nc_u32_e32 v6, 21, v4
	v_mov_b32_e32 v5, v7
	v_lshlrev_b64 v[15:16], 2, v[6:7]
	v_lshlrev_b64 v[5:6], 2, v[4:5]
	v_add_co_u32 v15, vcc_lo, s12, v15
	v_add_co_ci_u32_e64 v16, null, s13, v16, vcc_lo
	v_add_co_u32 v12, vcc_lo, s12, v12
	v_add_co_ci_u32_e64 v13, null, s13, v13, vcc_lo
	s_clause 0x1
	global_load_dwordx2 v[15:16], v[15:16], off
	global_load_dword v8, v[12:13], off
	v_add_co_u32 v17, vcc_lo, s12, v5
	v_add_co_ci_u32_e64 v18, null, s13, v6, vcc_lo
	s_waitcnt vmcnt(2)
	v_subrev_nc_u32_e32 v3, s18, v3
	v_mul_lo_u32 v13, v3, 11
	v_add_nc_u32_e32 v6, 1, v13
	v_lshlrev_b64 v[19:20], 2, v[13:14]
	v_lshlrev_b64 v[21:22], 2, v[6:7]
	v_add_nc_u32_e32 v6, -9, v4
	v_add_co_u32 v19, vcc_lo, s14, v19
	v_add_co_ci_u32_e64 v20, null, s15, v20, vcc_lo
	v_lshlrev_b64 v[23:24], 2, v[6:7]
	v_subrev_nc_u32_e32 v6, 19, v4
	global_load_dword v3, v[19:20], off
	v_add_co_u32 v19, vcc_lo, s14, v21
	v_add_co_ci_u32_e64 v20, null, s15, v22, vcc_lo
	v_lshlrev_b64 v[21:22], 2, v[6:7]
	v_add_nc_u32_e32 v6, 2, v13
	v_add_co_u32 v23, vcc_lo, s12, v23
	v_add_co_ci_u32_e64 v24, null, s13, v24, vcc_lo
	global_load_dword v14, v[19:20], off
	v_lshlrev_b64 v[19:20], 2, v[6:7]
	v_add_co_u32 v21, vcc_lo, s12, v21
	v_add_nc_u32_e32 v6, -8, v4
	v_add_co_ci_u32_e64 v22, null, s13, v22, vcc_lo
	v_add_co_u32 v19, vcc_lo, s14, v19
	s_clause 0x1
	global_load_dword v25, v[23:24], off
	global_load_dword v26, v[21:22], off
	v_lshlrev_b64 v[23:24], 2, v[6:7]
	v_add_co_ci_u32_e64 v20, null, s15, v20, vcc_lo
	v_subrev_nc_u32_e32 v6, 18, v4
	global_load_dword v27, v[19:20], off
	v_add_co_u32 v19, vcc_lo, s12, v23
	v_add_co_ci_u32_e64 v20, null, s13, v24, vcc_lo
	global_load_dword v28, v[19:20], off
	v_lshlrev_b64 v[21:22], 2, v[6:7]
	v_add_nc_u32_e32 v6, 3, v13
	v_lshlrev_b64 v[23:24], 2, v[6:7]
	v_add_nc_u32_e32 v6, -7, v4
	v_add_co_u32 v21, vcc_lo, s12, v21
	v_add_co_ci_u32_e64 v22, null, s13, v22, vcc_lo
	v_lshlrev_b64 v[19:20], 2, v[6:7]
	v_subrev_nc_u32_e32 v6, 17, v4
	global_load_dword v29, v[21:22], off
	v_add_co_u32 v21, vcc_lo, s14, v23
	v_add_co_ci_u32_e64 v22, null, s15, v24, vcc_lo
	v_lshlrev_b64 v[23:24], 2, v[6:7]
	v_add_nc_u32_e32 v6, 4, v13
	v_add_co_u32 v19, vcc_lo, s12, v19
	v_add_co_ci_u32_e64 v20, null, s13, v20, vcc_lo
	global_load_dword v30, v[21:22], off
	v_lshlrev_b64 v[21:22], 2, v[6:7]
	v_add_nc_u32_e32 v6, -6, v4
	global_load_dword v31, v[19:20], off
	v_add_co_u32 v19, vcc_lo, s12, v23
	v_add_co_ci_u32_e64 v20, null, s13, v24, vcc_lo
	v_lshlrev_b64 v[23:24], 2, v[6:7]
	v_add_nc_u32_e32 v6, -16, v4
	v_add_co_u32 v21, vcc_lo, s14, v21
	v_add_co_ci_u32_e64 v22, null, s15, v22, vcc_lo
	global_load_dword v32, v[19:20], off
	v_lshlrev_b64 v[19:20], 2, v[6:7]
	v_add_nc_u32_e32 v6, 5, v13
	global_load_dword v33, v[21:22], off
	v_add_co_u32 v21, vcc_lo, s12, v23
	v_add_co_ci_u32_e64 v22, null, s13, v24, vcc_lo
	v_add_co_u32 v19, vcc_lo, s12, v19
	v_lshlrev_b64 v[23:24], 2, v[6:7]
	v_add_nc_u32_e32 v6, -5, v4
	v_add_co_ci_u32_e64 v20, null, s13, v20, vcc_lo
	s_clause 0x1
	global_load_dword v34, v[21:22], off
	global_load_dword v35, v[19:20], off
	v_lshlrev_b64 v[21:22], 2, v[6:7]
	v_add_nc_u32_e32 v6, -15, v4
	v_add_co_u32 v19, vcc_lo, s14, v23
	v_add_co_ci_u32_e64 v20, null, s15, v24, vcc_lo
	v_lshlrev_b64 v[23:24], 2, v[6:7]
	v_add_nc_u32_e32 v6, 6, v13
	v_add_co_u32 v21, vcc_lo, s12, v21
	v_add_co_ci_u32_e64 v22, null, s13, v22, vcc_lo
	global_load_dword v36, v[19:20], off
	v_lshlrev_b64 v[19:20], 2, v[6:7]
	v_add_nc_u32_e32 v6, -4, v4
	global_load_dword v37, v[21:22], off
	v_add_co_u32 v21, vcc_lo, s12, v23
	v_add_co_ci_u32_e64 v22, null, s13, v24, vcc_lo
	v_add_co_u32 v19, vcc_lo, s14, v19
	v_lshlrev_b64 v[23:24], 2, v[6:7]
	v_add_co_ci_u32_e64 v20, null, s15, v20, vcc_lo
	v_add_nc_u32_e32 v6, -14, v4
	global_load_dword v38, v[21:22], off
	global_load_dword v39, v[19:20], off
	v_add_co_u32 v19, vcc_lo, s12, v23
	v_add_co_ci_u32_e64 v20, null, s13, v24, vcc_lo
	global_load_dword v40, v[19:20], off
	v_lshlrev_b64 v[21:22], 2, v[6:7]
	v_add_nc_u32_e32 v6, 7, v13
	v_lshlrev_b64 v[23:24], 2, v[6:7]
	v_add_nc_u32_e32 v6, -3, v4
	v_add_co_u32 v21, vcc_lo, s12, v21
	v_add_co_ci_u32_e64 v22, null, s13, v22, vcc_lo
	v_lshlrev_b64 v[19:20], 2, v[6:7]
	v_add_nc_u32_e32 v6, -13, v4
	global_load_dword v41, v[21:22], off
	v_add_co_u32 v21, vcc_lo, s14, v23
	v_add_co_ci_u32_e64 v22, null, s15, v24, vcc_lo
	v_lshlrev_b64 v[23:24], 2, v[6:7]
	v_add_nc_u32_e32 v6, 8, v13
	v_add_co_u32 v19, vcc_lo, s12, v19
	v_add_co_ci_u32_e64 v20, null, s13, v20, vcc_lo
	global_load_dword v42, v[21:22], off
	v_lshlrev_b64 v[21:22], 2, v[6:7]
	v_add_nc_u32_e32 v6, -2, v4
	global_load_dword v43, v[19:20], off
	v_add_co_u32 v19, vcc_lo, s12, v23
	v_add_co_ci_u32_e64 v20, null, s13, v24, vcc_lo
	v_lshlrev_b64 v[23:24], 2, v[6:7]
	v_add_nc_u32_e32 v6, -12, v4
	v_add_co_u32 v21, vcc_lo, s14, v21
	v_add_co_ci_u32_e64 v22, null, s15, v22, vcc_lo
	global_load_dword v44, v[19:20], off
	v_lshlrev_b64 v[19:20], 2, v[6:7]
	v_add_nc_u32_e32 v6, 9, v13
	global_load_dword v45, v[21:22], off
	v_add_co_u32 v21, vcc_lo, s12, v23
	v_add_co_ci_u32_e64 v22, null, s13, v24, vcc_lo
	v_add_co_u32 v19, vcc_lo, s12, v19
	v_lshlrev_b64 v[23:24], 2, v[6:7]
	v_add_nc_u32_e32 v6, -1, v4
	v_add_co_ci_u32_e64 v20, null, s13, v20, vcc_lo
	s_clause 0x1
	global_load_dword v46, v[21:22], off
	global_load_dword v47, v[19:20], off
	v_lshlrev_b64 v[21:22], 2, v[6:7]
	v_add_nc_u32_e32 v6, -11, v4
	v_add_co_u32 v19, vcc_lo, s14, v23
	v_add_co_ci_u32_e64 v20, null, s15, v24, vcc_lo
	v_lshlrev_b64 v[23:24], 2, v[6:7]
	v_add_nc_u32_e32 v6, 10, v13
	v_add_co_u32 v12, vcc_lo, s12, v21
	v_add_co_ci_u32_e64 v13, null, s13, v22, vcc_lo
	v_lshlrev_b64 v[5:6], 2, v[6:7]
	global_load_dword v19, v[19:20], off
	v_add_nc_u32_e32 v4, 0x160, v4
	global_load_dword v20, v[12:13], off
	v_add_co_u32 v12, vcc_lo, s12, v23
	v_add_co_ci_u32_e64 v13, null, s13, v24, vcc_lo
	v_add_co_u32 v5, vcc_lo, s14, v5
	v_add_co_ci_u32_e64 v6, null, s15, v6, vcc_lo
	s_clause 0x1
	global_load_dword v17, v[17:18], off
	global_load_dword v12, v[12:13], off
	;; [unrolled: 1-line block ×3, first 2 shown]
	v_cmp_ge_i32_e32 vcc_lo, v2, v11
	s_or_b32 s0, vcc_lo, s0
	s_waitcnt vmcnt(29)
	v_fmac_f32_e32 v9, v15, v3
	v_fmac_f32_e32 v10, v8, v3
	s_waitcnt vmcnt(28)
	v_fmac_f32_e32 v9, v16, v14
	s_waitcnt vmcnt(27)
	;; [unrolled: 2-line block ×19, first 2 shown]
	v_fmac_f32_e32 v9, v12, v5
	v_fmac_f32_e32 v10, v17, v5
	s_andn2_b32 exec_lo, exec_lo, s0
	s_cbranch_execnz .LBB47_15
; %bb.16:
	s_or_b32 exec_lo, exec_lo, s0
.LBB47_17:
	s_or_b32 exec_lo, exec_lo, s1
.LBB47_18:
	v_mbcnt_lo_u32_b32 v2, -1, 0
	s_mov_b32 s3, -1
	v_xor_b32_e32 v3, 8, v2
	v_xor_b32_e32 v5, 4, v2
	;; [unrolled: 1-line block ×3, first 2 shown]
	v_cmp_gt_i32_e32 vcc_lo, 32, v3
	v_cndmask_b32_e32 v3, v2, v3, vcc_lo
	v_cmp_gt_i32_e32 vcc_lo, 32, v5
	v_lshlrev_b32_e32 v3, 2, v3
	v_cndmask_b32_e32 v5, v2, v5, vcc_lo
	v_cmp_gt_i32_e32 vcc_lo, 32, v7
	ds_bpermute_b32 v4, v3, v9
	ds_bpermute_b32 v3, v3, v10
	v_lshlrev_b32_e32 v5, 2, v5
	v_cndmask_b32_e32 v7, v2, v7, vcc_lo
	v_lshlrev_b32_e32 v7, 2, v7
	s_waitcnt lgkmcnt(1)
	v_add_f32_e32 v4, v9, v4
	s_waitcnt lgkmcnt(0)
	v_add_f32_e32 v3, v10, v3
	ds_bpermute_b32 v6, v5, v4
	ds_bpermute_b32 v5, v5, v3
	s_waitcnt lgkmcnt(1)
	v_add_f32_e32 v4, v4, v6
	s_waitcnt lgkmcnt(0)
	v_add_f32_e32 v3, v3, v5
	ds_bpermute_b32 v5, v7, v4
	ds_bpermute_b32 v6, v7, v3
	v_xor_b32_e32 v7, 1, v2
	v_cmp_gt_i32_e32 vcc_lo, 32, v7
	v_cndmask_b32_e32 v2, v2, v7, vcc_lo
	v_cmp_eq_u32_e32 vcc_lo, 15, v0
	v_lshlrev_b32_e32 v7, 2, v2
	s_waitcnt lgkmcnt(1)
	v_add_f32_e32 v2, v4, v5
	s_waitcnt lgkmcnt(0)
	v_add_f32_e32 v3, v3, v6
	ds_bpermute_b32 v4, v7, v2
	ds_bpermute_b32 v5, v7, v3
	s_and_b32 exec_lo, exec_lo, vcc_lo
	s_cbranch_execz .LBB47_23
; %bb.19:
	s_load_dwordx2 s[0:1], s[4:5], 0x38
	s_waitcnt lgkmcnt(0)
	v_add_f32_e32 v0, v2, v4
	v_add_f32_e32 v3, v3, v5
	v_cmp_eq_f32_e64 s4, s2, 0
	v_mul_f32_e32 v2, s16, v0
	v_mul_f32_e32 v3, s16, v3
	v_lshlrev_b32_e32 v0, 1, v1
	s_and_b32 vcc_lo, exec_lo, s4
	s_cbranch_vccz .LBB47_21
; %bb.20:
	v_ashrrev_i32_e32 v1, 31, v0
	s_mov_b32 s3, 0
	v_lshlrev_b64 v[4:5], 2, v[0:1]
	v_add_co_u32 v4, vcc_lo, s0, v4
	v_add_co_ci_u32_e64 v5, null, s1, v5, vcc_lo
	global_store_dwordx2 v[4:5], v[2:3], off
.LBB47_21:
	s_andn2_b32 vcc_lo, exec_lo, s3
	s_cbranch_vccnz .LBB47_23
; %bb.22:
	v_ashrrev_i32_e32 v1, 31, v0
	v_lshlrev_b64 v[0:1], 2, v[0:1]
	v_add_co_u32 v0, vcc_lo, s0, v0
	v_add_co_ci_u32_e64 v1, null, s1, v1, vcc_lo
	global_load_dwordx2 v[4:5], v[0:1], off
	s_waitcnt vmcnt(0)
	v_fmac_f32_e32 v2, s2, v4
	v_fmac_f32_e32 v3, s2, v5
	global_store_dwordx2 v[0:1], v[2:3], off
.LBB47_23:
	s_endpgm
	.section	.rodata,"a",@progbits
	.p2align	6, 0x0
	.amdhsa_kernel _ZN9rocsparseL19gebsrmvn_2xn_kernelILj128ELj11ELj16EfEEvi20rocsparse_direction_NS_24const_host_device_scalarIT2_EEPKiS6_PKS3_S8_S4_PS3_21rocsparse_index_base_b
		.amdhsa_group_segment_fixed_size 0
		.amdhsa_private_segment_fixed_size 0
		.amdhsa_kernarg_size 72
		.amdhsa_user_sgpr_count 6
		.amdhsa_user_sgpr_private_segment_buffer 1
		.amdhsa_user_sgpr_dispatch_ptr 0
		.amdhsa_user_sgpr_queue_ptr 0
		.amdhsa_user_sgpr_kernarg_segment_ptr 1
		.amdhsa_user_sgpr_dispatch_id 0
		.amdhsa_user_sgpr_flat_scratch_init 0
		.amdhsa_user_sgpr_private_segment_size 0
		.amdhsa_wavefront_size32 1
		.amdhsa_uses_dynamic_stack 0
		.amdhsa_system_sgpr_private_segment_wavefront_offset 0
		.amdhsa_system_sgpr_workgroup_id_x 1
		.amdhsa_system_sgpr_workgroup_id_y 0
		.amdhsa_system_sgpr_workgroup_id_z 0
		.amdhsa_system_sgpr_workgroup_info 0
		.amdhsa_system_vgpr_workitem_id 0
		.amdhsa_next_free_vgpr 48
		.amdhsa_next_free_sgpr 20
		.amdhsa_reserve_vcc 1
		.amdhsa_reserve_flat_scratch 0
		.amdhsa_float_round_mode_32 0
		.amdhsa_float_round_mode_16_64 0
		.amdhsa_float_denorm_mode_32 3
		.amdhsa_float_denorm_mode_16_64 3
		.amdhsa_dx10_clamp 1
		.amdhsa_ieee_mode 1
		.amdhsa_fp16_overflow 0
		.amdhsa_workgroup_processor_mode 1
		.amdhsa_memory_ordered 1
		.amdhsa_forward_progress 1
		.amdhsa_shared_vgpr_count 0
		.amdhsa_exception_fp_ieee_invalid_op 0
		.amdhsa_exception_fp_denorm_src 0
		.amdhsa_exception_fp_ieee_div_zero 0
		.amdhsa_exception_fp_ieee_overflow 0
		.amdhsa_exception_fp_ieee_underflow 0
		.amdhsa_exception_fp_ieee_inexact 0
		.amdhsa_exception_int_div_zero 0
	.end_amdhsa_kernel
	.section	.text._ZN9rocsparseL19gebsrmvn_2xn_kernelILj128ELj11ELj16EfEEvi20rocsparse_direction_NS_24const_host_device_scalarIT2_EEPKiS6_PKS3_S8_S4_PS3_21rocsparse_index_base_b,"axG",@progbits,_ZN9rocsparseL19gebsrmvn_2xn_kernelILj128ELj11ELj16EfEEvi20rocsparse_direction_NS_24const_host_device_scalarIT2_EEPKiS6_PKS3_S8_S4_PS3_21rocsparse_index_base_b,comdat
.Lfunc_end47:
	.size	_ZN9rocsparseL19gebsrmvn_2xn_kernelILj128ELj11ELj16EfEEvi20rocsparse_direction_NS_24const_host_device_scalarIT2_EEPKiS6_PKS3_S8_S4_PS3_21rocsparse_index_base_b, .Lfunc_end47-_ZN9rocsparseL19gebsrmvn_2xn_kernelILj128ELj11ELj16EfEEvi20rocsparse_direction_NS_24const_host_device_scalarIT2_EEPKiS6_PKS3_S8_S4_PS3_21rocsparse_index_base_b
                                        ; -- End function
	.set _ZN9rocsparseL19gebsrmvn_2xn_kernelILj128ELj11ELj16EfEEvi20rocsparse_direction_NS_24const_host_device_scalarIT2_EEPKiS6_PKS3_S8_S4_PS3_21rocsparse_index_base_b.num_vgpr, 48
	.set _ZN9rocsparseL19gebsrmvn_2xn_kernelILj128ELj11ELj16EfEEvi20rocsparse_direction_NS_24const_host_device_scalarIT2_EEPKiS6_PKS3_S8_S4_PS3_21rocsparse_index_base_b.num_agpr, 0
	.set _ZN9rocsparseL19gebsrmvn_2xn_kernelILj128ELj11ELj16EfEEvi20rocsparse_direction_NS_24const_host_device_scalarIT2_EEPKiS6_PKS3_S8_S4_PS3_21rocsparse_index_base_b.numbered_sgpr, 20
	.set _ZN9rocsparseL19gebsrmvn_2xn_kernelILj128ELj11ELj16EfEEvi20rocsparse_direction_NS_24const_host_device_scalarIT2_EEPKiS6_PKS3_S8_S4_PS3_21rocsparse_index_base_b.num_named_barrier, 0
	.set _ZN9rocsparseL19gebsrmvn_2xn_kernelILj128ELj11ELj16EfEEvi20rocsparse_direction_NS_24const_host_device_scalarIT2_EEPKiS6_PKS3_S8_S4_PS3_21rocsparse_index_base_b.private_seg_size, 0
	.set _ZN9rocsparseL19gebsrmvn_2xn_kernelILj128ELj11ELj16EfEEvi20rocsparse_direction_NS_24const_host_device_scalarIT2_EEPKiS6_PKS3_S8_S4_PS3_21rocsparse_index_base_b.uses_vcc, 1
	.set _ZN9rocsparseL19gebsrmvn_2xn_kernelILj128ELj11ELj16EfEEvi20rocsparse_direction_NS_24const_host_device_scalarIT2_EEPKiS6_PKS3_S8_S4_PS3_21rocsparse_index_base_b.uses_flat_scratch, 0
	.set _ZN9rocsparseL19gebsrmvn_2xn_kernelILj128ELj11ELj16EfEEvi20rocsparse_direction_NS_24const_host_device_scalarIT2_EEPKiS6_PKS3_S8_S4_PS3_21rocsparse_index_base_b.has_dyn_sized_stack, 0
	.set _ZN9rocsparseL19gebsrmvn_2xn_kernelILj128ELj11ELj16EfEEvi20rocsparse_direction_NS_24const_host_device_scalarIT2_EEPKiS6_PKS3_S8_S4_PS3_21rocsparse_index_base_b.has_recursion, 0
	.set _ZN9rocsparseL19gebsrmvn_2xn_kernelILj128ELj11ELj16EfEEvi20rocsparse_direction_NS_24const_host_device_scalarIT2_EEPKiS6_PKS3_S8_S4_PS3_21rocsparse_index_base_b.has_indirect_call, 0
	.section	.AMDGPU.csdata,"",@progbits
; Kernel info:
; codeLenInByte = 3140
; TotalNumSgprs: 22
; NumVgprs: 48
; ScratchSize: 0
; MemoryBound: 0
; FloatMode: 240
; IeeeMode: 1
; LDSByteSize: 0 bytes/workgroup (compile time only)
; SGPRBlocks: 0
; VGPRBlocks: 5
; NumSGPRsForWavesPerEU: 22
; NumVGPRsForWavesPerEU: 48
; Occupancy: 16
; WaveLimiterHint : 1
; COMPUTE_PGM_RSRC2:SCRATCH_EN: 0
; COMPUTE_PGM_RSRC2:USER_SGPR: 6
; COMPUTE_PGM_RSRC2:TRAP_HANDLER: 0
; COMPUTE_PGM_RSRC2:TGID_X_EN: 1
; COMPUTE_PGM_RSRC2:TGID_Y_EN: 0
; COMPUTE_PGM_RSRC2:TGID_Z_EN: 0
; COMPUTE_PGM_RSRC2:TIDIG_COMP_CNT: 0
	.section	.text._ZN9rocsparseL19gebsrmvn_2xn_kernelILj128ELj11ELj32EfEEvi20rocsparse_direction_NS_24const_host_device_scalarIT2_EEPKiS6_PKS3_S8_S4_PS3_21rocsparse_index_base_b,"axG",@progbits,_ZN9rocsparseL19gebsrmvn_2xn_kernelILj128ELj11ELj32EfEEvi20rocsparse_direction_NS_24const_host_device_scalarIT2_EEPKiS6_PKS3_S8_S4_PS3_21rocsparse_index_base_b,comdat
	.globl	_ZN9rocsparseL19gebsrmvn_2xn_kernelILj128ELj11ELj32EfEEvi20rocsparse_direction_NS_24const_host_device_scalarIT2_EEPKiS6_PKS3_S8_S4_PS3_21rocsparse_index_base_b ; -- Begin function _ZN9rocsparseL19gebsrmvn_2xn_kernelILj128ELj11ELj32EfEEvi20rocsparse_direction_NS_24const_host_device_scalarIT2_EEPKiS6_PKS3_S8_S4_PS3_21rocsparse_index_base_b
	.p2align	8
	.type	_ZN9rocsparseL19gebsrmvn_2xn_kernelILj128ELj11ELj32EfEEvi20rocsparse_direction_NS_24const_host_device_scalarIT2_EEPKiS6_PKS3_S8_S4_PS3_21rocsparse_index_base_b,@function
_ZN9rocsparseL19gebsrmvn_2xn_kernelILj128ELj11ELj32EfEEvi20rocsparse_direction_NS_24const_host_device_scalarIT2_EEPKiS6_PKS3_S8_S4_PS3_21rocsparse_index_base_b: ; @_ZN9rocsparseL19gebsrmvn_2xn_kernelILj128ELj11ELj32EfEEvi20rocsparse_direction_NS_24const_host_device_scalarIT2_EEPKiS6_PKS3_S8_S4_PS3_21rocsparse_index_base_b
; %bb.0:
	s_clause 0x2
	s_load_dwordx2 s[18:19], s[4:5], 0x40
	s_load_dwordx2 s[16:17], s[4:5], 0x8
	;; [unrolled: 1-line block ×3, first 2 shown]
	s_waitcnt lgkmcnt(0)
	s_bitcmp1_b32 s19, 0
	s_cselect_b32 s0, -1, 0
	s_and_b32 vcc_lo, exec_lo, s0
	s_xor_b32 s0, s0, -1
	s_cbranch_vccnz .LBB48_2
; %bb.1:
	s_load_dword s16, s[16:17], 0x0
.LBB48_2:
	s_andn2_b32 vcc_lo, exec_lo, s0
	s_cbranch_vccnz .LBB48_4
; %bb.3:
	s_load_dword s2, s[2:3], 0x0
.LBB48_4:
	s_waitcnt lgkmcnt(0)
	v_cmp_eq_f32_e64 s0, s16, 0
	v_cmp_eq_f32_e64 s1, s2, 1.0
	s_and_b32 s0, s0, s1
	s_and_b32 vcc_lo, exec_lo, s0
	s_cbranch_vccnz .LBB48_23
; %bb.5:
	s_load_dwordx2 s[0:1], s[4:5], 0x0
	v_lshrrev_b32_e32 v1, 5, v0
	v_lshl_or_b32 v1, s6, 2, v1
	s_waitcnt lgkmcnt(0)
	v_cmp_gt_i32_e32 vcc_lo, s0, v1
	s_and_saveexec_b32 s0, vcc_lo
	s_cbranch_execz .LBB48_23
; %bb.6:
	s_load_dwordx8 s[8:15], s[4:5], 0x10
	v_ashrrev_i32_e32 v2, 31, v1
	v_and_b32_e32 v0, 31, v0
	s_cmp_lg_u32 s1, 0
	v_lshlrev_b64 v[2:3], 2, v[1:2]
	s_waitcnt lgkmcnt(0)
	v_add_co_u32 v2, vcc_lo, s8, v2
	v_add_co_ci_u32_e64 v3, null, s9, v3, vcc_lo
	global_load_dwordx2 v[2:3], v[2:3], off
	s_waitcnt vmcnt(0)
	v_subrev_nc_u32_e32 v2, s18, v2
	v_subrev_nc_u32_e32 v11, s18, v3
	v_add_nc_u32_e32 v2, v2, v0
	v_cmp_lt_i32_e64 s0, v2, v11
	s_cbranch_scc0 .LBB48_12
; %bb.7:
	v_mov_b32_e32 v9, 0
	v_mov_b32_e32 v10, 0
	s_and_saveexec_b32 s1, s0
	s_cbranch_execz .LBB48_11
; %bb.8:
	v_mad_u64_u32 v[3:4], null, v2, 22, 20
	v_mov_b32_e32 v6, 0
	v_mov_b32_e32 v7, v2
	;; [unrolled: 1-line block ×4, first 2 shown]
	s_mov_b32 s3, 0
.LBB48_9:                               ; =>This Inner Loop Header: Depth=1
	v_ashrrev_i32_e32 v8, 31, v7
	v_mov_b32_e32 v13, v6
	v_lshlrev_b64 v[4:5], 2, v[7:8]
	v_add_nc_u32_e32 v7, 32, v7
	v_add_co_u32 v4, vcc_lo, s10, v4
	v_add_co_ci_u32_e64 v5, null, s11, v5, vcc_lo
	global_load_dword v8, v[4:5], off
	v_subrev_nc_u32_e32 v5, 20, v3
	v_mov_b32_e32 v4, v6
	v_lshlrev_b64 v[14:15], 2, v[5:6]
	v_subrev_nc_u32_e32 v5, 18, v3
	v_lshlrev_b64 v[16:17], 2, v[3:4]
	v_lshlrev_b64 v[4:5], 2, v[5:6]
	v_add_co_u32 v14, vcc_lo, s12, v14
	v_add_co_ci_u32_e64 v15, null, s13, v15, vcc_lo
	v_add_co_u32 v16, vcc_lo, s12, v16
	v_add_co_ci_u32_e64 v17, null, s13, v17, vcc_lo
	v_add_co_u32 v4, vcc_lo, s12, v4
	v_add_co_ci_u32_e64 v5, null, s13, v5, vcc_lo
	s_clause 0x1
	global_load_dwordx2 v[14:15], v[14:15], off
	global_load_dwordx2 v[18:19], v[4:5], off
	s_waitcnt vmcnt(2)
	v_subrev_nc_u32_e32 v4, s18, v8
	v_mul_lo_u32 v12, v4, 11
	v_add_nc_u32_e32 v5, 1, v12
	v_lshlrev_b64 v[20:21], 2, v[12:13]
	v_lshlrev_b64 v[22:23], 2, v[5:6]
	v_add_nc_u32_e32 v5, -16, v3
	v_add_co_u32 v20, vcc_lo, s14, v20
	v_add_co_ci_u32_e64 v21, null, s15, v21, vcc_lo
	v_add_co_u32 v22, vcc_lo, s14, v22
	v_lshlrev_b64 v[24:25], 2, v[5:6]
	v_add_nc_u32_e32 v5, 2, v12
	v_add_co_ci_u32_e64 v23, null, s15, v23, vcc_lo
	s_clause 0x1
	global_load_dword v8, v[20:21], off
	global_load_dword v40, v[22:23], off
	v_lshlrev_b64 v[20:21], 2, v[5:6]
	v_add_nc_u32_e32 v5, -14, v3
	v_add_co_u32 v22, vcc_lo, s12, v24
	v_add_co_ci_u32_e64 v23, null, s13, v25, vcc_lo
	v_lshlrev_b64 v[24:25], 2, v[5:6]
	v_add_nc_u32_e32 v5, 3, v12
	v_add_co_u32 v20, vcc_lo, s14, v20
	v_add_co_ci_u32_e64 v21, null, s15, v21, vcc_lo
	v_lshlrev_b64 v[26:27], 2, v[5:6]
	v_add_nc_u32_e32 v5, -12, v3
	global_load_dwordx2 v[22:23], v[22:23], off
	global_load_dword v41, v[20:21], off
	v_add_co_u32 v20, vcc_lo, s12, v24
	v_add_co_ci_u32_e64 v21, null, s13, v25, vcc_lo
	v_lshlrev_b64 v[24:25], 2, v[5:6]
	v_add_nc_u32_e32 v5, 4, v12
	v_add_co_u32 v26, vcc_lo, s14, v26
	v_add_co_ci_u32_e64 v27, null, s15, v27, vcc_lo
	v_lshlrev_b64 v[28:29], 2, v[5:6]
	v_add_co_u32 v24, vcc_lo, s12, v24
	v_add_co_ci_u32_e64 v25, null, s13, v25, vcc_lo
	v_add_nc_u32_e32 v5, -10, v3
	v_add_co_u32 v28, vcc_lo, s14, v28
	v_add_co_ci_u32_e64 v29, null, s15, v29, vcc_lo
	global_load_dword v42, v[26:27], off
	s_clause 0x1
	global_load_dwordx2 v[24:25], v[24:25], off
	global_load_dwordx2 v[20:21], v[20:21], off
	global_load_dword v43, v[28:29], off
	v_lshlrev_b64 v[26:27], 2, v[5:6]
	v_add_nc_u32_e32 v5, 5, v12
	v_lshlrev_b64 v[30:31], 2, v[5:6]
	v_add_nc_u32_e32 v5, -8, v3
	v_add_co_u32 v26, vcc_lo, s12, v26
	v_add_co_ci_u32_e64 v27, null, s13, v27, vcc_lo
	v_lshlrev_b64 v[28:29], 2, v[5:6]
	v_add_nc_u32_e32 v5, 6, v12
	v_add_co_u32 v30, vcc_lo, s14, v30
	v_add_co_ci_u32_e64 v31, null, s15, v31, vcc_lo
	v_lshlrev_b64 v[32:33], 2, v[5:6]
	v_add_co_u32 v28, vcc_lo, s12, v28
	v_add_co_ci_u32_e64 v29, null, s13, v29, vcc_lo
	v_add_nc_u32_e32 v5, -6, v3
	v_add_co_u32 v32, vcc_lo, s14, v32
	v_add_co_ci_u32_e64 v33, null, s15, v33, vcc_lo
	global_load_dword v44, v[30:31], off
	s_clause 0x1
	global_load_dwordx2 v[26:27], v[26:27], off
	global_load_dwordx2 v[28:29], v[28:29], off
	global_load_dword v45, v[32:33], off
	v_lshlrev_b64 v[30:31], 2, v[5:6]
	v_add_nc_u32_e32 v5, 7, v12
	v_lshlrev_b64 v[34:35], 2, v[5:6]
	v_add_nc_u32_e32 v5, -4, v3
	v_add_co_u32 v30, vcc_lo, s12, v30
	v_add_co_ci_u32_e64 v31, null, s13, v31, vcc_lo
	v_lshlrev_b64 v[32:33], 2, v[5:6]
	v_add_nc_u32_e32 v5, 8, v12
	v_add_co_u32 v34, vcc_lo, s14, v34
	v_add_co_ci_u32_e64 v35, null, s15, v35, vcc_lo
	v_lshlrev_b64 v[36:37], 2, v[5:6]
	v_add_co_u32 v32, vcc_lo, s12, v32
	v_add_co_ci_u32_e64 v33, null, s13, v33, vcc_lo
	v_add_nc_u32_e32 v5, -2, v3
	v_add_co_u32 v36, vcc_lo, s14, v36
	v_add_co_ci_u32_e64 v37, null, s15, v37, vcc_lo
	global_load_dword v46, v[34:35], off
	s_clause 0x1
	global_load_dwordx2 v[30:31], v[30:31], off
	global_load_dwordx2 v[32:33], v[32:33], off
	global_load_dword v36, v[36:37], off
	v_lshlrev_b64 v[34:35], 2, v[5:6]
	v_add_nc_u32_e32 v5, 9, v12
	v_add_nc_u32_e32 v3, 0x2c0, v3
	v_lshlrev_b64 v[38:39], 2, v[5:6]
	v_add_nc_u32_e32 v5, 10, v12
	v_add_co_u32 v12, vcc_lo, s12, v34
	v_add_co_ci_u32_e64 v13, null, s13, v35, vcc_lo
	v_lshlrev_b64 v[4:5], 2, v[5:6]
	v_add_co_u32 v34, vcc_lo, s14, v38
	v_add_co_ci_u32_e64 v35, null, s15, v39, vcc_lo
	global_load_dwordx2 v[12:13], v[12:13], off
	global_load_dword v34, v[34:35], off
	v_add_co_u32 v4, vcc_lo, s14, v4
	v_add_co_ci_u32_e64 v5, null, s15, v5, vcc_lo
	global_load_dwordx2 v[16:17], v[16:17], off
	global_load_dword v4, v[4:5], off
	v_cmp_ge_i32_e32 vcc_lo, v7, v11
	s_or_b32 s3, vcc_lo, s3
	s_waitcnt vmcnt(19)
	v_fmac_f32_e32 v9, v14, v8
	v_fmac_f32_e32 v10, v15, v8
	s_waitcnt vmcnt(18)
	v_fmac_f32_e32 v9, v18, v40
	v_fmac_f32_e32 v10, v19, v40
	s_waitcnt vmcnt(16)
	v_fmac_f32_e32 v9, v22, v41
	v_fmac_f32_e32 v10, v23, v41
	s_waitcnt vmcnt(13)
	v_fmac_f32_e32 v9, v20, v42
	v_fmac_f32_e32 v10, v21, v42
	s_waitcnt vmcnt(12)
	v_fmac_f32_e32 v9, v24, v43
	v_fmac_f32_e32 v10, v25, v43
	s_waitcnt vmcnt(10)
	v_fmac_f32_e32 v9, v26, v44
	v_fmac_f32_e32 v10, v27, v44
	s_waitcnt vmcnt(8)
	v_fmac_f32_e32 v9, v28, v45
	v_fmac_f32_e32 v10, v29, v45
	s_waitcnt vmcnt(6)
	v_fmac_f32_e32 v9, v30, v46
	v_fmac_f32_e32 v10, v31, v46
	s_waitcnt vmcnt(4)
	v_fmac_f32_e32 v9, v32, v36
	v_fmac_f32_e32 v10, v33, v36
	s_waitcnt vmcnt(2)
	v_fmac_f32_e32 v9, v12, v34
	v_fmac_f32_e32 v10, v13, v34
	s_waitcnt vmcnt(0)
	v_fmac_f32_e32 v9, v16, v4
	v_fmac_f32_e32 v10, v17, v4
	s_andn2_b32 exec_lo, exec_lo, s3
	s_cbranch_execnz .LBB48_9
; %bb.10:
	s_or_b32 exec_lo, exec_lo, s3
.LBB48_11:
	s_or_b32 exec_lo, exec_lo, s1
	s_cbranch_execz .LBB48_13
	s_branch .LBB48_18
.LBB48_12:
                                        ; implicit-def: $vgpr9
                                        ; implicit-def: $vgpr10
.LBB48_13:
	v_mov_b32_e32 v9, 0
	v_mov_b32_e32 v10, 0
	s_and_saveexec_b32 s1, s0
	s_cbranch_execz .LBB48_17
; %bb.14:
	v_mad_u64_u32 v[4:5], null, v2, 22, 21
	v_mov_b32_e32 v7, 0
	v_mov_b32_e32 v9, 0
	;; [unrolled: 1-line block ×3, first 2 shown]
	s_mov_b32 s0, 0
.LBB48_15:                              ; =>This Inner Loop Header: Depth=1
	v_ashrrev_i32_e32 v3, 31, v2
	v_add_nc_u32_e32 v12, -10, v4
	v_mov_b32_e32 v13, v7
	v_mov_b32_e32 v14, v7
	v_lshlrev_b64 v[5:6], 2, v[2:3]
	v_add_nc_u32_e32 v2, 32, v2
	v_lshlrev_b64 v[12:13], 2, v[12:13]
	v_add_co_u32 v5, vcc_lo, s10, v5
	v_add_co_ci_u32_e64 v6, null, s11, v6, vcc_lo
	global_load_dword v3, v[5:6], off
	v_subrev_nc_u32_e32 v6, 21, v4
	v_mov_b32_e32 v5, v7
	v_lshlrev_b64 v[15:16], 2, v[6:7]
	v_lshlrev_b64 v[5:6], 2, v[4:5]
	v_add_co_u32 v15, vcc_lo, s12, v15
	v_add_co_ci_u32_e64 v16, null, s13, v16, vcc_lo
	v_add_co_u32 v12, vcc_lo, s12, v12
	v_add_co_ci_u32_e64 v13, null, s13, v13, vcc_lo
	s_clause 0x1
	global_load_dwordx2 v[15:16], v[15:16], off
	global_load_dword v8, v[12:13], off
	v_add_co_u32 v17, vcc_lo, s12, v5
	v_add_co_ci_u32_e64 v18, null, s13, v6, vcc_lo
	s_waitcnt vmcnt(2)
	v_subrev_nc_u32_e32 v3, s18, v3
	v_mul_lo_u32 v13, v3, 11
	v_add_nc_u32_e32 v6, 1, v13
	v_lshlrev_b64 v[19:20], 2, v[13:14]
	v_lshlrev_b64 v[21:22], 2, v[6:7]
	v_add_nc_u32_e32 v6, -9, v4
	v_add_co_u32 v19, vcc_lo, s14, v19
	v_add_co_ci_u32_e64 v20, null, s15, v20, vcc_lo
	v_lshlrev_b64 v[23:24], 2, v[6:7]
	v_subrev_nc_u32_e32 v6, 19, v4
	global_load_dword v3, v[19:20], off
	v_add_co_u32 v19, vcc_lo, s14, v21
	v_add_co_ci_u32_e64 v20, null, s15, v22, vcc_lo
	v_lshlrev_b64 v[21:22], 2, v[6:7]
	v_add_nc_u32_e32 v6, 2, v13
	v_add_co_u32 v23, vcc_lo, s12, v23
	v_add_co_ci_u32_e64 v24, null, s13, v24, vcc_lo
	global_load_dword v14, v[19:20], off
	v_lshlrev_b64 v[19:20], 2, v[6:7]
	v_add_co_u32 v21, vcc_lo, s12, v21
	v_add_nc_u32_e32 v6, -8, v4
	v_add_co_ci_u32_e64 v22, null, s13, v22, vcc_lo
	v_add_co_u32 v19, vcc_lo, s14, v19
	s_clause 0x1
	global_load_dword v25, v[23:24], off
	global_load_dword v26, v[21:22], off
	v_lshlrev_b64 v[23:24], 2, v[6:7]
	v_add_co_ci_u32_e64 v20, null, s15, v20, vcc_lo
	v_subrev_nc_u32_e32 v6, 18, v4
	global_load_dword v27, v[19:20], off
	v_add_co_u32 v19, vcc_lo, s12, v23
	v_add_co_ci_u32_e64 v20, null, s13, v24, vcc_lo
	global_load_dword v28, v[19:20], off
	v_lshlrev_b64 v[21:22], 2, v[6:7]
	v_add_nc_u32_e32 v6, 3, v13
	v_lshlrev_b64 v[23:24], 2, v[6:7]
	v_add_nc_u32_e32 v6, -7, v4
	v_add_co_u32 v21, vcc_lo, s12, v21
	v_add_co_ci_u32_e64 v22, null, s13, v22, vcc_lo
	v_lshlrev_b64 v[19:20], 2, v[6:7]
	v_subrev_nc_u32_e32 v6, 17, v4
	global_load_dword v29, v[21:22], off
	v_add_co_u32 v21, vcc_lo, s14, v23
	v_add_co_ci_u32_e64 v22, null, s15, v24, vcc_lo
	v_lshlrev_b64 v[23:24], 2, v[6:7]
	v_add_nc_u32_e32 v6, 4, v13
	v_add_co_u32 v19, vcc_lo, s12, v19
	v_add_co_ci_u32_e64 v20, null, s13, v20, vcc_lo
	global_load_dword v30, v[21:22], off
	v_lshlrev_b64 v[21:22], 2, v[6:7]
	v_add_nc_u32_e32 v6, -6, v4
	global_load_dword v31, v[19:20], off
	v_add_co_u32 v19, vcc_lo, s12, v23
	v_add_co_ci_u32_e64 v20, null, s13, v24, vcc_lo
	v_lshlrev_b64 v[23:24], 2, v[6:7]
	v_add_nc_u32_e32 v6, -16, v4
	v_add_co_u32 v21, vcc_lo, s14, v21
	v_add_co_ci_u32_e64 v22, null, s15, v22, vcc_lo
	global_load_dword v32, v[19:20], off
	v_lshlrev_b64 v[19:20], 2, v[6:7]
	v_add_nc_u32_e32 v6, 5, v13
	global_load_dword v33, v[21:22], off
	v_add_co_u32 v21, vcc_lo, s12, v23
	v_add_co_ci_u32_e64 v22, null, s13, v24, vcc_lo
	v_add_co_u32 v19, vcc_lo, s12, v19
	v_lshlrev_b64 v[23:24], 2, v[6:7]
	v_add_nc_u32_e32 v6, -5, v4
	v_add_co_ci_u32_e64 v20, null, s13, v20, vcc_lo
	s_clause 0x1
	global_load_dword v34, v[21:22], off
	global_load_dword v35, v[19:20], off
	v_lshlrev_b64 v[21:22], 2, v[6:7]
	v_add_nc_u32_e32 v6, -15, v4
	v_add_co_u32 v19, vcc_lo, s14, v23
	v_add_co_ci_u32_e64 v20, null, s15, v24, vcc_lo
	v_lshlrev_b64 v[23:24], 2, v[6:7]
	v_add_nc_u32_e32 v6, 6, v13
	v_add_co_u32 v21, vcc_lo, s12, v21
	v_add_co_ci_u32_e64 v22, null, s13, v22, vcc_lo
	global_load_dword v36, v[19:20], off
	v_lshlrev_b64 v[19:20], 2, v[6:7]
	v_add_nc_u32_e32 v6, -4, v4
	global_load_dword v37, v[21:22], off
	v_add_co_u32 v21, vcc_lo, s12, v23
	v_add_co_ci_u32_e64 v22, null, s13, v24, vcc_lo
	v_add_co_u32 v19, vcc_lo, s14, v19
	v_lshlrev_b64 v[23:24], 2, v[6:7]
	v_add_co_ci_u32_e64 v20, null, s15, v20, vcc_lo
	v_add_nc_u32_e32 v6, -14, v4
	global_load_dword v38, v[21:22], off
	global_load_dword v39, v[19:20], off
	v_add_co_u32 v19, vcc_lo, s12, v23
	v_add_co_ci_u32_e64 v20, null, s13, v24, vcc_lo
	global_load_dword v40, v[19:20], off
	v_lshlrev_b64 v[21:22], 2, v[6:7]
	v_add_nc_u32_e32 v6, 7, v13
	v_lshlrev_b64 v[23:24], 2, v[6:7]
	v_add_nc_u32_e32 v6, -3, v4
	v_add_co_u32 v21, vcc_lo, s12, v21
	v_add_co_ci_u32_e64 v22, null, s13, v22, vcc_lo
	v_lshlrev_b64 v[19:20], 2, v[6:7]
	v_add_nc_u32_e32 v6, -13, v4
	global_load_dword v41, v[21:22], off
	v_add_co_u32 v21, vcc_lo, s14, v23
	v_add_co_ci_u32_e64 v22, null, s15, v24, vcc_lo
	v_lshlrev_b64 v[23:24], 2, v[6:7]
	v_add_nc_u32_e32 v6, 8, v13
	v_add_co_u32 v19, vcc_lo, s12, v19
	v_add_co_ci_u32_e64 v20, null, s13, v20, vcc_lo
	global_load_dword v42, v[21:22], off
	v_lshlrev_b64 v[21:22], 2, v[6:7]
	v_add_nc_u32_e32 v6, -2, v4
	global_load_dword v43, v[19:20], off
	v_add_co_u32 v19, vcc_lo, s12, v23
	v_add_co_ci_u32_e64 v20, null, s13, v24, vcc_lo
	v_lshlrev_b64 v[23:24], 2, v[6:7]
	v_add_nc_u32_e32 v6, -12, v4
	v_add_co_u32 v21, vcc_lo, s14, v21
	v_add_co_ci_u32_e64 v22, null, s15, v22, vcc_lo
	global_load_dword v44, v[19:20], off
	v_lshlrev_b64 v[19:20], 2, v[6:7]
	v_add_nc_u32_e32 v6, 9, v13
	global_load_dword v45, v[21:22], off
	v_add_co_u32 v21, vcc_lo, s12, v23
	v_add_co_ci_u32_e64 v22, null, s13, v24, vcc_lo
	v_add_co_u32 v19, vcc_lo, s12, v19
	v_lshlrev_b64 v[23:24], 2, v[6:7]
	v_add_nc_u32_e32 v6, -1, v4
	v_add_co_ci_u32_e64 v20, null, s13, v20, vcc_lo
	s_clause 0x1
	global_load_dword v46, v[21:22], off
	global_load_dword v47, v[19:20], off
	v_lshlrev_b64 v[21:22], 2, v[6:7]
	v_add_nc_u32_e32 v6, -11, v4
	v_add_co_u32 v19, vcc_lo, s14, v23
	v_add_co_ci_u32_e64 v20, null, s15, v24, vcc_lo
	v_lshlrev_b64 v[23:24], 2, v[6:7]
	v_add_nc_u32_e32 v6, 10, v13
	v_add_co_u32 v12, vcc_lo, s12, v21
	v_add_co_ci_u32_e64 v13, null, s13, v22, vcc_lo
	v_lshlrev_b64 v[5:6], 2, v[6:7]
	global_load_dword v19, v[19:20], off
	v_add_nc_u32_e32 v4, 0x2c0, v4
	global_load_dword v20, v[12:13], off
	v_add_co_u32 v12, vcc_lo, s12, v23
	v_add_co_ci_u32_e64 v13, null, s13, v24, vcc_lo
	v_add_co_u32 v5, vcc_lo, s14, v5
	v_add_co_ci_u32_e64 v6, null, s15, v6, vcc_lo
	s_clause 0x1
	global_load_dword v17, v[17:18], off
	global_load_dword v12, v[12:13], off
	;; [unrolled: 1-line block ×3, first 2 shown]
	v_cmp_ge_i32_e32 vcc_lo, v2, v11
	s_or_b32 s0, vcc_lo, s0
	s_waitcnt vmcnt(29)
	v_fmac_f32_e32 v9, v15, v3
	v_fmac_f32_e32 v10, v8, v3
	s_waitcnt vmcnt(28)
	v_fmac_f32_e32 v9, v16, v14
	s_waitcnt vmcnt(27)
	;; [unrolled: 2-line block ×19, first 2 shown]
	v_fmac_f32_e32 v9, v12, v5
	v_fmac_f32_e32 v10, v17, v5
	s_andn2_b32 exec_lo, exec_lo, s0
	s_cbranch_execnz .LBB48_15
; %bb.16:
	s_or_b32 exec_lo, exec_lo, s0
.LBB48_17:
	s_or_b32 exec_lo, exec_lo, s1
.LBB48_18:
	v_mbcnt_lo_u32_b32 v2, -1, 0
	s_mov_b32 s3, -1
	v_xor_b32_e32 v3, 16, v2
	v_xor_b32_e32 v5, 8, v2
	;; [unrolled: 1-line block ×3, first 2 shown]
	v_cmp_gt_i32_e32 vcc_lo, 32, v3
	v_cndmask_b32_e32 v3, v2, v3, vcc_lo
	v_cmp_gt_i32_e32 vcc_lo, 32, v5
	v_lshlrev_b32_e32 v3, 2, v3
	v_cndmask_b32_e32 v5, v2, v5, vcc_lo
	v_cmp_gt_i32_e32 vcc_lo, 32, v7
	ds_bpermute_b32 v4, v3, v9
	ds_bpermute_b32 v3, v3, v10
	v_lshlrev_b32_e32 v5, 2, v5
	v_cndmask_b32_e32 v7, v2, v7, vcc_lo
	v_lshlrev_b32_e32 v7, 2, v7
	s_waitcnt lgkmcnt(1)
	v_add_f32_e32 v4, v9, v4
	s_waitcnt lgkmcnt(0)
	v_add_f32_e32 v3, v10, v3
	ds_bpermute_b32 v6, v5, v4
	ds_bpermute_b32 v5, v5, v3
	s_waitcnt lgkmcnt(1)
	v_add_f32_e32 v4, v4, v6
	s_waitcnt lgkmcnt(0)
	v_add_f32_e32 v3, v3, v5
	ds_bpermute_b32 v5, v7, v4
	ds_bpermute_b32 v6, v7, v3
	v_xor_b32_e32 v7, 2, v2
	v_cmp_gt_i32_e32 vcc_lo, 32, v7
	v_cndmask_b32_e32 v7, v2, v7, vcc_lo
	v_lshlrev_b32_e32 v7, 2, v7
	s_waitcnt lgkmcnt(1)
	v_add_f32_e32 v4, v4, v5
	s_waitcnt lgkmcnt(0)
	v_add_f32_e32 v3, v3, v6
	ds_bpermute_b32 v5, v7, v4
	ds_bpermute_b32 v6, v7, v3
	v_xor_b32_e32 v7, 1, v2
	v_cmp_gt_i32_e32 vcc_lo, 32, v7
	v_cndmask_b32_e32 v2, v2, v7, vcc_lo
	v_cmp_eq_u32_e32 vcc_lo, 31, v0
	v_lshlrev_b32_e32 v7, 2, v2
	s_waitcnt lgkmcnt(1)
	v_add_f32_e32 v2, v4, v5
	s_waitcnt lgkmcnt(0)
	v_add_f32_e32 v3, v3, v6
	ds_bpermute_b32 v4, v7, v2
	ds_bpermute_b32 v5, v7, v3
	s_and_b32 exec_lo, exec_lo, vcc_lo
	s_cbranch_execz .LBB48_23
; %bb.19:
	s_load_dwordx2 s[0:1], s[4:5], 0x38
	s_waitcnt lgkmcnt(0)
	v_add_f32_e32 v0, v2, v4
	v_add_f32_e32 v3, v3, v5
	v_cmp_eq_f32_e64 s4, s2, 0
	v_mul_f32_e32 v2, s16, v0
	v_mul_f32_e32 v3, s16, v3
	v_lshlrev_b32_e32 v0, 1, v1
	s_and_b32 vcc_lo, exec_lo, s4
	s_cbranch_vccz .LBB48_21
; %bb.20:
	v_ashrrev_i32_e32 v1, 31, v0
	s_mov_b32 s3, 0
	v_lshlrev_b64 v[4:5], 2, v[0:1]
	v_add_co_u32 v4, vcc_lo, s0, v4
	v_add_co_ci_u32_e64 v5, null, s1, v5, vcc_lo
	global_store_dwordx2 v[4:5], v[2:3], off
.LBB48_21:
	s_andn2_b32 vcc_lo, exec_lo, s3
	s_cbranch_vccnz .LBB48_23
; %bb.22:
	v_ashrrev_i32_e32 v1, 31, v0
	v_lshlrev_b64 v[0:1], 2, v[0:1]
	v_add_co_u32 v0, vcc_lo, s0, v0
	v_add_co_ci_u32_e64 v1, null, s1, v1, vcc_lo
	global_load_dwordx2 v[4:5], v[0:1], off
	s_waitcnt vmcnt(0)
	v_fmac_f32_e32 v2, s2, v4
	v_fmac_f32_e32 v3, s2, v5
	global_store_dwordx2 v[0:1], v[2:3], off
.LBB48_23:
	s_endpgm
	.section	.rodata,"a",@progbits
	.p2align	6, 0x0
	.amdhsa_kernel _ZN9rocsparseL19gebsrmvn_2xn_kernelILj128ELj11ELj32EfEEvi20rocsparse_direction_NS_24const_host_device_scalarIT2_EEPKiS6_PKS3_S8_S4_PS3_21rocsparse_index_base_b
		.amdhsa_group_segment_fixed_size 0
		.amdhsa_private_segment_fixed_size 0
		.amdhsa_kernarg_size 72
		.amdhsa_user_sgpr_count 6
		.amdhsa_user_sgpr_private_segment_buffer 1
		.amdhsa_user_sgpr_dispatch_ptr 0
		.amdhsa_user_sgpr_queue_ptr 0
		.amdhsa_user_sgpr_kernarg_segment_ptr 1
		.amdhsa_user_sgpr_dispatch_id 0
		.amdhsa_user_sgpr_flat_scratch_init 0
		.amdhsa_user_sgpr_private_segment_size 0
		.amdhsa_wavefront_size32 1
		.amdhsa_uses_dynamic_stack 0
		.amdhsa_system_sgpr_private_segment_wavefront_offset 0
		.amdhsa_system_sgpr_workgroup_id_x 1
		.amdhsa_system_sgpr_workgroup_id_y 0
		.amdhsa_system_sgpr_workgroup_id_z 0
		.amdhsa_system_sgpr_workgroup_info 0
		.amdhsa_system_vgpr_workitem_id 0
		.amdhsa_next_free_vgpr 48
		.amdhsa_next_free_sgpr 20
		.amdhsa_reserve_vcc 1
		.amdhsa_reserve_flat_scratch 0
		.amdhsa_float_round_mode_32 0
		.amdhsa_float_round_mode_16_64 0
		.amdhsa_float_denorm_mode_32 3
		.amdhsa_float_denorm_mode_16_64 3
		.amdhsa_dx10_clamp 1
		.amdhsa_ieee_mode 1
		.amdhsa_fp16_overflow 0
		.amdhsa_workgroup_processor_mode 1
		.amdhsa_memory_ordered 1
		.amdhsa_forward_progress 1
		.amdhsa_shared_vgpr_count 0
		.amdhsa_exception_fp_ieee_invalid_op 0
		.amdhsa_exception_fp_denorm_src 0
		.amdhsa_exception_fp_ieee_div_zero 0
		.amdhsa_exception_fp_ieee_overflow 0
		.amdhsa_exception_fp_ieee_underflow 0
		.amdhsa_exception_fp_ieee_inexact 0
		.amdhsa_exception_int_div_zero 0
	.end_amdhsa_kernel
	.section	.text._ZN9rocsparseL19gebsrmvn_2xn_kernelILj128ELj11ELj32EfEEvi20rocsparse_direction_NS_24const_host_device_scalarIT2_EEPKiS6_PKS3_S8_S4_PS3_21rocsparse_index_base_b,"axG",@progbits,_ZN9rocsparseL19gebsrmvn_2xn_kernelILj128ELj11ELj32EfEEvi20rocsparse_direction_NS_24const_host_device_scalarIT2_EEPKiS6_PKS3_S8_S4_PS3_21rocsparse_index_base_b,comdat
.Lfunc_end48:
	.size	_ZN9rocsparseL19gebsrmvn_2xn_kernelILj128ELj11ELj32EfEEvi20rocsparse_direction_NS_24const_host_device_scalarIT2_EEPKiS6_PKS3_S8_S4_PS3_21rocsparse_index_base_b, .Lfunc_end48-_ZN9rocsparseL19gebsrmvn_2xn_kernelILj128ELj11ELj32EfEEvi20rocsparse_direction_NS_24const_host_device_scalarIT2_EEPKiS6_PKS3_S8_S4_PS3_21rocsparse_index_base_b
                                        ; -- End function
	.set _ZN9rocsparseL19gebsrmvn_2xn_kernelILj128ELj11ELj32EfEEvi20rocsparse_direction_NS_24const_host_device_scalarIT2_EEPKiS6_PKS3_S8_S4_PS3_21rocsparse_index_base_b.num_vgpr, 48
	.set _ZN9rocsparseL19gebsrmvn_2xn_kernelILj128ELj11ELj32EfEEvi20rocsparse_direction_NS_24const_host_device_scalarIT2_EEPKiS6_PKS3_S8_S4_PS3_21rocsparse_index_base_b.num_agpr, 0
	.set _ZN9rocsparseL19gebsrmvn_2xn_kernelILj128ELj11ELj32EfEEvi20rocsparse_direction_NS_24const_host_device_scalarIT2_EEPKiS6_PKS3_S8_S4_PS3_21rocsparse_index_base_b.numbered_sgpr, 20
	.set _ZN9rocsparseL19gebsrmvn_2xn_kernelILj128ELj11ELj32EfEEvi20rocsparse_direction_NS_24const_host_device_scalarIT2_EEPKiS6_PKS3_S8_S4_PS3_21rocsparse_index_base_b.num_named_barrier, 0
	.set _ZN9rocsparseL19gebsrmvn_2xn_kernelILj128ELj11ELj32EfEEvi20rocsparse_direction_NS_24const_host_device_scalarIT2_EEPKiS6_PKS3_S8_S4_PS3_21rocsparse_index_base_b.private_seg_size, 0
	.set _ZN9rocsparseL19gebsrmvn_2xn_kernelILj128ELj11ELj32EfEEvi20rocsparse_direction_NS_24const_host_device_scalarIT2_EEPKiS6_PKS3_S8_S4_PS3_21rocsparse_index_base_b.uses_vcc, 1
	.set _ZN9rocsparseL19gebsrmvn_2xn_kernelILj128ELj11ELj32EfEEvi20rocsparse_direction_NS_24const_host_device_scalarIT2_EEPKiS6_PKS3_S8_S4_PS3_21rocsparse_index_base_b.uses_flat_scratch, 0
	.set _ZN9rocsparseL19gebsrmvn_2xn_kernelILj128ELj11ELj32EfEEvi20rocsparse_direction_NS_24const_host_device_scalarIT2_EEPKiS6_PKS3_S8_S4_PS3_21rocsparse_index_base_b.has_dyn_sized_stack, 0
	.set _ZN9rocsparseL19gebsrmvn_2xn_kernelILj128ELj11ELj32EfEEvi20rocsparse_direction_NS_24const_host_device_scalarIT2_EEPKiS6_PKS3_S8_S4_PS3_21rocsparse_index_base_b.has_recursion, 0
	.set _ZN9rocsparseL19gebsrmvn_2xn_kernelILj128ELj11ELj32EfEEvi20rocsparse_direction_NS_24const_host_device_scalarIT2_EEPKiS6_PKS3_S8_S4_PS3_21rocsparse_index_base_b.has_indirect_call, 0
	.section	.AMDGPU.csdata,"",@progbits
; Kernel info:
; codeLenInByte = 3188
; TotalNumSgprs: 22
; NumVgprs: 48
; ScratchSize: 0
; MemoryBound: 0
; FloatMode: 240
; IeeeMode: 1
; LDSByteSize: 0 bytes/workgroup (compile time only)
; SGPRBlocks: 0
; VGPRBlocks: 5
; NumSGPRsForWavesPerEU: 22
; NumVGPRsForWavesPerEU: 48
; Occupancy: 16
; WaveLimiterHint : 1
; COMPUTE_PGM_RSRC2:SCRATCH_EN: 0
; COMPUTE_PGM_RSRC2:USER_SGPR: 6
; COMPUTE_PGM_RSRC2:TRAP_HANDLER: 0
; COMPUTE_PGM_RSRC2:TGID_X_EN: 1
; COMPUTE_PGM_RSRC2:TGID_Y_EN: 0
; COMPUTE_PGM_RSRC2:TGID_Z_EN: 0
; COMPUTE_PGM_RSRC2:TIDIG_COMP_CNT: 0
	.section	.text._ZN9rocsparseL19gebsrmvn_2xn_kernelILj128ELj11ELj64EfEEvi20rocsparse_direction_NS_24const_host_device_scalarIT2_EEPKiS6_PKS3_S8_S4_PS3_21rocsparse_index_base_b,"axG",@progbits,_ZN9rocsparseL19gebsrmvn_2xn_kernelILj128ELj11ELj64EfEEvi20rocsparse_direction_NS_24const_host_device_scalarIT2_EEPKiS6_PKS3_S8_S4_PS3_21rocsparse_index_base_b,comdat
	.globl	_ZN9rocsparseL19gebsrmvn_2xn_kernelILj128ELj11ELj64EfEEvi20rocsparse_direction_NS_24const_host_device_scalarIT2_EEPKiS6_PKS3_S8_S4_PS3_21rocsparse_index_base_b ; -- Begin function _ZN9rocsparseL19gebsrmvn_2xn_kernelILj128ELj11ELj64EfEEvi20rocsparse_direction_NS_24const_host_device_scalarIT2_EEPKiS6_PKS3_S8_S4_PS3_21rocsparse_index_base_b
	.p2align	8
	.type	_ZN9rocsparseL19gebsrmvn_2xn_kernelILj128ELj11ELj64EfEEvi20rocsparse_direction_NS_24const_host_device_scalarIT2_EEPKiS6_PKS3_S8_S4_PS3_21rocsparse_index_base_b,@function
_ZN9rocsparseL19gebsrmvn_2xn_kernelILj128ELj11ELj64EfEEvi20rocsparse_direction_NS_24const_host_device_scalarIT2_EEPKiS6_PKS3_S8_S4_PS3_21rocsparse_index_base_b: ; @_ZN9rocsparseL19gebsrmvn_2xn_kernelILj128ELj11ELj64EfEEvi20rocsparse_direction_NS_24const_host_device_scalarIT2_EEPKiS6_PKS3_S8_S4_PS3_21rocsparse_index_base_b
; %bb.0:
	s_clause 0x2
	s_load_dwordx2 s[18:19], s[4:5], 0x40
	s_load_dwordx2 s[16:17], s[4:5], 0x8
	;; [unrolled: 1-line block ×3, first 2 shown]
	s_waitcnt lgkmcnt(0)
	s_bitcmp1_b32 s19, 0
	s_cselect_b32 s0, -1, 0
	s_and_b32 vcc_lo, exec_lo, s0
	s_xor_b32 s0, s0, -1
	s_cbranch_vccnz .LBB49_2
; %bb.1:
	s_load_dword s16, s[16:17], 0x0
.LBB49_2:
	s_andn2_b32 vcc_lo, exec_lo, s0
	s_cbranch_vccnz .LBB49_4
; %bb.3:
	s_load_dword s2, s[2:3], 0x0
.LBB49_4:
	s_waitcnt lgkmcnt(0)
	v_cmp_eq_f32_e64 s0, s16, 0
	v_cmp_eq_f32_e64 s1, s2, 1.0
	s_and_b32 s0, s0, s1
	s_and_b32 vcc_lo, exec_lo, s0
	s_cbranch_vccnz .LBB49_23
; %bb.5:
	s_load_dwordx2 s[0:1], s[4:5], 0x0
	v_lshrrev_b32_e32 v1, 6, v0
	v_lshl_or_b32 v1, s6, 1, v1
	s_waitcnt lgkmcnt(0)
	v_cmp_gt_i32_e32 vcc_lo, s0, v1
	s_and_saveexec_b32 s0, vcc_lo
	s_cbranch_execz .LBB49_23
; %bb.6:
	s_load_dwordx8 s[8:15], s[4:5], 0x10
	v_ashrrev_i32_e32 v2, 31, v1
	v_and_b32_e32 v0, 63, v0
	s_cmp_lg_u32 s1, 0
	v_lshlrev_b64 v[2:3], 2, v[1:2]
	s_waitcnt lgkmcnt(0)
	v_add_co_u32 v2, vcc_lo, s8, v2
	v_add_co_ci_u32_e64 v3, null, s9, v3, vcc_lo
	global_load_dwordx2 v[2:3], v[2:3], off
	s_waitcnt vmcnt(0)
	v_subrev_nc_u32_e32 v2, s18, v2
	v_subrev_nc_u32_e32 v11, s18, v3
	v_add_nc_u32_e32 v2, v2, v0
	v_cmp_lt_i32_e64 s0, v2, v11
	s_cbranch_scc0 .LBB49_12
; %bb.7:
	v_mov_b32_e32 v9, 0
	v_mov_b32_e32 v10, 0
	s_and_saveexec_b32 s1, s0
	s_cbranch_execz .LBB49_11
; %bb.8:
	v_mad_u64_u32 v[3:4], null, v2, 22, 20
	v_mov_b32_e32 v6, 0
	v_mov_b32_e32 v7, v2
	v_mov_b32_e32 v9, 0
	v_mov_b32_e32 v10, 0
	s_mov_b32 s3, 0
.LBB49_9:                               ; =>This Inner Loop Header: Depth=1
	v_ashrrev_i32_e32 v8, 31, v7
	v_mov_b32_e32 v13, v6
	v_lshlrev_b64 v[4:5], 2, v[7:8]
	v_add_nc_u32_e32 v7, 64, v7
	v_add_co_u32 v4, vcc_lo, s10, v4
	v_add_co_ci_u32_e64 v5, null, s11, v5, vcc_lo
	global_load_dword v8, v[4:5], off
	v_subrev_nc_u32_e32 v5, 20, v3
	v_mov_b32_e32 v4, v6
	v_lshlrev_b64 v[14:15], 2, v[5:6]
	v_subrev_nc_u32_e32 v5, 18, v3
	v_lshlrev_b64 v[16:17], 2, v[3:4]
	v_lshlrev_b64 v[4:5], 2, v[5:6]
	v_add_co_u32 v14, vcc_lo, s12, v14
	v_add_co_ci_u32_e64 v15, null, s13, v15, vcc_lo
	v_add_co_u32 v16, vcc_lo, s12, v16
	v_add_co_ci_u32_e64 v17, null, s13, v17, vcc_lo
	;; [unrolled: 2-line block ×3, first 2 shown]
	s_clause 0x1
	global_load_dwordx2 v[14:15], v[14:15], off
	global_load_dwordx2 v[18:19], v[4:5], off
	s_waitcnt vmcnt(2)
	v_subrev_nc_u32_e32 v4, s18, v8
	v_mul_lo_u32 v12, v4, 11
	v_add_nc_u32_e32 v5, 1, v12
	v_lshlrev_b64 v[20:21], 2, v[12:13]
	v_lshlrev_b64 v[22:23], 2, v[5:6]
	v_add_nc_u32_e32 v5, -16, v3
	v_add_co_u32 v20, vcc_lo, s14, v20
	v_add_co_ci_u32_e64 v21, null, s15, v21, vcc_lo
	v_add_co_u32 v22, vcc_lo, s14, v22
	v_lshlrev_b64 v[24:25], 2, v[5:6]
	v_add_nc_u32_e32 v5, 2, v12
	v_add_co_ci_u32_e64 v23, null, s15, v23, vcc_lo
	s_clause 0x1
	global_load_dword v8, v[20:21], off
	global_load_dword v40, v[22:23], off
	v_lshlrev_b64 v[20:21], 2, v[5:6]
	v_add_nc_u32_e32 v5, -14, v3
	v_add_co_u32 v22, vcc_lo, s12, v24
	v_add_co_ci_u32_e64 v23, null, s13, v25, vcc_lo
	v_lshlrev_b64 v[24:25], 2, v[5:6]
	v_add_nc_u32_e32 v5, 3, v12
	v_add_co_u32 v20, vcc_lo, s14, v20
	v_add_co_ci_u32_e64 v21, null, s15, v21, vcc_lo
	v_lshlrev_b64 v[26:27], 2, v[5:6]
	v_add_nc_u32_e32 v5, -12, v3
	global_load_dwordx2 v[22:23], v[22:23], off
	global_load_dword v41, v[20:21], off
	v_add_co_u32 v20, vcc_lo, s12, v24
	v_add_co_ci_u32_e64 v21, null, s13, v25, vcc_lo
	v_lshlrev_b64 v[24:25], 2, v[5:6]
	v_add_nc_u32_e32 v5, 4, v12
	v_add_co_u32 v26, vcc_lo, s14, v26
	v_add_co_ci_u32_e64 v27, null, s15, v27, vcc_lo
	v_lshlrev_b64 v[28:29], 2, v[5:6]
	v_add_co_u32 v24, vcc_lo, s12, v24
	v_add_co_ci_u32_e64 v25, null, s13, v25, vcc_lo
	v_add_nc_u32_e32 v5, -10, v3
	v_add_co_u32 v28, vcc_lo, s14, v28
	v_add_co_ci_u32_e64 v29, null, s15, v29, vcc_lo
	global_load_dword v42, v[26:27], off
	s_clause 0x1
	global_load_dwordx2 v[24:25], v[24:25], off
	global_load_dwordx2 v[20:21], v[20:21], off
	global_load_dword v43, v[28:29], off
	v_lshlrev_b64 v[26:27], 2, v[5:6]
	v_add_nc_u32_e32 v5, 5, v12
	v_lshlrev_b64 v[30:31], 2, v[5:6]
	v_add_nc_u32_e32 v5, -8, v3
	v_add_co_u32 v26, vcc_lo, s12, v26
	v_add_co_ci_u32_e64 v27, null, s13, v27, vcc_lo
	v_lshlrev_b64 v[28:29], 2, v[5:6]
	v_add_nc_u32_e32 v5, 6, v12
	v_add_co_u32 v30, vcc_lo, s14, v30
	v_add_co_ci_u32_e64 v31, null, s15, v31, vcc_lo
	v_lshlrev_b64 v[32:33], 2, v[5:6]
	v_add_co_u32 v28, vcc_lo, s12, v28
	v_add_co_ci_u32_e64 v29, null, s13, v29, vcc_lo
	v_add_nc_u32_e32 v5, -6, v3
	v_add_co_u32 v32, vcc_lo, s14, v32
	v_add_co_ci_u32_e64 v33, null, s15, v33, vcc_lo
	global_load_dword v44, v[30:31], off
	s_clause 0x1
	global_load_dwordx2 v[26:27], v[26:27], off
	global_load_dwordx2 v[28:29], v[28:29], off
	global_load_dword v45, v[32:33], off
	v_lshlrev_b64 v[30:31], 2, v[5:6]
	v_add_nc_u32_e32 v5, 7, v12
	v_lshlrev_b64 v[34:35], 2, v[5:6]
	v_add_nc_u32_e32 v5, -4, v3
	v_add_co_u32 v30, vcc_lo, s12, v30
	v_add_co_ci_u32_e64 v31, null, s13, v31, vcc_lo
	v_lshlrev_b64 v[32:33], 2, v[5:6]
	v_add_nc_u32_e32 v5, 8, v12
	v_add_co_u32 v34, vcc_lo, s14, v34
	v_add_co_ci_u32_e64 v35, null, s15, v35, vcc_lo
	v_lshlrev_b64 v[36:37], 2, v[5:6]
	v_add_co_u32 v32, vcc_lo, s12, v32
	v_add_co_ci_u32_e64 v33, null, s13, v33, vcc_lo
	v_add_nc_u32_e32 v5, -2, v3
	v_add_co_u32 v36, vcc_lo, s14, v36
	v_add_co_ci_u32_e64 v37, null, s15, v37, vcc_lo
	global_load_dword v46, v[34:35], off
	s_clause 0x1
	global_load_dwordx2 v[30:31], v[30:31], off
	global_load_dwordx2 v[32:33], v[32:33], off
	global_load_dword v36, v[36:37], off
	v_lshlrev_b64 v[34:35], 2, v[5:6]
	v_add_nc_u32_e32 v5, 9, v12
	v_add_nc_u32_e32 v3, 0x580, v3
	v_lshlrev_b64 v[38:39], 2, v[5:6]
	v_add_nc_u32_e32 v5, 10, v12
	v_add_co_u32 v12, vcc_lo, s12, v34
	v_add_co_ci_u32_e64 v13, null, s13, v35, vcc_lo
	v_lshlrev_b64 v[4:5], 2, v[5:6]
	v_add_co_u32 v34, vcc_lo, s14, v38
	v_add_co_ci_u32_e64 v35, null, s15, v39, vcc_lo
	global_load_dwordx2 v[12:13], v[12:13], off
	global_load_dword v34, v[34:35], off
	v_add_co_u32 v4, vcc_lo, s14, v4
	v_add_co_ci_u32_e64 v5, null, s15, v5, vcc_lo
	global_load_dwordx2 v[16:17], v[16:17], off
	global_load_dword v4, v[4:5], off
	v_cmp_ge_i32_e32 vcc_lo, v7, v11
	s_or_b32 s3, vcc_lo, s3
	s_waitcnt vmcnt(19)
	v_fmac_f32_e32 v9, v14, v8
	v_fmac_f32_e32 v10, v15, v8
	s_waitcnt vmcnt(18)
	v_fmac_f32_e32 v9, v18, v40
	v_fmac_f32_e32 v10, v19, v40
	;; [unrolled: 3-line block ×11, first 2 shown]
	s_andn2_b32 exec_lo, exec_lo, s3
	s_cbranch_execnz .LBB49_9
; %bb.10:
	s_or_b32 exec_lo, exec_lo, s3
.LBB49_11:
	s_or_b32 exec_lo, exec_lo, s1
	s_cbranch_execz .LBB49_13
	s_branch .LBB49_18
.LBB49_12:
                                        ; implicit-def: $vgpr9
                                        ; implicit-def: $vgpr10
.LBB49_13:
	v_mov_b32_e32 v9, 0
	v_mov_b32_e32 v10, 0
	s_and_saveexec_b32 s1, s0
	s_cbranch_execz .LBB49_17
; %bb.14:
	v_mad_u64_u32 v[4:5], null, v2, 22, 21
	v_mov_b32_e32 v7, 0
	v_mov_b32_e32 v9, 0
	;; [unrolled: 1-line block ×3, first 2 shown]
	s_mov_b32 s0, 0
.LBB49_15:                              ; =>This Inner Loop Header: Depth=1
	v_ashrrev_i32_e32 v3, 31, v2
	v_add_nc_u32_e32 v12, -10, v4
	v_mov_b32_e32 v13, v7
	v_mov_b32_e32 v14, v7
	v_lshlrev_b64 v[5:6], 2, v[2:3]
	v_add_nc_u32_e32 v2, 64, v2
	v_lshlrev_b64 v[12:13], 2, v[12:13]
	v_add_co_u32 v5, vcc_lo, s10, v5
	v_add_co_ci_u32_e64 v6, null, s11, v6, vcc_lo
	global_load_dword v3, v[5:6], off
	v_subrev_nc_u32_e32 v6, 21, v4
	v_mov_b32_e32 v5, v7
	v_lshlrev_b64 v[15:16], 2, v[6:7]
	v_lshlrev_b64 v[5:6], 2, v[4:5]
	v_add_co_u32 v15, vcc_lo, s12, v15
	v_add_co_ci_u32_e64 v16, null, s13, v16, vcc_lo
	v_add_co_u32 v12, vcc_lo, s12, v12
	v_add_co_ci_u32_e64 v13, null, s13, v13, vcc_lo
	s_clause 0x1
	global_load_dwordx2 v[15:16], v[15:16], off
	global_load_dword v8, v[12:13], off
	v_add_co_u32 v17, vcc_lo, s12, v5
	v_add_co_ci_u32_e64 v18, null, s13, v6, vcc_lo
	s_waitcnt vmcnt(2)
	v_subrev_nc_u32_e32 v3, s18, v3
	v_mul_lo_u32 v13, v3, 11
	v_add_nc_u32_e32 v6, 1, v13
	v_lshlrev_b64 v[19:20], 2, v[13:14]
	v_lshlrev_b64 v[21:22], 2, v[6:7]
	v_add_nc_u32_e32 v6, -9, v4
	v_add_co_u32 v19, vcc_lo, s14, v19
	v_add_co_ci_u32_e64 v20, null, s15, v20, vcc_lo
	v_lshlrev_b64 v[23:24], 2, v[6:7]
	v_subrev_nc_u32_e32 v6, 19, v4
	global_load_dword v3, v[19:20], off
	v_add_co_u32 v19, vcc_lo, s14, v21
	v_add_co_ci_u32_e64 v20, null, s15, v22, vcc_lo
	v_lshlrev_b64 v[21:22], 2, v[6:7]
	v_add_nc_u32_e32 v6, 2, v13
	v_add_co_u32 v23, vcc_lo, s12, v23
	v_add_co_ci_u32_e64 v24, null, s13, v24, vcc_lo
	global_load_dword v14, v[19:20], off
	v_lshlrev_b64 v[19:20], 2, v[6:7]
	v_add_co_u32 v21, vcc_lo, s12, v21
	v_add_nc_u32_e32 v6, -8, v4
	v_add_co_ci_u32_e64 v22, null, s13, v22, vcc_lo
	v_add_co_u32 v19, vcc_lo, s14, v19
	s_clause 0x1
	global_load_dword v25, v[23:24], off
	global_load_dword v26, v[21:22], off
	v_lshlrev_b64 v[23:24], 2, v[6:7]
	v_add_co_ci_u32_e64 v20, null, s15, v20, vcc_lo
	v_subrev_nc_u32_e32 v6, 18, v4
	global_load_dword v27, v[19:20], off
	v_add_co_u32 v19, vcc_lo, s12, v23
	v_add_co_ci_u32_e64 v20, null, s13, v24, vcc_lo
	global_load_dword v28, v[19:20], off
	v_lshlrev_b64 v[21:22], 2, v[6:7]
	v_add_nc_u32_e32 v6, 3, v13
	v_lshlrev_b64 v[23:24], 2, v[6:7]
	v_add_nc_u32_e32 v6, -7, v4
	v_add_co_u32 v21, vcc_lo, s12, v21
	v_add_co_ci_u32_e64 v22, null, s13, v22, vcc_lo
	v_lshlrev_b64 v[19:20], 2, v[6:7]
	v_subrev_nc_u32_e32 v6, 17, v4
	global_load_dword v29, v[21:22], off
	v_add_co_u32 v21, vcc_lo, s14, v23
	v_add_co_ci_u32_e64 v22, null, s15, v24, vcc_lo
	v_lshlrev_b64 v[23:24], 2, v[6:7]
	v_add_nc_u32_e32 v6, 4, v13
	v_add_co_u32 v19, vcc_lo, s12, v19
	v_add_co_ci_u32_e64 v20, null, s13, v20, vcc_lo
	global_load_dword v30, v[21:22], off
	v_lshlrev_b64 v[21:22], 2, v[6:7]
	v_add_nc_u32_e32 v6, -6, v4
	global_load_dword v31, v[19:20], off
	v_add_co_u32 v19, vcc_lo, s12, v23
	v_add_co_ci_u32_e64 v20, null, s13, v24, vcc_lo
	v_lshlrev_b64 v[23:24], 2, v[6:7]
	v_add_nc_u32_e32 v6, -16, v4
	v_add_co_u32 v21, vcc_lo, s14, v21
	v_add_co_ci_u32_e64 v22, null, s15, v22, vcc_lo
	global_load_dword v32, v[19:20], off
	v_lshlrev_b64 v[19:20], 2, v[6:7]
	v_add_nc_u32_e32 v6, 5, v13
	global_load_dword v33, v[21:22], off
	v_add_co_u32 v21, vcc_lo, s12, v23
	v_add_co_ci_u32_e64 v22, null, s13, v24, vcc_lo
	v_add_co_u32 v19, vcc_lo, s12, v19
	v_lshlrev_b64 v[23:24], 2, v[6:7]
	v_add_nc_u32_e32 v6, -5, v4
	v_add_co_ci_u32_e64 v20, null, s13, v20, vcc_lo
	s_clause 0x1
	global_load_dword v34, v[21:22], off
	global_load_dword v35, v[19:20], off
	v_lshlrev_b64 v[21:22], 2, v[6:7]
	v_add_nc_u32_e32 v6, -15, v4
	v_add_co_u32 v19, vcc_lo, s14, v23
	v_add_co_ci_u32_e64 v20, null, s15, v24, vcc_lo
	v_lshlrev_b64 v[23:24], 2, v[6:7]
	v_add_nc_u32_e32 v6, 6, v13
	v_add_co_u32 v21, vcc_lo, s12, v21
	v_add_co_ci_u32_e64 v22, null, s13, v22, vcc_lo
	global_load_dword v36, v[19:20], off
	v_lshlrev_b64 v[19:20], 2, v[6:7]
	v_add_nc_u32_e32 v6, -4, v4
	global_load_dword v37, v[21:22], off
	v_add_co_u32 v21, vcc_lo, s12, v23
	v_add_co_ci_u32_e64 v22, null, s13, v24, vcc_lo
	v_add_co_u32 v19, vcc_lo, s14, v19
	v_lshlrev_b64 v[23:24], 2, v[6:7]
	v_add_co_ci_u32_e64 v20, null, s15, v20, vcc_lo
	v_add_nc_u32_e32 v6, -14, v4
	global_load_dword v38, v[21:22], off
	global_load_dword v39, v[19:20], off
	v_add_co_u32 v19, vcc_lo, s12, v23
	v_add_co_ci_u32_e64 v20, null, s13, v24, vcc_lo
	global_load_dword v40, v[19:20], off
	v_lshlrev_b64 v[21:22], 2, v[6:7]
	v_add_nc_u32_e32 v6, 7, v13
	v_lshlrev_b64 v[23:24], 2, v[6:7]
	v_add_nc_u32_e32 v6, -3, v4
	v_add_co_u32 v21, vcc_lo, s12, v21
	v_add_co_ci_u32_e64 v22, null, s13, v22, vcc_lo
	v_lshlrev_b64 v[19:20], 2, v[6:7]
	v_add_nc_u32_e32 v6, -13, v4
	global_load_dword v41, v[21:22], off
	v_add_co_u32 v21, vcc_lo, s14, v23
	v_add_co_ci_u32_e64 v22, null, s15, v24, vcc_lo
	v_lshlrev_b64 v[23:24], 2, v[6:7]
	v_add_nc_u32_e32 v6, 8, v13
	v_add_co_u32 v19, vcc_lo, s12, v19
	v_add_co_ci_u32_e64 v20, null, s13, v20, vcc_lo
	global_load_dword v42, v[21:22], off
	v_lshlrev_b64 v[21:22], 2, v[6:7]
	v_add_nc_u32_e32 v6, -2, v4
	global_load_dword v43, v[19:20], off
	v_add_co_u32 v19, vcc_lo, s12, v23
	v_add_co_ci_u32_e64 v20, null, s13, v24, vcc_lo
	v_lshlrev_b64 v[23:24], 2, v[6:7]
	v_add_nc_u32_e32 v6, -12, v4
	v_add_co_u32 v21, vcc_lo, s14, v21
	v_add_co_ci_u32_e64 v22, null, s15, v22, vcc_lo
	global_load_dword v44, v[19:20], off
	v_lshlrev_b64 v[19:20], 2, v[6:7]
	v_add_nc_u32_e32 v6, 9, v13
	global_load_dword v45, v[21:22], off
	v_add_co_u32 v21, vcc_lo, s12, v23
	v_add_co_ci_u32_e64 v22, null, s13, v24, vcc_lo
	v_add_co_u32 v19, vcc_lo, s12, v19
	v_lshlrev_b64 v[23:24], 2, v[6:7]
	v_add_nc_u32_e32 v6, -1, v4
	v_add_co_ci_u32_e64 v20, null, s13, v20, vcc_lo
	s_clause 0x1
	global_load_dword v46, v[21:22], off
	global_load_dword v47, v[19:20], off
	v_lshlrev_b64 v[21:22], 2, v[6:7]
	v_add_nc_u32_e32 v6, -11, v4
	v_add_co_u32 v19, vcc_lo, s14, v23
	v_add_co_ci_u32_e64 v20, null, s15, v24, vcc_lo
	v_lshlrev_b64 v[23:24], 2, v[6:7]
	v_add_nc_u32_e32 v6, 10, v13
	v_add_co_u32 v12, vcc_lo, s12, v21
	v_add_co_ci_u32_e64 v13, null, s13, v22, vcc_lo
	v_lshlrev_b64 v[5:6], 2, v[6:7]
	global_load_dword v19, v[19:20], off
	v_add_nc_u32_e32 v4, 0x580, v4
	global_load_dword v20, v[12:13], off
	v_add_co_u32 v12, vcc_lo, s12, v23
	v_add_co_ci_u32_e64 v13, null, s13, v24, vcc_lo
	v_add_co_u32 v5, vcc_lo, s14, v5
	v_add_co_ci_u32_e64 v6, null, s15, v6, vcc_lo
	s_clause 0x1
	global_load_dword v17, v[17:18], off
	global_load_dword v12, v[12:13], off
	global_load_dword v5, v[5:6], off
	v_cmp_ge_i32_e32 vcc_lo, v2, v11
	s_or_b32 s0, vcc_lo, s0
	s_waitcnt vmcnt(29)
	v_fmac_f32_e32 v9, v15, v3
	v_fmac_f32_e32 v10, v8, v3
	s_waitcnt vmcnt(28)
	v_fmac_f32_e32 v9, v16, v14
	s_waitcnt vmcnt(27)
	;; [unrolled: 2-line block ×19, first 2 shown]
	v_fmac_f32_e32 v9, v12, v5
	v_fmac_f32_e32 v10, v17, v5
	s_andn2_b32 exec_lo, exec_lo, s0
	s_cbranch_execnz .LBB49_15
; %bb.16:
	s_or_b32 exec_lo, exec_lo, s0
.LBB49_17:
	s_or_b32 exec_lo, exec_lo, s1
.LBB49_18:
	v_mbcnt_lo_u32_b32 v2, -1, 0
	s_mov_b32 s3, -1
	v_or_b32_e32 v3, 32, v2
	v_xor_b32_e32 v5, 16, v2
	v_xor_b32_e32 v7, 8, v2
	v_cmp_gt_i32_e32 vcc_lo, 32, v3
	v_cndmask_b32_e32 v3, v2, v3, vcc_lo
	v_cmp_gt_i32_e32 vcc_lo, 32, v5
	v_lshlrev_b32_e32 v3, 2, v3
	v_cndmask_b32_e32 v5, v2, v5, vcc_lo
	v_cmp_gt_i32_e32 vcc_lo, 32, v7
	ds_bpermute_b32 v4, v3, v9
	ds_bpermute_b32 v3, v3, v10
	v_lshlrev_b32_e32 v5, 2, v5
	v_cndmask_b32_e32 v7, v2, v7, vcc_lo
	v_lshlrev_b32_e32 v7, 2, v7
	s_waitcnt lgkmcnt(1)
	v_add_f32_e32 v4, v9, v4
	s_waitcnt lgkmcnt(0)
	v_add_f32_e32 v3, v10, v3
	ds_bpermute_b32 v6, v5, v4
	ds_bpermute_b32 v5, v5, v3
	s_waitcnt lgkmcnt(1)
	v_add_f32_e32 v4, v4, v6
	s_waitcnt lgkmcnt(0)
	v_add_f32_e32 v3, v3, v5
	ds_bpermute_b32 v5, v7, v4
	ds_bpermute_b32 v6, v7, v3
	v_xor_b32_e32 v7, 4, v2
	v_cmp_gt_i32_e32 vcc_lo, 32, v7
	v_cndmask_b32_e32 v7, v2, v7, vcc_lo
	v_lshlrev_b32_e32 v7, 2, v7
	s_waitcnt lgkmcnt(1)
	v_add_f32_e32 v4, v4, v5
	s_waitcnt lgkmcnt(0)
	v_add_f32_e32 v3, v3, v6
	ds_bpermute_b32 v5, v7, v4
	ds_bpermute_b32 v6, v7, v3
	v_xor_b32_e32 v7, 2, v2
	v_cmp_gt_i32_e32 vcc_lo, 32, v7
	v_cndmask_b32_e32 v7, v2, v7, vcc_lo
	v_lshlrev_b32_e32 v7, 2, v7
	s_waitcnt lgkmcnt(1)
	v_add_f32_e32 v4, v4, v5
	s_waitcnt lgkmcnt(0)
	v_add_f32_e32 v3, v3, v6
	ds_bpermute_b32 v5, v7, v4
	ds_bpermute_b32 v6, v7, v3
	v_xor_b32_e32 v7, 1, v2
	v_cmp_gt_i32_e32 vcc_lo, 32, v7
	v_cndmask_b32_e32 v2, v2, v7, vcc_lo
	v_cmp_eq_u32_e32 vcc_lo, 63, v0
	v_lshlrev_b32_e32 v7, 2, v2
	s_waitcnt lgkmcnt(1)
	v_add_f32_e32 v2, v4, v5
	s_waitcnt lgkmcnt(0)
	v_add_f32_e32 v3, v3, v6
	ds_bpermute_b32 v4, v7, v2
	ds_bpermute_b32 v5, v7, v3
	s_and_b32 exec_lo, exec_lo, vcc_lo
	s_cbranch_execz .LBB49_23
; %bb.19:
	s_load_dwordx2 s[0:1], s[4:5], 0x38
	s_waitcnt lgkmcnt(0)
	v_add_f32_e32 v0, v2, v4
	v_add_f32_e32 v3, v3, v5
	v_cmp_eq_f32_e64 s4, s2, 0
	v_mul_f32_e32 v2, s16, v0
	v_mul_f32_e32 v3, s16, v3
	v_lshlrev_b32_e32 v0, 1, v1
	s_and_b32 vcc_lo, exec_lo, s4
	s_cbranch_vccz .LBB49_21
; %bb.20:
	v_ashrrev_i32_e32 v1, 31, v0
	s_mov_b32 s3, 0
	v_lshlrev_b64 v[4:5], 2, v[0:1]
	v_add_co_u32 v4, vcc_lo, s0, v4
	v_add_co_ci_u32_e64 v5, null, s1, v5, vcc_lo
	global_store_dwordx2 v[4:5], v[2:3], off
.LBB49_21:
	s_andn2_b32 vcc_lo, exec_lo, s3
	s_cbranch_vccnz .LBB49_23
; %bb.22:
	v_ashrrev_i32_e32 v1, 31, v0
	v_lshlrev_b64 v[0:1], 2, v[0:1]
	v_add_co_u32 v0, vcc_lo, s0, v0
	v_add_co_ci_u32_e64 v1, null, s1, v1, vcc_lo
	global_load_dwordx2 v[4:5], v[0:1], off
	s_waitcnt vmcnt(0)
	v_fmac_f32_e32 v2, s2, v4
	v_fmac_f32_e32 v3, s2, v5
	global_store_dwordx2 v[0:1], v[2:3], off
.LBB49_23:
	s_endpgm
	.section	.rodata,"a",@progbits
	.p2align	6, 0x0
	.amdhsa_kernel _ZN9rocsparseL19gebsrmvn_2xn_kernelILj128ELj11ELj64EfEEvi20rocsparse_direction_NS_24const_host_device_scalarIT2_EEPKiS6_PKS3_S8_S4_PS3_21rocsparse_index_base_b
		.amdhsa_group_segment_fixed_size 0
		.amdhsa_private_segment_fixed_size 0
		.amdhsa_kernarg_size 72
		.amdhsa_user_sgpr_count 6
		.amdhsa_user_sgpr_private_segment_buffer 1
		.amdhsa_user_sgpr_dispatch_ptr 0
		.amdhsa_user_sgpr_queue_ptr 0
		.amdhsa_user_sgpr_kernarg_segment_ptr 1
		.amdhsa_user_sgpr_dispatch_id 0
		.amdhsa_user_sgpr_flat_scratch_init 0
		.amdhsa_user_sgpr_private_segment_size 0
		.amdhsa_wavefront_size32 1
		.amdhsa_uses_dynamic_stack 0
		.amdhsa_system_sgpr_private_segment_wavefront_offset 0
		.amdhsa_system_sgpr_workgroup_id_x 1
		.amdhsa_system_sgpr_workgroup_id_y 0
		.amdhsa_system_sgpr_workgroup_id_z 0
		.amdhsa_system_sgpr_workgroup_info 0
		.amdhsa_system_vgpr_workitem_id 0
		.amdhsa_next_free_vgpr 48
		.amdhsa_next_free_sgpr 20
		.amdhsa_reserve_vcc 1
		.amdhsa_reserve_flat_scratch 0
		.amdhsa_float_round_mode_32 0
		.amdhsa_float_round_mode_16_64 0
		.amdhsa_float_denorm_mode_32 3
		.amdhsa_float_denorm_mode_16_64 3
		.amdhsa_dx10_clamp 1
		.amdhsa_ieee_mode 1
		.amdhsa_fp16_overflow 0
		.amdhsa_workgroup_processor_mode 1
		.amdhsa_memory_ordered 1
		.amdhsa_forward_progress 1
		.amdhsa_shared_vgpr_count 0
		.amdhsa_exception_fp_ieee_invalid_op 0
		.amdhsa_exception_fp_denorm_src 0
		.amdhsa_exception_fp_ieee_div_zero 0
		.amdhsa_exception_fp_ieee_overflow 0
		.amdhsa_exception_fp_ieee_underflow 0
		.amdhsa_exception_fp_ieee_inexact 0
		.amdhsa_exception_int_div_zero 0
	.end_amdhsa_kernel
	.section	.text._ZN9rocsparseL19gebsrmvn_2xn_kernelILj128ELj11ELj64EfEEvi20rocsparse_direction_NS_24const_host_device_scalarIT2_EEPKiS6_PKS3_S8_S4_PS3_21rocsparse_index_base_b,"axG",@progbits,_ZN9rocsparseL19gebsrmvn_2xn_kernelILj128ELj11ELj64EfEEvi20rocsparse_direction_NS_24const_host_device_scalarIT2_EEPKiS6_PKS3_S8_S4_PS3_21rocsparse_index_base_b,comdat
.Lfunc_end49:
	.size	_ZN9rocsparseL19gebsrmvn_2xn_kernelILj128ELj11ELj64EfEEvi20rocsparse_direction_NS_24const_host_device_scalarIT2_EEPKiS6_PKS3_S8_S4_PS3_21rocsparse_index_base_b, .Lfunc_end49-_ZN9rocsparseL19gebsrmvn_2xn_kernelILj128ELj11ELj64EfEEvi20rocsparse_direction_NS_24const_host_device_scalarIT2_EEPKiS6_PKS3_S8_S4_PS3_21rocsparse_index_base_b
                                        ; -- End function
	.set _ZN9rocsparseL19gebsrmvn_2xn_kernelILj128ELj11ELj64EfEEvi20rocsparse_direction_NS_24const_host_device_scalarIT2_EEPKiS6_PKS3_S8_S4_PS3_21rocsparse_index_base_b.num_vgpr, 48
	.set _ZN9rocsparseL19gebsrmvn_2xn_kernelILj128ELj11ELj64EfEEvi20rocsparse_direction_NS_24const_host_device_scalarIT2_EEPKiS6_PKS3_S8_S4_PS3_21rocsparse_index_base_b.num_agpr, 0
	.set _ZN9rocsparseL19gebsrmvn_2xn_kernelILj128ELj11ELj64EfEEvi20rocsparse_direction_NS_24const_host_device_scalarIT2_EEPKiS6_PKS3_S8_S4_PS3_21rocsparse_index_base_b.numbered_sgpr, 20
	.set _ZN9rocsparseL19gebsrmvn_2xn_kernelILj128ELj11ELj64EfEEvi20rocsparse_direction_NS_24const_host_device_scalarIT2_EEPKiS6_PKS3_S8_S4_PS3_21rocsparse_index_base_b.num_named_barrier, 0
	.set _ZN9rocsparseL19gebsrmvn_2xn_kernelILj128ELj11ELj64EfEEvi20rocsparse_direction_NS_24const_host_device_scalarIT2_EEPKiS6_PKS3_S8_S4_PS3_21rocsparse_index_base_b.private_seg_size, 0
	.set _ZN9rocsparseL19gebsrmvn_2xn_kernelILj128ELj11ELj64EfEEvi20rocsparse_direction_NS_24const_host_device_scalarIT2_EEPKiS6_PKS3_S8_S4_PS3_21rocsparse_index_base_b.uses_vcc, 1
	.set _ZN9rocsparseL19gebsrmvn_2xn_kernelILj128ELj11ELj64EfEEvi20rocsparse_direction_NS_24const_host_device_scalarIT2_EEPKiS6_PKS3_S8_S4_PS3_21rocsparse_index_base_b.uses_flat_scratch, 0
	.set _ZN9rocsparseL19gebsrmvn_2xn_kernelILj128ELj11ELj64EfEEvi20rocsparse_direction_NS_24const_host_device_scalarIT2_EEPKiS6_PKS3_S8_S4_PS3_21rocsparse_index_base_b.has_dyn_sized_stack, 0
	.set _ZN9rocsparseL19gebsrmvn_2xn_kernelILj128ELj11ELj64EfEEvi20rocsparse_direction_NS_24const_host_device_scalarIT2_EEPKiS6_PKS3_S8_S4_PS3_21rocsparse_index_base_b.has_recursion, 0
	.set _ZN9rocsparseL19gebsrmvn_2xn_kernelILj128ELj11ELj64EfEEvi20rocsparse_direction_NS_24const_host_device_scalarIT2_EEPKiS6_PKS3_S8_S4_PS3_21rocsparse_index_base_b.has_indirect_call, 0
	.section	.AMDGPU.csdata,"",@progbits
; Kernel info:
; codeLenInByte = 3236
; TotalNumSgprs: 22
; NumVgprs: 48
; ScratchSize: 0
; MemoryBound: 0
; FloatMode: 240
; IeeeMode: 1
; LDSByteSize: 0 bytes/workgroup (compile time only)
; SGPRBlocks: 0
; VGPRBlocks: 5
; NumSGPRsForWavesPerEU: 22
; NumVGPRsForWavesPerEU: 48
; Occupancy: 16
; WaveLimiterHint : 1
; COMPUTE_PGM_RSRC2:SCRATCH_EN: 0
; COMPUTE_PGM_RSRC2:USER_SGPR: 6
; COMPUTE_PGM_RSRC2:TRAP_HANDLER: 0
; COMPUTE_PGM_RSRC2:TGID_X_EN: 1
; COMPUTE_PGM_RSRC2:TGID_Y_EN: 0
; COMPUTE_PGM_RSRC2:TGID_Z_EN: 0
; COMPUTE_PGM_RSRC2:TIDIG_COMP_CNT: 0
	.section	.text._ZN9rocsparseL19gebsrmvn_2xn_kernelILj128ELj12ELj4EfEEvi20rocsparse_direction_NS_24const_host_device_scalarIT2_EEPKiS6_PKS3_S8_S4_PS3_21rocsparse_index_base_b,"axG",@progbits,_ZN9rocsparseL19gebsrmvn_2xn_kernelILj128ELj12ELj4EfEEvi20rocsparse_direction_NS_24const_host_device_scalarIT2_EEPKiS6_PKS3_S8_S4_PS3_21rocsparse_index_base_b,comdat
	.globl	_ZN9rocsparseL19gebsrmvn_2xn_kernelILj128ELj12ELj4EfEEvi20rocsparse_direction_NS_24const_host_device_scalarIT2_EEPKiS6_PKS3_S8_S4_PS3_21rocsparse_index_base_b ; -- Begin function _ZN9rocsparseL19gebsrmvn_2xn_kernelILj128ELj12ELj4EfEEvi20rocsparse_direction_NS_24const_host_device_scalarIT2_EEPKiS6_PKS3_S8_S4_PS3_21rocsparse_index_base_b
	.p2align	8
	.type	_ZN9rocsparseL19gebsrmvn_2xn_kernelILj128ELj12ELj4EfEEvi20rocsparse_direction_NS_24const_host_device_scalarIT2_EEPKiS6_PKS3_S8_S4_PS3_21rocsparse_index_base_b,@function
_ZN9rocsparseL19gebsrmvn_2xn_kernelILj128ELj12ELj4EfEEvi20rocsparse_direction_NS_24const_host_device_scalarIT2_EEPKiS6_PKS3_S8_S4_PS3_21rocsparse_index_base_b: ; @_ZN9rocsparseL19gebsrmvn_2xn_kernelILj128ELj12ELj4EfEEvi20rocsparse_direction_NS_24const_host_device_scalarIT2_EEPKiS6_PKS3_S8_S4_PS3_21rocsparse_index_base_b
; %bb.0:
	s_clause 0x2
	s_load_dwordx2 s[18:19], s[4:5], 0x40
	s_load_dwordx2 s[16:17], s[4:5], 0x8
	;; [unrolled: 1-line block ×3, first 2 shown]
	s_waitcnt lgkmcnt(0)
	s_bitcmp1_b32 s19, 0
	s_cselect_b32 s0, -1, 0
	s_and_b32 vcc_lo, exec_lo, s0
	s_xor_b32 s0, s0, -1
	s_cbranch_vccnz .LBB50_2
; %bb.1:
	s_load_dword s16, s[16:17], 0x0
.LBB50_2:
	s_andn2_b32 vcc_lo, exec_lo, s0
	s_cbranch_vccnz .LBB50_4
; %bb.3:
	s_load_dword s2, s[2:3], 0x0
.LBB50_4:
	s_waitcnt lgkmcnt(0)
	v_cmp_eq_f32_e64 s0, s16, 0
	v_cmp_eq_f32_e64 s1, s2, 1.0
	s_and_b32 s0, s0, s1
	s_and_b32 vcc_lo, exec_lo, s0
	s_cbranch_vccnz .LBB50_23
; %bb.5:
	s_load_dwordx2 s[0:1], s[4:5], 0x0
	v_lshrrev_b32_e32 v1, 2, v0
	v_lshl_or_b32 v1, s6, 5, v1
	s_waitcnt lgkmcnt(0)
	v_cmp_gt_i32_e32 vcc_lo, s0, v1
	s_and_saveexec_b32 s0, vcc_lo
	s_cbranch_execz .LBB50_23
; %bb.6:
	s_load_dwordx8 s[8:15], s[4:5], 0x10
	v_ashrrev_i32_e32 v2, 31, v1
	v_and_b32_e32 v0, 3, v0
	s_cmp_lg_u32 s1, 0
	v_lshlrev_b64 v[2:3], 2, v[1:2]
	s_waitcnt lgkmcnt(0)
	v_add_co_u32 v2, vcc_lo, s8, v2
	v_add_co_ci_u32_e64 v3, null, s9, v3, vcc_lo
	global_load_dwordx2 v[2:3], v[2:3], off
	s_waitcnt vmcnt(0)
	v_subrev_nc_u32_e32 v2, s18, v2
	v_subrev_nc_u32_e32 v11, s18, v3
	v_add_nc_u32_e32 v2, v2, v0
	v_cmp_lt_i32_e64 s0, v2, v11
	s_cbranch_scc0 .LBB50_12
; %bb.7:
	v_mov_b32_e32 v9, 0
	v_mov_b32_e32 v10, 0
	s_and_saveexec_b32 s1, s0
	s_cbranch_execz .LBB50_11
; %bb.8:
	v_mad_u64_u32 v[3:4], null, v2, 24, 22
	v_mov_b32_e32 v6, 0
	v_mov_b32_e32 v7, v2
	;; [unrolled: 1-line block ×4, first 2 shown]
	s_mov_b32 s3, 0
.LBB50_9:                               ; =>This Inner Loop Header: Depth=1
	v_ashrrev_i32_e32 v8, 31, v7
	v_mov_b32_e32 v29, v6
	v_lshlrev_b64 v[4:5], 2, v[7:8]
	v_add_nc_u32_e32 v7, 4, v7
	v_add_co_u32 v4, vcc_lo, s10, v4
	v_add_co_ci_u32_e64 v5, null, s11, v5, vcc_lo
	global_load_dword v8, v[4:5], off
	v_subrev_nc_u32_e32 v5, 22, v3
	v_mov_b32_e32 v4, v6
	v_lshlrev_b64 v[12:13], 2, v[5:6]
	v_add_nc_u32_e32 v5, -14, v3
	v_lshlrev_b64 v[32:33], 2, v[3:4]
	v_lshlrev_b64 v[4:5], 2, v[5:6]
	v_add_co_u32 v16, vcc_lo, s12, v12
	v_add_co_ci_u32_e64 v17, null, s13, v13, vcc_lo
	v_add_co_u32 v4, vcc_lo, s12, v4
	v_add_co_ci_u32_e64 v5, null, s13, v5, vcc_lo
	s_clause 0x2
	global_load_dwordx4 v[12:15], v[16:17], off offset:16
	global_load_dwordx4 v[16:19], v[16:17], off
	global_load_dwordx2 v[34:35], v[4:5], off
	s_waitcnt vmcnt(3)
	v_subrev_nc_u32_e32 v4, s18, v8
	v_mul_lo_u32 v28, v4, 12
	v_add_nc_u32_e32 v5, 4, v28
	v_lshlrev_b64 v[20:21], 2, v[28:29]
	v_lshlrev_b64 v[22:23], 2, v[5:6]
	v_add_nc_u32_e32 v5, -12, v3
	v_add_co_u32 v20, vcc_lo, s14, v20
	v_add_co_ci_u32_e64 v21, null, s15, v21, vcc_lo
	v_lshlrev_b64 v[29:30], 2, v[5:6]
	v_add_nc_u32_e32 v5, -10, v3
	v_add_co_u32 v24, vcc_lo, s14, v22
	v_add_co_ci_u32_e64 v25, null, s15, v23, vcc_lo
	global_load_dwordx4 v[20:23], v[20:21], off
	v_lshlrev_b64 v[36:37], 2, v[5:6]
	v_add_nc_u32_e32 v5, -8, v3
	v_add_co_u32 v29, vcc_lo, s12, v29
	v_add_co_ci_u32_e64 v30, null, s13, v30, vcc_lo
	v_lshlrev_b64 v[38:39], 2, v[5:6]
	v_add_co_u32 v36, vcc_lo, s12, v36
	v_add_co_ci_u32_e64 v37, null, s13, v37, vcc_lo
	v_add_nc_u32_e32 v5, -6, v3
	v_add_co_u32 v38, vcc_lo, s12, v38
	v_add_co_ci_u32_e64 v39, null, s13, v39, vcc_lo
	global_load_dwordx2 v[40:41], v[29:30], off
	global_load_dwordx4 v[24:27], v[24:25], off
	s_clause 0x1
	global_load_dwordx2 v[36:37], v[36:37], off
	global_load_dwordx2 v[38:39], v[38:39], off
	v_lshlrev_b64 v[29:30], 2, v[5:6]
	v_add_nc_u32_e32 v5, 8, v28
	v_lshlrev_b64 v[42:43], 2, v[5:6]
	v_add_nc_u32_e32 v5, -4, v3
	v_add_co_u32 v28, vcc_lo, s12, v29
	v_add_co_ci_u32_e64 v29, null, s13, v30, vcc_lo
	v_lshlrev_b64 v[30:31], 2, v[5:6]
	v_add_nc_u32_e32 v5, -2, v3
	v_add_nc_u32_e32 v3, 0x60, v3
	global_load_dwordx2 v[44:45], v[28:29], off
	v_add_co_u32 v28, vcc_lo, s14, v42
	v_add_co_ci_u32_e64 v29, null, s15, v43, vcc_lo
	v_add_co_u32 v42, vcc_lo, s12, v30
	v_lshlrev_b64 v[4:5], 2, v[5:6]
	v_add_co_ci_u32_e64 v43, null, s13, v31, vcc_lo
	global_load_dwordx4 v[28:31], v[28:29], off
	global_load_dwordx2 v[42:43], v[42:43], off
	v_add_co_u32 v4, vcc_lo, s12, v4
	v_add_co_ci_u32_e64 v5, null, s13, v5, vcc_lo
	v_add_co_u32 v32, vcc_lo, s12, v32
	v_add_co_ci_u32_e64 v33, null, s13, v33, vcc_lo
	s_clause 0x1
	global_load_dwordx2 v[4:5], v[4:5], off
	global_load_dwordx2 v[32:33], v[32:33], off
	v_cmp_ge_i32_e32 vcc_lo, v7, v11
	s_or_b32 s3, vcc_lo, s3
	s_waitcnt vmcnt(9)
	v_fmac_f32_e32 v9, v16, v20
	v_fmac_f32_e32 v10, v17, v20
	;; [unrolled: 1-line block ×8, first 2 shown]
	s_waitcnt vmcnt(7)
	v_fmac_f32_e32 v9, v34, v24
	v_fmac_f32_e32 v10, v35, v24
	;; [unrolled: 1-line block ×4, first 2 shown]
	s_waitcnt vmcnt(6)
	v_fmac_f32_e32 v9, v36, v26
	v_fmac_f32_e32 v10, v37, v26
	s_waitcnt vmcnt(5)
	v_fmac_f32_e32 v9, v38, v27
	v_fmac_f32_e32 v10, v39, v27
	;; [unrolled: 3-line block ×6, first 2 shown]
	s_andn2_b32 exec_lo, exec_lo, s3
	s_cbranch_execnz .LBB50_9
; %bb.10:
	s_or_b32 exec_lo, exec_lo, s3
.LBB50_11:
	s_or_b32 exec_lo, exec_lo, s1
	s_cbranch_execz .LBB50_13
	s_branch .LBB50_18
.LBB50_12:
                                        ; implicit-def: $vgpr9
                                        ; implicit-def: $vgpr10
.LBB50_13:
	v_mov_b32_e32 v9, 0
	v_mov_b32_e32 v10, 0
	s_and_saveexec_b32 s1, s0
	s_cbranch_execz .LBB50_17
; %bb.14:
	v_mad_u64_u32 v[4:5], null, v2, 24, 23
	v_mov_b32_e32 v7, 0
	v_mov_b32_e32 v9, 0
	;; [unrolled: 1-line block ×3, first 2 shown]
	s_mov_b32 s0, 0
.LBB50_15:                              ; =>This Inner Loop Header: Depth=1
	v_ashrrev_i32_e32 v3, 31, v2
	v_add_nc_u32_e32 v12, -11, v4
	v_mov_b32_e32 v13, v7
	v_mov_b32_e32 v29, v7
	v_lshlrev_b64 v[5:6], 2, v[2:3]
	v_add_nc_u32_e32 v2, 4, v2
	v_lshlrev_b64 v[12:13], 2, v[12:13]
	v_add_co_u32 v5, vcc_lo, s10, v5
	v_add_co_ci_u32_e64 v6, null, s11, v6, vcc_lo
	global_load_dword v3, v[5:6], off
	v_subrev_nc_u32_e32 v6, 23, v4
	v_mov_b32_e32 v5, v7
	v_lshlrev_b64 v[14:15], 2, v[6:7]
	v_add_nc_u32_e32 v6, -10, v4
	v_lshlrev_b64 v[16:17], 2, v[4:5]
	v_lshlrev_b64 v[18:19], 2, v[6:7]
	v_add_nc_u32_e32 v6, -9, v4
	v_add_co_u32 v20, vcc_lo, s12, v14
	v_add_co_ci_u32_e64 v21, null, s13, v15, vcc_lo
	v_lshlrev_b64 v[24:25], 2, v[6:7]
	v_add_nc_u32_e32 v6, -8, v4
	v_add_co_u32 v22, vcc_lo, s12, v12
	v_add_co_ci_u32_e64 v23, null, s13, v13, vcc_lo
	v_add_co_u32 v32, vcc_lo, s12, v16
	v_lshlrev_b64 v[5:6], 2, v[6:7]
	v_add_co_ci_u32_e64 v33, null, s13, v17, vcc_lo
	v_add_co_u32 v26, vcc_lo, s12, v18
	v_add_co_ci_u32_e64 v27, null, s13, v19, vcc_lo
	s_clause 0x2
	global_load_dwordx4 v[12:15], v[20:21], off offset:16
	global_load_dwordx4 v[16:19], v[20:21], off
	global_load_dword v8, v[22:23], off
	v_add_co_u32 v20, vcc_lo, s12, v24
	v_add_co_ci_u32_e64 v21, null, s13, v25, vcc_lo
	v_add_co_u32 v5, vcc_lo, s12, v5
	v_add_co_ci_u32_e64 v6, null, s13, v6, vcc_lo
	s_clause 0x2
	global_load_dword v40, v[26:27], off
	global_load_dword v41, v[20:21], off
	;; [unrolled: 1-line block ×3, first 2 shown]
	s_waitcnt vmcnt(6)
	v_subrev_nc_u32_e32 v3, s18, v3
	v_mul_lo_u32 v28, v3, 12
	v_add_nc_u32_e32 v6, 4, v28
	v_lshlrev_b64 v[20:21], 2, v[28:29]
	v_lshlrev_b64 v[22:23], 2, v[6:7]
	v_add_nc_u32_e32 v6, -7, v4
	v_add_co_u32 v20, vcc_lo, s14, v20
	v_add_co_ci_u32_e64 v21, null, s15, v21, vcc_lo
	v_lshlrev_b64 v[29:30], 2, v[6:7]
	v_add_nc_u32_e32 v6, -6, v4
	v_add_co_u32 v24, vcc_lo, s14, v22
	v_add_co_ci_u32_e64 v25, null, s15, v23, vcc_lo
	;; [unrolled: 4-line block ×3, first 2 shown]
	v_add_co_u32 v34, vcc_lo, s12, v34
	v_lshlrev_b64 v[36:37], 2, v[6:7]
	v_add_nc_u32_e32 v6, -4, v4
	v_add_co_ci_u32_e64 v35, null, s13, v35, vcc_lo
	global_load_dword v3, v[29:30], off
	s_clause 0x1
	global_load_dwordx4 v[20:23], v[20:21], off
	global_load_dwordx4 v[24:27], v[24:25], off
	global_load_dword v43, v[34:35], off
	v_lshlrev_b64 v[29:30], 2, v[6:7]
	v_add_nc_u32_e32 v6, -15, v4
	v_add_co_u32 v34, vcc_lo, s12, v36
	v_add_co_ci_u32_e64 v35, null, s13, v37, vcc_lo
	v_lshlrev_b64 v[36:37], 2, v[6:7]
	v_add_nc_u32_e32 v6, 8, v28
	v_add_co_u32 v28, vcc_lo, s12, v29
	v_add_co_ci_u32_e64 v29, null, s13, v30, vcc_lo
	v_lshlrev_b64 v[30:31], 2, v[6:7]
	v_add_nc_u32_e32 v6, -3, v4
	s_clause 0x1
	global_load_dword v44, v[34:35], off
	global_load_dword v45, v[28:29], off
	v_add_co_u32 v28, vcc_lo, s12, v36
	v_lshlrev_b64 v[34:35], 2, v[6:7]
	v_add_nc_u32_e32 v6, -14, v4
	v_add_co_ci_u32_e64 v29, null, s13, v37, vcc_lo
	v_add_co_u32 v30, vcc_lo, s14, v30
	v_lshlrev_b64 v[36:37], 2, v[6:7]
	v_add_nc_u32_e32 v6, -2, v4
	v_add_co_ci_u32_e64 v31, null, s15, v31, vcc_lo
	v_add_co_u32 v34, vcc_lo, s12, v34
	v_add_co_ci_u32_e64 v35, null, s13, v35, vcc_lo
	v_add_co_u32 v36, vcc_lo, s12, v36
	v_lshlrev_b64 v[38:39], 2, v[6:7]
	v_add_nc_u32_e32 v6, -13, v4
	v_add_co_ci_u32_e64 v37, null, s13, v37, vcc_lo
	s_clause 0x2
	global_load_dword v46, v[28:29], off
	global_load_dword v47, v[34:35], off
	;; [unrolled: 1-line block ×3, first 2 shown]
	v_lshlrev_b64 v[34:35], 2, v[6:7]
	v_add_nc_u32_e32 v6, -1, v4
	v_add_co_u32 v36, vcc_lo, s12, v38
	v_add_co_ci_u32_e64 v37, null, s13, v39, vcc_lo
	v_lshlrev_b64 v[38:39], 2, v[6:7]
	v_add_nc_u32_e32 v6, -12, v4
	v_add_co_u32 v34, vcc_lo, s12, v34
	v_add_co_ci_u32_e64 v35, null, s13, v35, vcc_lo
	global_load_dwordx4 v[28:31], v[30:31], off
	v_lshlrev_b64 v[5:6], 2, v[6:7]
	s_clause 0x1
	global_load_dword v36, v[36:37], off
	global_load_dword v37, v[34:35], off
	v_add_co_u32 v34, vcc_lo, s12, v38
	v_add_co_ci_u32_e64 v35, null, s13, v39, vcc_lo
	v_add_co_u32 v5, vcc_lo, s12, v5
	v_add_co_ci_u32_e64 v6, null, s13, v6, vcc_lo
	s_clause 0x2
	global_load_dword v34, v[34:35], off
	global_load_dword v5, v[5:6], off
	;; [unrolled: 1-line block ×3, first 2 shown]
	v_cmp_ge_i32_e32 vcc_lo, v2, v11
	v_add_nc_u32_e32 v4, 0x60, v4
	s_or_b32 s0, vcc_lo, s0
	s_waitcnt vmcnt(13)
	v_fmac_f32_e32 v9, v16, v20
	v_fmac_f32_e32 v10, v8, v20
	;; [unrolled: 1-line block ×8, first 2 shown]
	s_waitcnt vmcnt(12)
	v_fmac_f32_e32 v9, v12, v24
	v_fmac_f32_e32 v10, v3, v24
	;; [unrolled: 1-line block ×3, first 2 shown]
	s_waitcnt vmcnt(11)
	v_fmac_f32_e32 v10, v43, v25
	v_fmac_f32_e32 v9, v14, v26
	s_waitcnt vmcnt(10)
	v_fmac_f32_e32 v10, v44, v26
	v_fmac_f32_e32 v9, v15, v27
	s_waitcnt vmcnt(9)
	v_fmac_f32_e32 v10, v45, v27
	s_waitcnt vmcnt(5)
	v_fmac_f32_e32 v9, v46, v28
	v_fmac_f32_e32 v10, v47, v28
	;; [unrolled: 1-line block ×3, first 2 shown]
	s_waitcnt vmcnt(4)
	v_fmac_f32_e32 v10, v36, v29
	s_waitcnt vmcnt(3)
	v_fmac_f32_e32 v9, v37, v30
	;; [unrolled: 2-line block ×5, first 2 shown]
	s_andn2_b32 exec_lo, exec_lo, s0
	s_cbranch_execnz .LBB50_15
; %bb.16:
	s_or_b32 exec_lo, exec_lo, s0
.LBB50_17:
	s_or_b32 exec_lo, exec_lo, s1
.LBB50_18:
	v_mbcnt_lo_u32_b32 v2, -1, 0
	s_mov_b32 s3, -1
	v_xor_b32_e32 v3, 2, v2
	v_xor_b32_e32 v5, 1, v2
	v_cmp_gt_i32_e32 vcc_lo, 32, v3
	v_cndmask_b32_e32 v3, v2, v3, vcc_lo
	v_cmp_gt_i32_e32 vcc_lo, 32, v5
	v_lshlrev_b32_e32 v3, 2, v3
	v_cndmask_b32_e32 v2, v2, v5, vcc_lo
	v_cmp_eq_u32_e32 vcc_lo, 3, v0
	ds_bpermute_b32 v4, v3, v9
	ds_bpermute_b32 v3, v3, v10
	v_lshlrev_b32_e32 v5, 2, v2
	s_waitcnt lgkmcnt(1)
	v_add_f32_e32 v2, v9, v4
	s_waitcnt lgkmcnt(0)
	v_add_f32_e32 v3, v10, v3
	ds_bpermute_b32 v4, v5, v2
	ds_bpermute_b32 v5, v5, v3
	s_and_b32 exec_lo, exec_lo, vcc_lo
	s_cbranch_execz .LBB50_23
; %bb.19:
	s_load_dwordx2 s[0:1], s[4:5], 0x38
	s_waitcnt lgkmcnt(0)
	v_add_f32_e32 v0, v2, v4
	v_add_f32_e32 v3, v3, v5
	v_cmp_eq_f32_e64 s4, s2, 0
	v_mul_f32_e32 v2, s16, v0
	v_mul_f32_e32 v3, s16, v3
	v_lshlrev_b32_e32 v0, 1, v1
	s_and_b32 vcc_lo, exec_lo, s4
	s_cbranch_vccz .LBB50_21
; %bb.20:
	v_ashrrev_i32_e32 v1, 31, v0
	s_mov_b32 s3, 0
	v_lshlrev_b64 v[4:5], 2, v[0:1]
	v_add_co_u32 v4, vcc_lo, s0, v4
	v_add_co_ci_u32_e64 v5, null, s1, v5, vcc_lo
	global_store_dwordx2 v[4:5], v[2:3], off
.LBB50_21:
	s_andn2_b32 vcc_lo, exec_lo, s3
	s_cbranch_vccnz .LBB50_23
; %bb.22:
	v_ashrrev_i32_e32 v1, 31, v0
	v_lshlrev_b64 v[0:1], 2, v[0:1]
	v_add_co_u32 v0, vcc_lo, s0, v0
	v_add_co_ci_u32_e64 v1, null, s1, v1, vcc_lo
	global_load_dwordx2 v[4:5], v[0:1], off
	s_waitcnt vmcnt(0)
	v_fmac_f32_e32 v2, s2, v4
	v_fmac_f32_e32 v3, s2, v5
	global_store_dwordx2 v[0:1], v[2:3], off
.LBB50_23:
	s_endpgm
	.section	.rodata,"a",@progbits
	.p2align	6, 0x0
	.amdhsa_kernel _ZN9rocsparseL19gebsrmvn_2xn_kernelILj128ELj12ELj4EfEEvi20rocsparse_direction_NS_24const_host_device_scalarIT2_EEPKiS6_PKS3_S8_S4_PS3_21rocsparse_index_base_b
		.amdhsa_group_segment_fixed_size 0
		.amdhsa_private_segment_fixed_size 0
		.amdhsa_kernarg_size 72
		.amdhsa_user_sgpr_count 6
		.amdhsa_user_sgpr_private_segment_buffer 1
		.amdhsa_user_sgpr_dispatch_ptr 0
		.amdhsa_user_sgpr_queue_ptr 0
		.amdhsa_user_sgpr_kernarg_segment_ptr 1
		.amdhsa_user_sgpr_dispatch_id 0
		.amdhsa_user_sgpr_flat_scratch_init 0
		.amdhsa_user_sgpr_private_segment_size 0
		.amdhsa_wavefront_size32 1
		.amdhsa_uses_dynamic_stack 0
		.amdhsa_system_sgpr_private_segment_wavefront_offset 0
		.amdhsa_system_sgpr_workgroup_id_x 1
		.amdhsa_system_sgpr_workgroup_id_y 0
		.amdhsa_system_sgpr_workgroup_id_z 0
		.amdhsa_system_sgpr_workgroup_info 0
		.amdhsa_system_vgpr_workitem_id 0
		.amdhsa_next_free_vgpr 49
		.amdhsa_next_free_sgpr 20
		.amdhsa_reserve_vcc 1
		.amdhsa_reserve_flat_scratch 0
		.amdhsa_float_round_mode_32 0
		.amdhsa_float_round_mode_16_64 0
		.amdhsa_float_denorm_mode_32 3
		.amdhsa_float_denorm_mode_16_64 3
		.amdhsa_dx10_clamp 1
		.amdhsa_ieee_mode 1
		.amdhsa_fp16_overflow 0
		.amdhsa_workgroup_processor_mode 1
		.amdhsa_memory_ordered 1
		.amdhsa_forward_progress 1
		.amdhsa_shared_vgpr_count 0
		.amdhsa_exception_fp_ieee_invalid_op 0
		.amdhsa_exception_fp_denorm_src 0
		.amdhsa_exception_fp_ieee_div_zero 0
		.amdhsa_exception_fp_ieee_overflow 0
		.amdhsa_exception_fp_ieee_underflow 0
		.amdhsa_exception_fp_ieee_inexact 0
		.amdhsa_exception_int_div_zero 0
	.end_amdhsa_kernel
	.section	.text._ZN9rocsparseL19gebsrmvn_2xn_kernelILj128ELj12ELj4EfEEvi20rocsparse_direction_NS_24const_host_device_scalarIT2_EEPKiS6_PKS3_S8_S4_PS3_21rocsparse_index_base_b,"axG",@progbits,_ZN9rocsparseL19gebsrmvn_2xn_kernelILj128ELj12ELj4EfEEvi20rocsparse_direction_NS_24const_host_device_scalarIT2_EEPKiS6_PKS3_S8_S4_PS3_21rocsparse_index_base_b,comdat
.Lfunc_end50:
	.size	_ZN9rocsparseL19gebsrmvn_2xn_kernelILj128ELj12ELj4EfEEvi20rocsparse_direction_NS_24const_host_device_scalarIT2_EEPKiS6_PKS3_S8_S4_PS3_21rocsparse_index_base_b, .Lfunc_end50-_ZN9rocsparseL19gebsrmvn_2xn_kernelILj128ELj12ELj4EfEEvi20rocsparse_direction_NS_24const_host_device_scalarIT2_EEPKiS6_PKS3_S8_S4_PS3_21rocsparse_index_base_b
                                        ; -- End function
	.set _ZN9rocsparseL19gebsrmvn_2xn_kernelILj128ELj12ELj4EfEEvi20rocsparse_direction_NS_24const_host_device_scalarIT2_EEPKiS6_PKS3_S8_S4_PS3_21rocsparse_index_base_b.num_vgpr, 49
	.set _ZN9rocsparseL19gebsrmvn_2xn_kernelILj128ELj12ELj4EfEEvi20rocsparse_direction_NS_24const_host_device_scalarIT2_EEPKiS6_PKS3_S8_S4_PS3_21rocsparse_index_base_b.num_agpr, 0
	.set _ZN9rocsparseL19gebsrmvn_2xn_kernelILj128ELj12ELj4EfEEvi20rocsparse_direction_NS_24const_host_device_scalarIT2_EEPKiS6_PKS3_S8_S4_PS3_21rocsparse_index_base_b.numbered_sgpr, 20
	.set _ZN9rocsparseL19gebsrmvn_2xn_kernelILj128ELj12ELj4EfEEvi20rocsparse_direction_NS_24const_host_device_scalarIT2_EEPKiS6_PKS3_S8_S4_PS3_21rocsparse_index_base_b.num_named_barrier, 0
	.set _ZN9rocsparseL19gebsrmvn_2xn_kernelILj128ELj12ELj4EfEEvi20rocsparse_direction_NS_24const_host_device_scalarIT2_EEPKiS6_PKS3_S8_S4_PS3_21rocsparse_index_base_b.private_seg_size, 0
	.set _ZN9rocsparseL19gebsrmvn_2xn_kernelILj128ELj12ELj4EfEEvi20rocsparse_direction_NS_24const_host_device_scalarIT2_EEPKiS6_PKS3_S8_S4_PS3_21rocsparse_index_base_b.uses_vcc, 1
	.set _ZN9rocsparseL19gebsrmvn_2xn_kernelILj128ELj12ELj4EfEEvi20rocsparse_direction_NS_24const_host_device_scalarIT2_EEPKiS6_PKS3_S8_S4_PS3_21rocsparse_index_base_b.uses_flat_scratch, 0
	.set _ZN9rocsparseL19gebsrmvn_2xn_kernelILj128ELj12ELj4EfEEvi20rocsparse_direction_NS_24const_host_device_scalarIT2_EEPKiS6_PKS3_S8_S4_PS3_21rocsparse_index_base_b.has_dyn_sized_stack, 0
	.set _ZN9rocsparseL19gebsrmvn_2xn_kernelILj128ELj12ELj4EfEEvi20rocsparse_direction_NS_24const_host_device_scalarIT2_EEPKiS6_PKS3_S8_S4_PS3_21rocsparse_index_base_b.has_recursion, 0
	.set _ZN9rocsparseL19gebsrmvn_2xn_kernelILj128ELj12ELj4EfEEvi20rocsparse_direction_NS_24const_host_device_scalarIT2_EEPKiS6_PKS3_S8_S4_PS3_21rocsparse_index_base_b.has_indirect_call, 0
	.section	.AMDGPU.csdata,"",@progbits
; Kernel info:
; codeLenInByte = 2236
; TotalNumSgprs: 22
; NumVgprs: 49
; ScratchSize: 0
; MemoryBound: 0
; FloatMode: 240
; IeeeMode: 1
; LDSByteSize: 0 bytes/workgroup (compile time only)
; SGPRBlocks: 0
; VGPRBlocks: 6
; NumSGPRsForWavesPerEU: 22
; NumVGPRsForWavesPerEU: 49
; Occupancy: 16
; WaveLimiterHint : 1
; COMPUTE_PGM_RSRC2:SCRATCH_EN: 0
; COMPUTE_PGM_RSRC2:USER_SGPR: 6
; COMPUTE_PGM_RSRC2:TRAP_HANDLER: 0
; COMPUTE_PGM_RSRC2:TGID_X_EN: 1
; COMPUTE_PGM_RSRC2:TGID_Y_EN: 0
; COMPUTE_PGM_RSRC2:TGID_Z_EN: 0
; COMPUTE_PGM_RSRC2:TIDIG_COMP_CNT: 0
	.section	.text._ZN9rocsparseL19gebsrmvn_2xn_kernelILj128ELj12ELj8EfEEvi20rocsparse_direction_NS_24const_host_device_scalarIT2_EEPKiS6_PKS3_S8_S4_PS3_21rocsparse_index_base_b,"axG",@progbits,_ZN9rocsparseL19gebsrmvn_2xn_kernelILj128ELj12ELj8EfEEvi20rocsparse_direction_NS_24const_host_device_scalarIT2_EEPKiS6_PKS3_S8_S4_PS3_21rocsparse_index_base_b,comdat
	.globl	_ZN9rocsparseL19gebsrmvn_2xn_kernelILj128ELj12ELj8EfEEvi20rocsparse_direction_NS_24const_host_device_scalarIT2_EEPKiS6_PKS3_S8_S4_PS3_21rocsparse_index_base_b ; -- Begin function _ZN9rocsparseL19gebsrmvn_2xn_kernelILj128ELj12ELj8EfEEvi20rocsparse_direction_NS_24const_host_device_scalarIT2_EEPKiS6_PKS3_S8_S4_PS3_21rocsparse_index_base_b
	.p2align	8
	.type	_ZN9rocsparseL19gebsrmvn_2xn_kernelILj128ELj12ELj8EfEEvi20rocsparse_direction_NS_24const_host_device_scalarIT2_EEPKiS6_PKS3_S8_S4_PS3_21rocsparse_index_base_b,@function
_ZN9rocsparseL19gebsrmvn_2xn_kernelILj128ELj12ELj8EfEEvi20rocsparse_direction_NS_24const_host_device_scalarIT2_EEPKiS6_PKS3_S8_S4_PS3_21rocsparse_index_base_b: ; @_ZN9rocsparseL19gebsrmvn_2xn_kernelILj128ELj12ELj8EfEEvi20rocsparse_direction_NS_24const_host_device_scalarIT2_EEPKiS6_PKS3_S8_S4_PS3_21rocsparse_index_base_b
; %bb.0:
	s_clause 0x2
	s_load_dwordx2 s[18:19], s[4:5], 0x40
	s_load_dwordx2 s[16:17], s[4:5], 0x8
	;; [unrolled: 1-line block ×3, first 2 shown]
	s_waitcnt lgkmcnt(0)
	s_bitcmp1_b32 s19, 0
	s_cselect_b32 s0, -1, 0
	s_and_b32 vcc_lo, exec_lo, s0
	s_xor_b32 s0, s0, -1
	s_cbranch_vccnz .LBB51_2
; %bb.1:
	s_load_dword s16, s[16:17], 0x0
.LBB51_2:
	s_andn2_b32 vcc_lo, exec_lo, s0
	s_cbranch_vccnz .LBB51_4
; %bb.3:
	s_load_dword s2, s[2:3], 0x0
.LBB51_4:
	s_waitcnt lgkmcnt(0)
	v_cmp_eq_f32_e64 s0, s16, 0
	v_cmp_eq_f32_e64 s1, s2, 1.0
	s_and_b32 s0, s0, s1
	s_and_b32 vcc_lo, exec_lo, s0
	s_cbranch_vccnz .LBB51_23
; %bb.5:
	s_load_dwordx2 s[0:1], s[4:5], 0x0
	v_lshrrev_b32_e32 v1, 3, v0
	v_lshl_or_b32 v1, s6, 4, v1
	s_waitcnt lgkmcnt(0)
	v_cmp_gt_i32_e32 vcc_lo, s0, v1
	s_and_saveexec_b32 s0, vcc_lo
	s_cbranch_execz .LBB51_23
; %bb.6:
	s_load_dwordx8 s[8:15], s[4:5], 0x10
	v_ashrrev_i32_e32 v2, 31, v1
	v_and_b32_e32 v0, 7, v0
	s_cmp_lg_u32 s1, 0
	v_lshlrev_b64 v[2:3], 2, v[1:2]
	s_waitcnt lgkmcnt(0)
	v_add_co_u32 v2, vcc_lo, s8, v2
	v_add_co_ci_u32_e64 v3, null, s9, v3, vcc_lo
	global_load_dwordx2 v[2:3], v[2:3], off
	s_waitcnt vmcnt(0)
	v_subrev_nc_u32_e32 v2, s18, v2
	v_subrev_nc_u32_e32 v11, s18, v3
	v_add_nc_u32_e32 v2, v2, v0
	v_cmp_lt_i32_e64 s0, v2, v11
	s_cbranch_scc0 .LBB51_12
; %bb.7:
	v_mov_b32_e32 v9, 0
	v_mov_b32_e32 v10, 0
	s_and_saveexec_b32 s1, s0
	s_cbranch_execz .LBB51_11
; %bb.8:
	v_mad_u64_u32 v[3:4], null, v2, 24, 22
	v_mov_b32_e32 v6, 0
	v_mov_b32_e32 v7, v2
	;; [unrolled: 1-line block ×4, first 2 shown]
	s_mov_b32 s3, 0
.LBB51_9:                               ; =>This Inner Loop Header: Depth=1
	v_ashrrev_i32_e32 v8, 31, v7
	v_mov_b32_e32 v29, v6
	v_lshlrev_b64 v[4:5], 2, v[7:8]
	v_add_nc_u32_e32 v7, 8, v7
	v_add_co_u32 v4, vcc_lo, s10, v4
	v_add_co_ci_u32_e64 v5, null, s11, v5, vcc_lo
	global_load_dword v8, v[4:5], off
	v_subrev_nc_u32_e32 v5, 22, v3
	v_mov_b32_e32 v4, v6
	v_lshlrev_b64 v[12:13], 2, v[5:6]
	v_add_nc_u32_e32 v5, -14, v3
	v_lshlrev_b64 v[32:33], 2, v[3:4]
	v_lshlrev_b64 v[4:5], 2, v[5:6]
	v_add_co_u32 v16, vcc_lo, s12, v12
	v_add_co_ci_u32_e64 v17, null, s13, v13, vcc_lo
	v_add_co_u32 v4, vcc_lo, s12, v4
	v_add_co_ci_u32_e64 v5, null, s13, v5, vcc_lo
	s_clause 0x2
	global_load_dwordx4 v[12:15], v[16:17], off offset:16
	global_load_dwordx4 v[16:19], v[16:17], off
	global_load_dwordx2 v[34:35], v[4:5], off
	s_waitcnt vmcnt(3)
	v_subrev_nc_u32_e32 v4, s18, v8
	v_mul_lo_u32 v28, v4, 12
	v_add_nc_u32_e32 v5, 4, v28
	v_lshlrev_b64 v[20:21], 2, v[28:29]
	v_lshlrev_b64 v[22:23], 2, v[5:6]
	v_add_nc_u32_e32 v5, -12, v3
	v_add_co_u32 v20, vcc_lo, s14, v20
	v_add_co_ci_u32_e64 v21, null, s15, v21, vcc_lo
	v_lshlrev_b64 v[29:30], 2, v[5:6]
	v_add_nc_u32_e32 v5, -10, v3
	v_add_co_u32 v24, vcc_lo, s14, v22
	v_add_co_ci_u32_e64 v25, null, s15, v23, vcc_lo
	global_load_dwordx4 v[20:23], v[20:21], off
	v_lshlrev_b64 v[36:37], 2, v[5:6]
	v_add_nc_u32_e32 v5, -8, v3
	v_add_co_u32 v29, vcc_lo, s12, v29
	v_add_co_ci_u32_e64 v30, null, s13, v30, vcc_lo
	v_lshlrev_b64 v[38:39], 2, v[5:6]
	v_add_co_u32 v36, vcc_lo, s12, v36
	v_add_co_ci_u32_e64 v37, null, s13, v37, vcc_lo
	v_add_nc_u32_e32 v5, -6, v3
	v_add_co_u32 v38, vcc_lo, s12, v38
	v_add_co_ci_u32_e64 v39, null, s13, v39, vcc_lo
	global_load_dwordx2 v[40:41], v[29:30], off
	global_load_dwordx4 v[24:27], v[24:25], off
	s_clause 0x1
	global_load_dwordx2 v[36:37], v[36:37], off
	global_load_dwordx2 v[38:39], v[38:39], off
	v_lshlrev_b64 v[29:30], 2, v[5:6]
	v_add_nc_u32_e32 v5, 8, v28
	v_lshlrev_b64 v[42:43], 2, v[5:6]
	v_add_nc_u32_e32 v5, -4, v3
	v_add_co_u32 v28, vcc_lo, s12, v29
	v_add_co_ci_u32_e64 v29, null, s13, v30, vcc_lo
	v_lshlrev_b64 v[30:31], 2, v[5:6]
	v_add_nc_u32_e32 v5, -2, v3
	v_add_nc_u32_e32 v3, 0xc0, v3
	global_load_dwordx2 v[44:45], v[28:29], off
	v_add_co_u32 v28, vcc_lo, s14, v42
	v_add_co_ci_u32_e64 v29, null, s15, v43, vcc_lo
	v_add_co_u32 v42, vcc_lo, s12, v30
	v_lshlrev_b64 v[4:5], 2, v[5:6]
	v_add_co_ci_u32_e64 v43, null, s13, v31, vcc_lo
	global_load_dwordx4 v[28:31], v[28:29], off
	global_load_dwordx2 v[42:43], v[42:43], off
	v_add_co_u32 v4, vcc_lo, s12, v4
	v_add_co_ci_u32_e64 v5, null, s13, v5, vcc_lo
	v_add_co_u32 v32, vcc_lo, s12, v32
	v_add_co_ci_u32_e64 v33, null, s13, v33, vcc_lo
	s_clause 0x1
	global_load_dwordx2 v[4:5], v[4:5], off
	global_load_dwordx2 v[32:33], v[32:33], off
	v_cmp_ge_i32_e32 vcc_lo, v7, v11
	s_or_b32 s3, vcc_lo, s3
	s_waitcnt vmcnt(9)
	v_fmac_f32_e32 v9, v16, v20
	v_fmac_f32_e32 v10, v17, v20
	;; [unrolled: 1-line block ×8, first 2 shown]
	s_waitcnt vmcnt(7)
	v_fmac_f32_e32 v9, v34, v24
	v_fmac_f32_e32 v10, v35, v24
	v_fmac_f32_e32 v9, v40, v25
	v_fmac_f32_e32 v10, v41, v25
	s_waitcnt vmcnt(6)
	v_fmac_f32_e32 v9, v36, v26
	v_fmac_f32_e32 v10, v37, v26
	s_waitcnt vmcnt(5)
	v_fmac_f32_e32 v9, v38, v27
	v_fmac_f32_e32 v10, v39, v27
	;; [unrolled: 3-line block ×6, first 2 shown]
	s_andn2_b32 exec_lo, exec_lo, s3
	s_cbranch_execnz .LBB51_9
; %bb.10:
	s_or_b32 exec_lo, exec_lo, s3
.LBB51_11:
	s_or_b32 exec_lo, exec_lo, s1
	s_cbranch_execz .LBB51_13
	s_branch .LBB51_18
.LBB51_12:
                                        ; implicit-def: $vgpr9
                                        ; implicit-def: $vgpr10
.LBB51_13:
	v_mov_b32_e32 v9, 0
	v_mov_b32_e32 v10, 0
	s_and_saveexec_b32 s1, s0
	s_cbranch_execz .LBB51_17
; %bb.14:
	v_mad_u64_u32 v[4:5], null, v2, 24, 23
	v_mov_b32_e32 v7, 0
	v_mov_b32_e32 v9, 0
	v_mov_b32_e32 v10, 0
	s_mov_b32 s0, 0
.LBB51_15:                              ; =>This Inner Loop Header: Depth=1
	v_ashrrev_i32_e32 v3, 31, v2
	v_add_nc_u32_e32 v12, -11, v4
	v_mov_b32_e32 v13, v7
	v_mov_b32_e32 v29, v7
	v_lshlrev_b64 v[5:6], 2, v[2:3]
	v_add_nc_u32_e32 v2, 8, v2
	v_lshlrev_b64 v[12:13], 2, v[12:13]
	v_add_co_u32 v5, vcc_lo, s10, v5
	v_add_co_ci_u32_e64 v6, null, s11, v6, vcc_lo
	global_load_dword v3, v[5:6], off
	v_subrev_nc_u32_e32 v6, 23, v4
	v_mov_b32_e32 v5, v7
	v_lshlrev_b64 v[14:15], 2, v[6:7]
	v_add_nc_u32_e32 v6, -10, v4
	v_lshlrev_b64 v[16:17], 2, v[4:5]
	v_lshlrev_b64 v[18:19], 2, v[6:7]
	v_add_nc_u32_e32 v6, -9, v4
	v_add_co_u32 v20, vcc_lo, s12, v14
	v_add_co_ci_u32_e64 v21, null, s13, v15, vcc_lo
	v_lshlrev_b64 v[24:25], 2, v[6:7]
	v_add_nc_u32_e32 v6, -8, v4
	v_add_co_u32 v22, vcc_lo, s12, v12
	v_add_co_ci_u32_e64 v23, null, s13, v13, vcc_lo
	v_add_co_u32 v32, vcc_lo, s12, v16
	v_lshlrev_b64 v[5:6], 2, v[6:7]
	v_add_co_ci_u32_e64 v33, null, s13, v17, vcc_lo
	v_add_co_u32 v26, vcc_lo, s12, v18
	v_add_co_ci_u32_e64 v27, null, s13, v19, vcc_lo
	s_clause 0x2
	global_load_dwordx4 v[12:15], v[20:21], off offset:16
	global_load_dwordx4 v[16:19], v[20:21], off
	global_load_dword v8, v[22:23], off
	v_add_co_u32 v20, vcc_lo, s12, v24
	v_add_co_ci_u32_e64 v21, null, s13, v25, vcc_lo
	v_add_co_u32 v5, vcc_lo, s12, v5
	v_add_co_ci_u32_e64 v6, null, s13, v6, vcc_lo
	s_clause 0x2
	global_load_dword v40, v[26:27], off
	global_load_dword v41, v[20:21], off
	;; [unrolled: 1-line block ×3, first 2 shown]
	s_waitcnt vmcnt(6)
	v_subrev_nc_u32_e32 v3, s18, v3
	v_mul_lo_u32 v28, v3, 12
	v_add_nc_u32_e32 v6, 4, v28
	v_lshlrev_b64 v[20:21], 2, v[28:29]
	v_lshlrev_b64 v[22:23], 2, v[6:7]
	v_add_nc_u32_e32 v6, -7, v4
	v_add_co_u32 v20, vcc_lo, s14, v20
	v_add_co_ci_u32_e64 v21, null, s15, v21, vcc_lo
	v_lshlrev_b64 v[29:30], 2, v[6:7]
	v_add_nc_u32_e32 v6, -6, v4
	v_add_co_u32 v24, vcc_lo, s14, v22
	v_add_co_ci_u32_e64 v25, null, s15, v23, vcc_lo
	;; [unrolled: 4-line block ×3, first 2 shown]
	v_add_co_u32 v34, vcc_lo, s12, v34
	v_lshlrev_b64 v[36:37], 2, v[6:7]
	v_add_nc_u32_e32 v6, -4, v4
	v_add_co_ci_u32_e64 v35, null, s13, v35, vcc_lo
	global_load_dword v3, v[29:30], off
	s_clause 0x1
	global_load_dwordx4 v[20:23], v[20:21], off
	global_load_dwordx4 v[24:27], v[24:25], off
	global_load_dword v43, v[34:35], off
	v_lshlrev_b64 v[29:30], 2, v[6:7]
	v_add_nc_u32_e32 v6, -15, v4
	v_add_co_u32 v34, vcc_lo, s12, v36
	v_add_co_ci_u32_e64 v35, null, s13, v37, vcc_lo
	v_lshlrev_b64 v[36:37], 2, v[6:7]
	v_add_nc_u32_e32 v6, 8, v28
	v_add_co_u32 v28, vcc_lo, s12, v29
	v_add_co_ci_u32_e64 v29, null, s13, v30, vcc_lo
	v_lshlrev_b64 v[30:31], 2, v[6:7]
	v_add_nc_u32_e32 v6, -3, v4
	s_clause 0x1
	global_load_dword v44, v[34:35], off
	global_load_dword v45, v[28:29], off
	v_add_co_u32 v28, vcc_lo, s12, v36
	v_lshlrev_b64 v[34:35], 2, v[6:7]
	v_add_nc_u32_e32 v6, -14, v4
	v_add_co_ci_u32_e64 v29, null, s13, v37, vcc_lo
	v_add_co_u32 v30, vcc_lo, s14, v30
	v_lshlrev_b64 v[36:37], 2, v[6:7]
	v_add_nc_u32_e32 v6, -2, v4
	v_add_co_ci_u32_e64 v31, null, s15, v31, vcc_lo
	v_add_co_u32 v34, vcc_lo, s12, v34
	v_add_co_ci_u32_e64 v35, null, s13, v35, vcc_lo
	v_add_co_u32 v36, vcc_lo, s12, v36
	v_lshlrev_b64 v[38:39], 2, v[6:7]
	v_add_nc_u32_e32 v6, -13, v4
	v_add_co_ci_u32_e64 v37, null, s13, v37, vcc_lo
	s_clause 0x2
	global_load_dword v46, v[28:29], off
	global_load_dword v47, v[34:35], off
	;; [unrolled: 1-line block ×3, first 2 shown]
	v_lshlrev_b64 v[34:35], 2, v[6:7]
	v_add_nc_u32_e32 v6, -1, v4
	v_add_co_u32 v36, vcc_lo, s12, v38
	v_add_co_ci_u32_e64 v37, null, s13, v39, vcc_lo
	v_lshlrev_b64 v[38:39], 2, v[6:7]
	v_add_nc_u32_e32 v6, -12, v4
	v_add_co_u32 v34, vcc_lo, s12, v34
	v_add_co_ci_u32_e64 v35, null, s13, v35, vcc_lo
	global_load_dwordx4 v[28:31], v[30:31], off
	v_lshlrev_b64 v[5:6], 2, v[6:7]
	s_clause 0x1
	global_load_dword v36, v[36:37], off
	global_load_dword v37, v[34:35], off
	v_add_co_u32 v34, vcc_lo, s12, v38
	v_add_co_ci_u32_e64 v35, null, s13, v39, vcc_lo
	v_add_co_u32 v5, vcc_lo, s12, v5
	v_add_co_ci_u32_e64 v6, null, s13, v6, vcc_lo
	s_clause 0x2
	global_load_dword v34, v[34:35], off
	global_load_dword v5, v[5:6], off
	;; [unrolled: 1-line block ×3, first 2 shown]
	v_cmp_ge_i32_e32 vcc_lo, v2, v11
	v_add_nc_u32_e32 v4, 0xc0, v4
	s_or_b32 s0, vcc_lo, s0
	s_waitcnt vmcnt(13)
	v_fmac_f32_e32 v9, v16, v20
	v_fmac_f32_e32 v10, v8, v20
	;; [unrolled: 1-line block ×8, first 2 shown]
	s_waitcnt vmcnt(12)
	v_fmac_f32_e32 v9, v12, v24
	v_fmac_f32_e32 v10, v3, v24
	;; [unrolled: 1-line block ×3, first 2 shown]
	s_waitcnt vmcnt(11)
	v_fmac_f32_e32 v10, v43, v25
	v_fmac_f32_e32 v9, v14, v26
	s_waitcnt vmcnt(10)
	v_fmac_f32_e32 v10, v44, v26
	v_fmac_f32_e32 v9, v15, v27
	s_waitcnt vmcnt(9)
	v_fmac_f32_e32 v10, v45, v27
	s_waitcnt vmcnt(5)
	v_fmac_f32_e32 v9, v46, v28
	v_fmac_f32_e32 v10, v47, v28
	;; [unrolled: 1-line block ×3, first 2 shown]
	s_waitcnt vmcnt(4)
	v_fmac_f32_e32 v10, v36, v29
	s_waitcnt vmcnt(3)
	v_fmac_f32_e32 v9, v37, v30
	s_waitcnt vmcnt(2)
	v_fmac_f32_e32 v10, v34, v30
	s_waitcnt vmcnt(1)
	v_fmac_f32_e32 v9, v5, v31
	s_waitcnt vmcnt(0)
	v_fmac_f32_e32 v10, v6, v31
	s_andn2_b32 exec_lo, exec_lo, s0
	s_cbranch_execnz .LBB51_15
; %bb.16:
	s_or_b32 exec_lo, exec_lo, s0
.LBB51_17:
	s_or_b32 exec_lo, exec_lo, s1
.LBB51_18:
	v_mbcnt_lo_u32_b32 v2, -1, 0
	s_mov_b32 s3, -1
	v_xor_b32_e32 v3, 4, v2
	v_xor_b32_e32 v5, 2, v2
	;; [unrolled: 1-line block ×3, first 2 shown]
	v_cmp_gt_i32_e32 vcc_lo, 32, v3
	v_cndmask_b32_e32 v3, v2, v3, vcc_lo
	v_cmp_gt_i32_e32 vcc_lo, 32, v5
	v_lshlrev_b32_e32 v3, 2, v3
	v_cndmask_b32_e32 v5, v2, v5, vcc_lo
	v_cmp_gt_i32_e32 vcc_lo, 32, v7
	ds_bpermute_b32 v4, v3, v9
	ds_bpermute_b32 v3, v3, v10
	v_lshlrev_b32_e32 v5, 2, v5
	v_cndmask_b32_e32 v2, v2, v7, vcc_lo
	v_cmp_eq_u32_e32 vcc_lo, 7, v0
	v_lshlrev_b32_e32 v7, 2, v2
	s_waitcnt lgkmcnt(1)
	v_add_f32_e32 v4, v9, v4
	s_waitcnt lgkmcnt(0)
	v_add_f32_e32 v3, v10, v3
	ds_bpermute_b32 v6, v5, v4
	ds_bpermute_b32 v5, v5, v3
	s_waitcnt lgkmcnt(1)
	v_add_f32_e32 v2, v4, v6
	s_waitcnt lgkmcnt(0)
	v_add_f32_e32 v3, v3, v5
	ds_bpermute_b32 v4, v7, v2
	ds_bpermute_b32 v5, v7, v3
	s_and_b32 exec_lo, exec_lo, vcc_lo
	s_cbranch_execz .LBB51_23
; %bb.19:
	s_load_dwordx2 s[0:1], s[4:5], 0x38
	s_waitcnt lgkmcnt(0)
	v_add_f32_e32 v0, v2, v4
	v_add_f32_e32 v3, v3, v5
	v_cmp_eq_f32_e64 s4, s2, 0
	v_mul_f32_e32 v2, s16, v0
	v_mul_f32_e32 v3, s16, v3
	v_lshlrev_b32_e32 v0, 1, v1
	s_and_b32 vcc_lo, exec_lo, s4
	s_cbranch_vccz .LBB51_21
; %bb.20:
	v_ashrrev_i32_e32 v1, 31, v0
	s_mov_b32 s3, 0
	v_lshlrev_b64 v[4:5], 2, v[0:1]
	v_add_co_u32 v4, vcc_lo, s0, v4
	v_add_co_ci_u32_e64 v5, null, s1, v5, vcc_lo
	global_store_dwordx2 v[4:5], v[2:3], off
.LBB51_21:
	s_andn2_b32 vcc_lo, exec_lo, s3
	s_cbranch_vccnz .LBB51_23
; %bb.22:
	v_ashrrev_i32_e32 v1, 31, v0
	v_lshlrev_b64 v[0:1], 2, v[0:1]
	v_add_co_u32 v0, vcc_lo, s0, v0
	v_add_co_ci_u32_e64 v1, null, s1, v1, vcc_lo
	global_load_dwordx2 v[4:5], v[0:1], off
	s_waitcnt vmcnt(0)
	v_fmac_f32_e32 v2, s2, v4
	v_fmac_f32_e32 v3, s2, v5
	global_store_dwordx2 v[0:1], v[2:3], off
.LBB51_23:
	s_endpgm
	.section	.rodata,"a",@progbits
	.p2align	6, 0x0
	.amdhsa_kernel _ZN9rocsparseL19gebsrmvn_2xn_kernelILj128ELj12ELj8EfEEvi20rocsparse_direction_NS_24const_host_device_scalarIT2_EEPKiS6_PKS3_S8_S4_PS3_21rocsparse_index_base_b
		.amdhsa_group_segment_fixed_size 0
		.amdhsa_private_segment_fixed_size 0
		.amdhsa_kernarg_size 72
		.amdhsa_user_sgpr_count 6
		.amdhsa_user_sgpr_private_segment_buffer 1
		.amdhsa_user_sgpr_dispatch_ptr 0
		.amdhsa_user_sgpr_queue_ptr 0
		.amdhsa_user_sgpr_kernarg_segment_ptr 1
		.amdhsa_user_sgpr_dispatch_id 0
		.amdhsa_user_sgpr_flat_scratch_init 0
		.amdhsa_user_sgpr_private_segment_size 0
		.amdhsa_wavefront_size32 1
		.amdhsa_uses_dynamic_stack 0
		.amdhsa_system_sgpr_private_segment_wavefront_offset 0
		.amdhsa_system_sgpr_workgroup_id_x 1
		.amdhsa_system_sgpr_workgroup_id_y 0
		.amdhsa_system_sgpr_workgroup_id_z 0
		.amdhsa_system_sgpr_workgroup_info 0
		.amdhsa_system_vgpr_workitem_id 0
		.amdhsa_next_free_vgpr 49
		.amdhsa_next_free_sgpr 20
		.amdhsa_reserve_vcc 1
		.amdhsa_reserve_flat_scratch 0
		.amdhsa_float_round_mode_32 0
		.amdhsa_float_round_mode_16_64 0
		.amdhsa_float_denorm_mode_32 3
		.amdhsa_float_denorm_mode_16_64 3
		.amdhsa_dx10_clamp 1
		.amdhsa_ieee_mode 1
		.amdhsa_fp16_overflow 0
		.amdhsa_workgroup_processor_mode 1
		.amdhsa_memory_ordered 1
		.amdhsa_forward_progress 1
		.amdhsa_shared_vgpr_count 0
		.amdhsa_exception_fp_ieee_invalid_op 0
		.amdhsa_exception_fp_denorm_src 0
		.amdhsa_exception_fp_ieee_div_zero 0
		.amdhsa_exception_fp_ieee_overflow 0
		.amdhsa_exception_fp_ieee_underflow 0
		.amdhsa_exception_fp_ieee_inexact 0
		.amdhsa_exception_int_div_zero 0
	.end_amdhsa_kernel
	.section	.text._ZN9rocsparseL19gebsrmvn_2xn_kernelILj128ELj12ELj8EfEEvi20rocsparse_direction_NS_24const_host_device_scalarIT2_EEPKiS6_PKS3_S8_S4_PS3_21rocsparse_index_base_b,"axG",@progbits,_ZN9rocsparseL19gebsrmvn_2xn_kernelILj128ELj12ELj8EfEEvi20rocsparse_direction_NS_24const_host_device_scalarIT2_EEPKiS6_PKS3_S8_S4_PS3_21rocsparse_index_base_b,comdat
.Lfunc_end51:
	.size	_ZN9rocsparseL19gebsrmvn_2xn_kernelILj128ELj12ELj8EfEEvi20rocsparse_direction_NS_24const_host_device_scalarIT2_EEPKiS6_PKS3_S8_S4_PS3_21rocsparse_index_base_b, .Lfunc_end51-_ZN9rocsparseL19gebsrmvn_2xn_kernelILj128ELj12ELj8EfEEvi20rocsparse_direction_NS_24const_host_device_scalarIT2_EEPKiS6_PKS3_S8_S4_PS3_21rocsparse_index_base_b
                                        ; -- End function
	.set _ZN9rocsparseL19gebsrmvn_2xn_kernelILj128ELj12ELj8EfEEvi20rocsparse_direction_NS_24const_host_device_scalarIT2_EEPKiS6_PKS3_S8_S4_PS3_21rocsparse_index_base_b.num_vgpr, 49
	.set _ZN9rocsparseL19gebsrmvn_2xn_kernelILj128ELj12ELj8EfEEvi20rocsparse_direction_NS_24const_host_device_scalarIT2_EEPKiS6_PKS3_S8_S4_PS3_21rocsparse_index_base_b.num_agpr, 0
	.set _ZN9rocsparseL19gebsrmvn_2xn_kernelILj128ELj12ELj8EfEEvi20rocsparse_direction_NS_24const_host_device_scalarIT2_EEPKiS6_PKS3_S8_S4_PS3_21rocsparse_index_base_b.numbered_sgpr, 20
	.set _ZN9rocsparseL19gebsrmvn_2xn_kernelILj128ELj12ELj8EfEEvi20rocsparse_direction_NS_24const_host_device_scalarIT2_EEPKiS6_PKS3_S8_S4_PS3_21rocsparse_index_base_b.num_named_barrier, 0
	.set _ZN9rocsparseL19gebsrmvn_2xn_kernelILj128ELj12ELj8EfEEvi20rocsparse_direction_NS_24const_host_device_scalarIT2_EEPKiS6_PKS3_S8_S4_PS3_21rocsparse_index_base_b.private_seg_size, 0
	.set _ZN9rocsparseL19gebsrmvn_2xn_kernelILj128ELj12ELj8EfEEvi20rocsparse_direction_NS_24const_host_device_scalarIT2_EEPKiS6_PKS3_S8_S4_PS3_21rocsparse_index_base_b.uses_vcc, 1
	.set _ZN9rocsparseL19gebsrmvn_2xn_kernelILj128ELj12ELj8EfEEvi20rocsparse_direction_NS_24const_host_device_scalarIT2_EEPKiS6_PKS3_S8_S4_PS3_21rocsparse_index_base_b.uses_flat_scratch, 0
	.set _ZN9rocsparseL19gebsrmvn_2xn_kernelILj128ELj12ELj8EfEEvi20rocsparse_direction_NS_24const_host_device_scalarIT2_EEPKiS6_PKS3_S8_S4_PS3_21rocsparse_index_base_b.has_dyn_sized_stack, 0
	.set _ZN9rocsparseL19gebsrmvn_2xn_kernelILj128ELj12ELj8EfEEvi20rocsparse_direction_NS_24const_host_device_scalarIT2_EEPKiS6_PKS3_S8_S4_PS3_21rocsparse_index_base_b.has_recursion, 0
	.set _ZN9rocsparseL19gebsrmvn_2xn_kernelILj128ELj12ELj8EfEEvi20rocsparse_direction_NS_24const_host_device_scalarIT2_EEPKiS6_PKS3_S8_S4_PS3_21rocsparse_index_base_b.has_indirect_call, 0
	.section	.AMDGPU.csdata,"",@progbits
; Kernel info:
; codeLenInByte = 2284
; TotalNumSgprs: 22
; NumVgprs: 49
; ScratchSize: 0
; MemoryBound: 0
; FloatMode: 240
; IeeeMode: 1
; LDSByteSize: 0 bytes/workgroup (compile time only)
; SGPRBlocks: 0
; VGPRBlocks: 6
; NumSGPRsForWavesPerEU: 22
; NumVGPRsForWavesPerEU: 49
; Occupancy: 16
; WaveLimiterHint : 1
; COMPUTE_PGM_RSRC2:SCRATCH_EN: 0
; COMPUTE_PGM_RSRC2:USER_SGPR: 6
; COMPUTE_PGM_RSRC2:TRAP_HANDLER: 0
; COMPUTE_PGM_RSRC2:TGID_X_EN: 1
; COMPUTE_PGM_RSRC2:TGID_Y_EN: 0
; COMPUTE_PGM_RSRC2:TGID_Z_EN: 0
; COMPUTE_PGM_RSRC2:TIDIG_COMP_CNT: 0
	.section	.text._ZN9rocsparseL19gebsrmvn_2xn_kernelILj128ELj12ELj16EfEEvi20rocsparse_direction_NS_24const_host_device_scalarIT2_EEPKiS6_PKS3_S8_S4_PS3_21rocsparse_index_base_b,"axG",@progbits,_ZN9rocsparseL19gebsrmvn_2xn_kernelILj128ELj12ELj16EfEEvi20rocsparse_direction_NS_24const_host_device_scalarIT2_EEPKiS6_PKS3_S8_S4_PS3_21rocsparse_index_base_b,comdat
	.globl	_ZN9rocsparseL19gebsrmvn_2xn_kernelILj128ELj12ELj16EfEEvi20rocsparse_direction_NS_24const_host_device_scalarIT2_EEPKiS6_PKS3_S8_S4_PS3_21rocsparse_index_base_b ; -- Begin function _ZN9rocsparseL19gebsrmvn_2xn_kernelILj128ELj12ELj16EfEEvi20rocsparse_direction_NS_24const_host_device_scalarIT2_EEPKiS6_PKS3_S8_S4_PS3_21rocsparse_index_base_b
	.p2align	8
	.type	_ZN9rocsparseL19gebsrmvn_2xn_kernelILj128ELj12ELj16EfEEvi20rocsparse_direction_NS_24const_host_device_scalarIT2_EEPKiS6_PKS3_S8_S4_PS3_21rocsparse_index_base_b,@function
_ZN9rocsparseL19gebsrmvn_2xn_kernelILj128ELj12ELj16EfEEvi20rocsparse_direction_NS_24const_host_device_scalarIT2_EEPKiS6_PKS3_S8_S4_PS3_21rocsparse_index_base_b: ; @_ZN9rocsparseL19gebsrmvn_2xn_kernelILj128ELj12ELj16EfEEvi20rocsparse_direction_NS_24const_host_device_scalarIT2_EEPKiS6_PKS3_S8_S4_PS3_21rocsparse_index_base_b
; %bb.0:
	s_clause 0x2
	s_load_dwordx2 s[18:19], s[4:5], 0x40
	s_load_dwordx2 s[16:17], s[4:5], 0x8
	;; [unrolled: 1-line block ×3, first 2 shown]
	s_waitcnt lgkmcnt(0)
	s_bitcmp1_b32 s19, 0
	s_cselect_b32 s0, -1, 0
	s_and_b32 vcc_lo, exec_lo, s0
	s_xor_b32 s0, s0, -1
	s_cbranch_vccnz .LBB52_2
; %bb.1:
	s_load_dword s16, s[16:17], 0x0
.LBB52_2:
	s_andn2_b32 vcc_lo, exec_lo, s0
	s_cbranch_vccnz .LBB52_4
; %bb.3:
	s_load_dword s2, s[2:3], 0x0
.LBB52_4:
	s_waitcnt lgkmcnt(0)
	v_cmp_eq_f32_e64 s0, s16, 0
	v_cmp_eq_f32_e64 s1, s2, 1.0
	s_and_b32 s0, s0, s1
	s_and_b32 vcc_lo, exec_lo, s0
	s_cbranch_vccnz .LBB52_23
; %bb.5:
	s_load_dwordx2 s[0:1], s[4:5], 0x0
	v_lshrrev_b32_e32 v1, 4, v0
	v_lshl_or_b32 v1, s6, 3, v1
	s_waitcnt lgkmcnt(0)
	v_cmp_gt_i32_e32 vcc_lo, s0, v1
	s_and_saveexec_b32 s0, vcc_lo
	s_cbranch_execz .LBB52_23
; %bb.6:
	s_load_dwordx8 s[8:15], s[4:5], 0x10
	v_ashrrev_i32_e32 v2, 31, v1
	v_and_b32_e32 v0, 15, v0
	s_cmp_lg_u32 s1, 0
	v_lshlrev_b64 v[2:3], 2, v[1:2]
	s_waitcnt lgkmcnt(0)
	v_add_co_u32 v2, vcc_lo, s8, v2
	v_add_co_ci_u32_e64 v3, null, s9, v3, vcc_lo
	global_load_dwordx2 v[2:3], v[2:3], off
	s_waitcnt vmcnt(0)
	v_subrev_nc_u32_e32 v2, s18, v2
	v_subrev_nc_u32_e32 v11, s18, v3
	v_add_nc_u32_e32 v2, v2, v0
	v_cmp_lt_i32_e64 s0, v2, v11
	s_cbranch_scc0 .LBB52_12
; %bb.7:
	v_mov_b32_e32 v9, 0
	v_mov_b32_e32 v10, 0
	s_and_saveexec_b32 s1, s0
	s_cbranch_execz .LBB52_11
; %bb.8:
	v_mad_u64_u32 v[3:4], null, v2, 24, 22
	v_mov_b32_e32 v6, 0
	v_mov_b32_e32 v7, v2
	;; [unrolled: 1-line block ×4, first 2 shown]
	s_mov_b32 s3, 0
.LBB52_9:                               ; =>This Inner Loop Header: Depth=1
	v_ashrrev_i32_e32 v8, 31, v7
	v_mov_b32_e32 v29, v6
	v_lshlrev_b64 v[4:5], 2, v[7:8]
	v_add_nc_u32_e32 v7, 16, v7
	v_add_co_u32 v4, vcc_lo, s10, v4
	v_add_co_ci_u32_e64 v5, null, s11, v5, vcc_lo
	global_load_dword v8, v[4:5], off
	v_subrev_nc_u32_e32 v5, 22, v3
	v_mov_b32_e32 v4, v6
	v_lshlrev_b64 v[12:13], 2, v[5:6]
	v_add_nc_u32_e32 v5, -14, v3
	v_lshlrev_b64 v[32:33], 2, v[3:4]
	v_lshlrev_b64 v[4:5], 2, v[5:6]
	v_add_co_u32 v16, vcc_lo, s12, v12
	v_add_co_ci_u32_e64 v17, null, s13, v13, vcc_lo
	v_add_co_u32 v4, vcc_lo, s12, v4
	v_add_co_ci_u32_e64 v5, null, s13, v5, vcc_lo
	s_clause 0x2
	global_load_dwordx4 v[12:15], v[16:17], off offset:16
	global_load_dwordx4 v[16:19], v[16:17], off
	global_load_dwordx2 v[34:35], v[4:5], off
	s_waitcnt vmcnt(3)
	v_subrev_nc_u32_e32 v4, s18, v8
	v_mul_lo_u32 v28, v4, 12
	v_add_nc_u32_e32 v5, 4, v28
	v_lshlrev_b64 v[20:21], 2, v[28:29]
	v_lshlrev_b64 v[22:23], 2, v[5:6]
	v_add_nc_u32_e32 v5, -12, v3
	v_add_co_u32 v20, vcc_lo, s14, v20
	v_add_co_ci_u32_e64 v21, null, s15, v21, vcc_lo
	v_lshlrev_b64 v[29:30], 2, v[5:6]
	v_add_nc_u32_e32 v5, -10, v3
	v_add_co_u32 v24, vcc_lo, s14, v22
	v_add_co_ci_u32_e64 v25, null, s15, v23, vcc_lo
	global_load_dwordx4 v[20:23], v[20:21], off
	v_lshlrev_b64 v[36:37], 2, v[5:6]
	v_add_nc_u32_e32 v5, -8, v3
	v_add_co_u32 v29, vcc_lo, s12, v29
	v_add_co_ci_u32_e64 v30, null, s13, v30, vcc_lo
	v_lshlrev_b64 v[38:39], 2, v[5:6]
	v_add_co_u32 v36, vcc_lo, s12, v36
	v_add_co_ci_u32_e64 v37, null, s13, v37, vcc_lo
	v_add_nc_u32_e32 v5, -6, v3
	v_add_co_u32 v38, vcc_lo, s12, v38
	v_add_co_ci_u32_e64 v39, null, s13, v39, vcc_lo
	global_load_dwordx2 v[40:41], v[29:30], off
	global_load_dwordx4 v[24:27], v[24:25], off
	s_clause 0x1
	global_load_dwordx2 v[36:37], v[36:37], off
	global_load_dwordx2 v[38:39], v[38:39], off
	v_lshlrev_b64 v[29:30], 2, v[5:6]
	v_add_nc_u32_e32 v5, 8, v28
	v_lshlrev_b64 v[42:43], 2, v[5:6]
	v_add_nc_u32_e32 v5, -4, v3
	v_add_co_u32 v28, vcc_lo, s12, v29
	v_add_co_ci_u32_e64 v29, null, s13, v30, vcc_lo
	v_lshlrev_b64 v[30:31], 2, v[5:6]
	v_add_nc_u32_e32 v5, -2, v3
	v_add_nc_u32_e32 v3, 0x180, v3
	global_load_dwordx2 v[44:45], v[28:29], off
	v_add_co_u32 v28, vcc_lo, s14, v42
	v_add_co_ci_u32_e64 v29, null, s15, v43, vcc_lo
	v_add_co_u32 v42, vcc_lo, s12, v30
	v_lshlrev_b64 v[4:5], 2, v[5:6]
	v_add_co_ci_u32_e64 v43, null, s13, v31, vcc_lo
	global_load_dwordx4 v[28:31], v[28:29], off
	global_load_dwordx2 v[42:43], v[42:43], off
	v_add_co_u32 v4, vcc_lo, s12, v4
	v_add_co_ci_u32_e64 v5, null, s13, v5, vcc_lo
	v_add_co_u32 v32, vcc_lo, s12, v32
	v_add_co_ci_u32_e64 v33, null, s13, v33, vcc_lo
	s_clause 0x1
	global_load_dwordx2 v[4:5], v[4:5], off
	global_load_dwordx2 v[32:33], v[32:33], off
	v_cmp_ge_i32_e32 vcc_lo, v7, v11
	s_or_b32 s3, vcc_lo, s3
	s_waitcnt vmcnt(9)
	v_fmac_f32_e32 v9, v16, v20
	v_fmac_f32_e32 v10, v17, v20
	;; [unrolled: 1-line block ×8, first 2 shown]
	s_waitcnt vmcnt(7)
	v_fmac_f32_e32 v9, v34, v24
	v_fmac_f32_e32 v10, v35, v24
	;; [unrolled: 1-line block ×4, first 2 shown]
	s_waitcnt vmcnt(6)
	v_fmac_f32_e32 v9, v36, v26
	v_fmac_f32_e32 v10, v37, v26
	s_waitcnt vmcnt(5)
	v_fmac_f32_e32 v9, v38, v27
	v_fmac_f32_e32 v10, v39, v27
	;; [unrolled: 3-line block ×6, first 2 shown]
	s_andn2_b32 exec_lo, exec_lo, s3
	s_cbranch_execnz .LBB52_9
; %bb.10:
	s_or_b32 exec_lo, exec_lo, s3
.LBB52_11:
	s_or_b32 exec_lo, exec_lo, s1
	s_cbranch_execz .LBB52_13
	s_branch .LBB52_18
.LBB52_12:
                                        ; implicit-def: $vgpr9
                                        ; implicit-def: $vgpr10
.LBB52_13:
	v_mov_b32_e32 v9, 0
	v_mov_b32_e32 v10, 0
	s_and_saveexec_b32 s1, s0
	s_cbranch_execz .LBB52_17
; %bb.14:
	v_mad_u64_u32 v[4:5], null, v2, 24, 23
	v_mov_b32_e32 v7, 0
	v_mov_b32_e32 v9, 0
	v_mov_b32_e32 v10, 0
	s_mov_b32 s0, 0
.LBB52_15:                              ; =>This Inner Loop Header: Depth=1
	v_ashrrev_i32_e32 v3, 31, v2
	v_add_nc_u32_e32 v12, -11, v4
	v_mov_b32_e32 v13, v7
	v_mov_b32_e32 v29, v7
	v_lshlrev_b64 v[5:6], 2, v[2:3]
	v_add_nc_u32_e32 v2, 16, v2
	v_lshlrev_b64 v[12:13], 2, v[12:13]
	v_add_co_u32 v5, vcc_lo, s10, v5
	v_add_co_ci_u32_e64 v6, null, s11, v6, vcc_lo
	global_load_dword v3, v[5:6], off
	v_subrev_nc_u32_e32 v6, 23, v4
	v_mov_b32_e32 v5, v7
	v_lshlrev_b64 v[14:15], 2, v[6:7]
	v_add_nc_u32_e32 v6, -10, v4
	v_lshlrev_b64 v[16:17], 2, v[4:5]
	v_lshlrev_b64 v[18:19], 2, v[6:7]
	v_add_nc_u32_e32 v6, -9, v4
	v_add_co_u32 v20, vcc_lo, s12, v14
	v_add_co_ci_u32_e64 v21, null, s13, v15, vcc_lo
	v_lshlrev_b64 v[24:25], 2, v[6:7]
	v_add_nc_u32_e32 v6, -8, v4
	v_add_co_u32 v22, vcc_lo, s12, v12
	v_add_co_ci_u32_e64 v23, null, s13, v13, vcc_lo
	v_add_co_u32 v32, vcc_lo, s12, v16
	v_lshlrev_b64 v[5:6], 2, v[6:7]
	v_add_co_ci_u32_e64 v33, null, s13, v17, vcc_lo
	v_add_co_u32 v26, vcc_lo, s12, v18
	v_add_co_ci_u32_e64 v27, null, s13, v19, vcc_lo
	s_clause 0x2
	global_load_dwordx4 v[12:15], v[20:21], off offset:16
	global_load_dwordx4 v[16:19], v[20:21], off
	global_load_dword v8, v[22:23], off
	v_add_co_u32 v20, vcc_lo, s12, v24
	v_add_co_ci_u32_e64 v21, null, s13, v25, vcc_lo
	v_add_co_u32 v5, vcc_lo, s12, v5
	v_add_co_ci_u32_e64 v6, null, s13, v6, vcc_lo
	s_clause 0x2
	global_load_dword v40, v[26:27], off
	global_load_dword v41, v[20:21], off
	;; [unrolled: 1-line block ×3, first 2 shown]
	s_waitcnt vmcnt(6)
	v_subrev_nc_u32_e32 v3, s18, v3
	v_mul_lo_u32 v28, v3, 12
	v_add_nc_u32_e32 v6, 4, v28
	v_lshlrev_b64 v[20:21], 2, v[28:29]
	v_lshlrev_b64 v[22:23], 2, v[6:7]
	v_add_nc_u32_e32 v6, -7, v4
	v_add_co_u32 v20, vcc_lo, s14, v20
	v_add_co_ci_u32_e64 v21, null, s15, v21, vcc_lo
	v_lshlrev_b64 v[29:30], 2, v[6:7]
	v_add_nc_u32_e32 v6, -6, v4
	v_add_co_u32 v24, vcc_lo, s14, v22
	v_add_co_ci_u32_e64 v25, null, s15, v23, vcc_lo
	;; [unrolled: 4-line block ×3, first 2 shown]
	v_add_co_u32 v34, vcc_lo, s12, v34
	v_lshlrev_b64 v[36:37], 2, v[6:7]
	v_add_nc_u32_e32 v6, -4, v4
	v_add_co_ci_u32_e64 v35, null, s13, v35, vcc_lo
	global_load_dword v3, v[29:30], off
	s_clause 0x1
	global_load_dwordx4 v[20:23], v[20:21], off
	global_load_dwordx4 v[24:27], v[24:25], off
	global_load_dword v43, v[34:35], off
	v_lshlrev_b64 v[29:30], 2, v[6:7]
	v_add_nc_u32_e32 v6, -15, v4
	v_add_co_u32 v34, vcc_lo, s12, v36
	v_add_co_ci_u32_e64 v35, null, s13, v37, vcc_lo
	v_lshlrev_b64 v[36:37], 2, v[6:7]
	v_add_nc_u32_e32 v6, 8, v28
	v_add_co_u32 v28, vcc_lo, s12, v29
	v_add_co_ci_u32_e64 v29, null, s13, v30, vcc_lo
	v_lshlrev_b64 v[30:31], 2, v[6:7]
	v_add_nc_u32_e32 v6, -3, v4
	s_clause 0x1
	global_load_dword v44, v[34:35], off
	global_load_dword v45, v[28:29], off
	v_add_co_u32 v28, vcc_lo, s12, v36
	v_lshlrev_b64 v[34:35], 2, v[6:7]
	v_add_nc_u32_e32 v6, -14, v4
	v_add_co_ci_u32_e64 v29, null, s13, v37, vcc_lo
	v_add_co_u32 v30, vcc_lo, s14, v30
	v_lshlrev_b64 v[36:37], 2, v[6:7]
	v_add_nc_u32_e32 v6, -2, v4
	v_add_co_ci_u32_e64 v31, null, s15, v31, vcc_lo
	v_add_co_u32 v34, vcc_lo, s12, v34
	v_add_co_ci_u32_e64 v35, null, s13, v35, vcc_lo
	v_add_co_u32 v36, vcc_lo, s12, v36
	v_lshlrev_b64 v[38:39], 2, v[6:7]
	v_add_nc_u32_e32 v6, -13, v4
	v_add_co_ci_u32_e64 v37, null, s13, v37, vcc_lo
	s_clause 0x2
	global_load_dword v46, v[28:29], off
	global_load_dword v47, v[34:35], off
	;; [unrolled: 1-line block ×3, first 2 shown]
	v_lshlrev_b64 v[34:35], 2, v[6:7]
	v_add_nc_u32_e32 v6, -1, v4
	v_add_co_u32 v36, vcc_lo, s12, v38
	v_add_co_ci_u32_e64 v37, null, s13, v39, vcc_lo
	v_lshlrev_b64 v[38:39], 2, v[6:7]
	v_add_nc_u32_e32 v6, -12, v4
	v_add_co_u32 v34, vcc_lo, s12, v34
	v_add_co_ci_u32_e64 v35, null, s13, v35, vcc_lo
	global_load_dwordx4 v[28:31], v[30:31], off
	v_lshlrev_b64 v[5:6], 2, v[6:7]
	s_clause 0x1
	global_load_dword v36, v[36:37], off
	global_load_dword v37, v[34:35], off
	v_add_co_u32 v34, vcc_lo, s12, v38
	v_add_co_ci_u32_e64 v35, null, s13, v39, vcc_lo
	v_add_co_u32 v5, vcc_lo, s12, v5
	v_add_co_ci_u32_e64 v6, null, s13, v6, vcc_lo
	s_clause 0x2
	global_load_dword v34, v[34:35], off
	global_load_dword v5, v[5:6], off
	;; [unrolled: 1-line block ×3, first 2 shown]
	v_cmp_ge_i32_e32 vcc_lo, v2, v11
	v_add_nc_u32_e32 v4, 0x180, v4
	s_or_b32 s0, vcc_lo, s0
	s_waitcnt vmcnt(13)
	v_fmac_f32_e32 v9, v16, v20
	v_fmac_f32_e32 v10, v8, v20
	;; [unrolled: 1-line block ×8, first 2 shown]
	s_waitcnt vmcnt(12)
	v_fmac_f32_e32 v9, v12, v24
	v_fmac_f32_e32 v10, v3, v24
	;; [unrolled: 1-line block ×3, first 2 shown]
	s_waitcnt vmcnt(11)
	v_fmac_f32_e32 v10, v43, v25
	v_fmac_f32_e32 v9, v14, v26
	s_waitcnt vmcnt(10)
	v_fmac_f32_e32 v10, v44, v26
	v_fmac_f32_e32 v9, v15, v27
	s_waitcnt vmcnt(9)
	v_fmac_f32_e32 v10, v45, v27
	s_waitcnt vmcnt(5)
	v_fmac_f32_e32 v9, v46, v28
	v_fmac_f32_e32 v10, v47, v28
	;; [unrolled: 1-line block ×3, first 2 shown]
	s_waitcnt vmcnt(4)
	v_fmac_f32_e32 v10, v36, v29
	s_waitcnt vmcnt(3)
	v_fmac_f32_e32 v9, v37, v30
	;; [unrolled: 2-line block ×5, first 2 shown]
	s_andn2_b32 exec_lo, exec_lo, s0
	s_cbranch_execnz .LBB52_15
; %bb.16:
	s_or_b32 exec_lo, exec_lo, s0
.LBB52_17:
	s_or_b32 exec_lo, exec_lo, s1
.LBB52_18:
	v_mbcnt_lo_u32_b32 v2, -1, 0
	s_mov_b32 s3, -1
	v_xor_b32_e32 v3, 8, v2
	v_xor_b32_e32 v5, 4, v2
	;; [unrolled: 1-line block ×3, first 2 shown]
	v_cmp_gt_i32_e32 vcc_lo, 32, v3
	v_cndmask_b32_e32 v3, v2, v3, vcc_lo
	v_cmp_gt_i32_e32 vcc_lo, 32, v5
	v_lshlrev_b32_e32 v3, 2, v3
	v_cndmask_b32_e32 v5, v2, v5, vcc_lo
	v_cmp_gt_i32_e32 vcc_lo, 32, v7
	ds_bpermute_b32 v4, v3, v9
	ds_bpermute_b32 v3, v3, v10
	v_lshlrev_b32_e32 v5, 2, v5
	v_cndmask_b32_e32 v7, v2, v7, vcc_lo
	v_lshlrev_b32_e32 v7, 2, v7
	s_waitcnt lgkmcnt(1)
	v_add_f32_e32 v4, v9, v4
	s_waitcnt lgkmcnt(0)
	v_add_f32_e32 v3, v10, v3
	ds_bpermute_b32 v6, v5, v4
	ds_bpermute_b32 v5, v5, v3
	s_waitcnt lgkmcnt(1)
	v_add_f32_e32 v4, v4, v6
	s_waitcnt lgkmcnt(0)
	v_add_f32_e32 v3, v3, v5
	ds_bpermute_b32 v5, v7, v4
	ds_bpermute_b32 v6, v7, v3
	v_xor_b32_e32 v7, 1, v2
	v_cmp_gt_i32_e32 vcc_lo, 32, v7
	v_cndmask_b32_e32 v2, v2, v7, vcc_lo
	v_cmp_eq_u32_e32 vcc_lo, 15, v0
	v_lshlrev_b32_e32 v7, 2, v2
	s_waitcnt lgkmcnt(1)
	v_add_f32_e32 v2, v4, v5
	s_waitcnt lgkmcnt(0)
	v_add_f32_e32 v3, v3, v6
	ds_bpermute_b32 v4, v7, v2
	ds_bpermute_b32 v5, v7, v3
	s_and_b32 exec_lo, exec_lo, vcc_lo
	s_cbranch_execz .LBB52_23
; %bb.19:
	s_load_dwordx2 s[0:1], s[4:5], 0x38
	s_waitcnt lgkmcnt(0)
	v_add_f32_e32 v0, v2, v4
	v_add_f32_e32 v3, v3, v5
	v_cmp_eq_f32_e64 s4, s2, 0
	v_mul_f32_e32 v2, s16, v0
	v_mul_f32_e32 v3, s16, v3
	v_lshlrev_b32_e32 v0, 1, v1
	s_and_b32 vcc_lo, exec_lo, s4
	s_cbranch_vccz .LBB52_21
; %bb.20:
	v_ashrrev_i32_e32 v1, 31, v0
	s_mov_b32 s3, 0
	v_lshlrev_b64 v[4:5], 2, v[0:1]
	v_add_co_u32 v4, vcc_lo, s0, v4
	v_add_co_ci_u32_e64 v5, null, s1, v5, vcc_lo
	global_store_dwordx2 v[4:5], v[2:3], off
.LBB52_21:
	s_andn2_b32 vcc_lo, exec_lo, s3
	s_cbranch_vccnz .LBB52_23
; %bb.22:
	v_ashrrev_i32_e32 v1, 31, v0
	v_lshlrev_b64 v[0:1], 2, v[0:1]
	v_add_co_u32 v0, vcc_lo, s0, v0
	v_add_co_ci_u32_e64 v1, null, s1, v1, vcc_lo
	global_load_dwordx2 v[4:5], v[0:1], off
	s_waitcnt vmcnt(0)
	v_fmac_f32_e32 v2, s2, v4
	v_fmac_f32_e32 v3, s2, v5
	global_store_dwordx2 v[0:1], v[2:3], off
.LBB52_23:
	s_endpgm
	.section	.rodata,"a",@progbits
	.p2align	6, 0x0
	.amdhsa_kernel _ZN9rocsparseL19gebsrmvn_2xn_kernelILj128ELj12ELj16EfEEvi20rocsparse_direction_NS_24const_host_device_scalarIT2_EEPKiS6_PKS3_S8_S4_PS3_21rocsparse_index_base_b
		.amdhsa_group_segment_fixed_size 0
		.amdhsa_private_segment_fixed_size 0
		.amdhsa_kernarg_size 72
		.amdhsa_user_sgpr_count 6
		.amdhsa_user_sgpr_private_segment_buffer 1
		.amdhsa_user_sgpr_dispatch_ptr 0
		.amdhsa_user_sgpr_queue_ptr 0
		.amdhsa_user_sgpr_kernarg_segment_ptr 1
		.amdhsa_user_sgpr_dispatch_id 0
		.amdhsa_user_sgpr_flat_scratch_init 0
		.amdhsa_user_sgpr_private_segment_size 0
		.amdhsa_wavefront_size32 1
		.amdhsa_uses_dynamic_stack 0
		.amdhsa_system_sgpr_private_segment_wavefront_offset 0
		.amdhsa_system_sgpr_workgroup_id_x 1
		.amdhsa_system_sgpr_workgroup_id_y 0
		.amdhsa_system_sgpr_workgroup_id_z 0
		.amdhsa_system_sgpr_workgroup_info 0
		.amdhsa_system_vgpr_workitem_id 0
		.amdhsa_next_free_vgpr 49
		.amdhsa_next_free_sgpr 20
		.amdhsa_reserve_vcc 1
		.amdhsa_reserve_flat_scratch 0
		.amdhsa_float_round_mode_32 0
		.amdhsa_float_round_mode_16_64 0
		.amdhsa_float_denorm_mode_32 3
		.amdhsa_float_denorm_mode_16_64 3
		.amdhsa_dx10_clamp 1
		.amdhsa_ieee_mode 1
		.amdhsa_fp16_overflow 0
		.amdhsa_workgroup_processor_mode 1
		.amdhsa_memory_ordered 1
		.amdhsa_forward_progress 1
		.amdhsa_shared_vgpr_count 0
		.amdhsa_exception_fp_ieee_invalid_op 0
		.amdhsa_exception_fp_denorm_src 0
		.amdhsa_exception_fp_ieee_div_zero 0
		.amdhsa_exception_fp_ieee_overflow 0
		.amdhsa_exception_fp_ieee_underflow 0
		.amdhsa_exception_fp_ieee_inexact 0
		.amdhsa_exception_int_div_zero 0
	.end_amdhsa_kernel
	.section	.text._ZN9rocsparseL19gebsrmvn_2xn_kernelILj128ELj12ELj16EfEEvi20rocsparse_direction_NS_24const_host_device_scalarIT2_EEPKiS6_PKS3_S8_S4_PS3_21rocsparse_index_base_b,"axG",@progbits,_ZN9rocsparseL19gebsrmvn_2xn_kernelILj128ELj12ELj16EfEEvi20rocsparse_direction_NS_24const_host_device_scalarIT2_EEPKiS6_PKS3_S8_S4_PS3_21rocsparse_index_base_b,comdat
.Lfunc_end52:
	.size	_ZN9rocsparseL19gebsrmvn_2xn_kernelILj128ELj12ELj16EfEEvi20rocsparse_direction_NS_24const_host_device_scalarIT2_EEPKiS6_PKS3_S8_S4_PS3_21rocsparse_index_base_b, .Lfunc_end52-_ZN9rocsparseL19gebsrmvn_2xn_kernelILj128ELj12ELj16EfEEvi20rocsparse_direction_NS_24const_host_device_scalarIT2_EEPKiS6_PKS3_S8_S4_PS3_21rocsparse_index_base_b
                                        ; -- End function
	.set _ZN9rocsparseL19gebsrmvn_2xn_kernelILj128ELj12ELj16EfEEvi20rocsparse_direction_NS_24const_host_device_scalarIT2_EEPKiS6_PKS3_S8_S4_PS3_21rocsparse_index_base_b.num_vgpr, 49
	.set _ZN9rocsparseL19gebsrmvn_2xn_kernelILj128ELj12ELj16EfEEvi20rocsparse_direction_NS_24const_host_device_scalarIT2_EEPKiS6_PKS3_S8_S4_PS3_21rocsparse_index_base_b.num_agpr, 0
	.set _ZN9rocsparseL19gebsrmvn_2xn_kernelILj128ELj12ELj16EfEEvi20rocsparse_direction_NS_24const_host_device_scalarIT2_EEPKiS6_PKS3_S8_S4_PS3_21rocsparse_index_base_b.numbered_sgpr, 20
	.set _ZN9rocsparseL19gebsrmvn_2xn_kernelILj128ELj12ELj16EfEEvi20rocsparse_direction_NS_24const_host_device_scalarIT2_EEPKiS6_PKS3_S8_S4_PS3_21rocsparse_index_base_b.num_named_barrier, 0
	.set _ZN9rocsparseL19gebsrmvn_2xn_kernelILj128ELj12ELj16EfEEvi20rocsparse_direction_NS_24const_host_device_scalarIT2_EEPKiS6_PKS3_S8_S4_PS3_21rocsparse_index_base_b.private_seg_size, 0
	.set _ZN9rocsparseL19gebsrmvn_2xn_kernelILj128ELj12ELj16EfEEvi20rocsparse_direction_NS_24const_host_device_scalarIT2_EEPKiS6_PKS3_S8_S4_PS3_21rocsparse_index_base_b.uses_vcc, 1
	.set _ZN9rocsparseL19gebsrmvn_2xn_kernelILj128ELj12ELj16EfEEvi20rocsparse_direction_NS_24const_host_device_scalarIT2_EEPKiS6_PKS3_S8_S4_PS3_21rocsparse_index_base_b.uses_flat_scratch, 0
	.set _ZN9rocsparseL19gebsrmvn_2xn_kernelILj128ELj12ELj16EfEEvi20rocsparse_direction_NS_24const_host_device_scalarIT2_EEPKiS6_PKS3_S8_S4_PS3_21rocsparse_index_base_b.has_dyn_sized_stack, 0
	.set _ZN9rocsparseL19gebsrmvn_2xn_kernelILj128ELj12ELj16EfEEvi20rocsparse_direction_NS_24const_host_device_scalarIT2_EEPKiS6_PKS3_S8_S4_PS3_21rocsparse_index_base_b.has_recursion, 0
	.set _ZN9rocsparseL19gebsrmvn_2xn_kernelILj128ELj12ELj16EfEEvi20rocsparse_direction_NS_24const_host_device_scalarIT2_EEPKiS6_PKS3_S8_S4_PS3_21rocsparse_index_base_b.has_indirect_call, 0
	.section	.AMDGPU.csdata,"",@progbits
; Kernel info:
; codeLenInByte = 2332
; TotalNumSgprs: 22
; NumVgprs: 49
; ScratchSize: 0
; MemoryBound: 0
; FloatMode: 240
; IeeeMode: 1
; LDSByteSize: 0 bytes/workgroup (compile time only)
; SGPRBlocks: 0
; VGPRBlocks: 6
; NumSGPRsForWavesPerEU: 22
; NumVGPRsForWavesPerEU: 49
; Occupancy: 16
; WaveLimiterHint : 1
; COMPUTE_PGM_RSRC2:SCRATCH_EN: 0
; COMPUTE_PGM_RSRC2:USER_SGPR: 6
; COMPUTE_PGM_RSRC2:TRAP_HANDLER: 0
; COMPUTE_PGM_RSRC2:TGID_X_EN: 1
; COMPUTE_PGM_RSRC2:TGID_Y_EN: 0
; COMPUTE_PGM_RSRC2:TGID_Z_EN: 0
; COMPUTE_PGM_RSRC2:TIDIG_COMP_CNT: 0
	.section	.text._ZN9rocsparseL19gebsrmvn_2xn_kernelILj128ELj12ELj32EfEEvi20rocsparse_direction_NS_24const_host_device_scalarIT2_EEPKiS6_PKS3_S8_S4_PS3_21rocsparse_index_base_b,"axG",@progbits,_ZN9rocsparseL19gebsrmvn_2xn_kernelILj128ELj12ELj32EfEEvi20rocsparse_direction_NS_24const_host_device_scalarIT2_EEPKiS6_PKS3_S8_S4_PS3_21rocsparse_index_base_b,comdat
	.globl	_ZN9rocsparseL19gebsrmvn_2xn_kernelILj128ELj12ELj32EfEEvi20rocsparse_direction_NS_24const_host_device_scalarIT2_EEPKiS6_PKS3_S8_S4_PS3_21rocsparse_index_base_b ; -- Begin function _ZN9rocsparseL19gebsrmvn_2xn_kernelILj128ELj12ELj32EfEEvi20rocsparse_direction_NS_24const_host_device_scalarIT2_EEPKiS6_PKS3_S8_S4_PS3_21rocsparse_index_base_b
	.p2align	8
	.type	_ZN9rocsparseL19gebsrmvn_2xn_kernelILj128ELj12ELj32EfEEvi20rocsparse_direction_NS_24const_host_device_scalarIT2_EEPKiS6_PKS3_S8_S4_PS3_21rocsparse_index_base_b,@function
_ZN9rocsparseL19gebsrmvn_2xn_kernelILj128ELj12ELj32EfEEvi20rocsparse_direction_NS_24const_host_device_scalarIT2_EEPKiS6_PKS3_S8_S4_PS3_21rocsparse_index_base_b: ; @_ZN9rocsparseL19gebsrmvn_2xn_kernelILj128ELj12ELj32EfEEvi20rocsparse_direction_NS_24const_host_device_scalarIT2_EEPKiS6_PKS3_S8_S4_PS3_21rocsparse_index_base_b
; %bb.0:
	s_clause 0x2
	s_load_dwordx2 s[18:19], s[4:5], 0x40
	s_load_dwordx2 s[16:17], s[4:5], 0x8
	s_load_dwordx2 s[2:3], s[4:5], 0x30
	s_waitcnt lgkmcnt(0)
	s_bitcmp1_b32 s19, 0
	s_cselect_b32 s0, -1, 0
	s_and_b32 vcc_lo, exec_lo, s0
	s_xor_b32 s0, s0, -1
	s_cbranch_vccnz .LBB53_2
; %bb.1:
	s_load_dword s16, s[16:17], 0x0
.LBB53_2:
	s_andn2_b32 vcc_lo, exec_lo, s0
	s_cbranch_vccnz .LBB53_4
; %bb.3:
	s_load_dword s2, s[2:3], 0x0
.LBB53_4:
	s_waitcnt lgkmcnt(0)
	v_cmp_eq_f32_e64 s0, s16, 0
	v_cmp_eq_f32_e64 s1, s2, 1.0
	s_and_b32 s0, s0, s1
	s_and_b32 vcc_lo, exec_lo, s0
	s_cbranch_vccnz .LBB53_23
; %bb.5:
	s_load_dwordx2 s[0:1], s[4:5], 0x0
	v_lshrrev_b32_e32 v1, 5, v0
	v_lshl_or_b32 v1, s6, 2, v1
	s_waitcnt lgkmcnt(0)
	v_cmp_gt_i32_e32 vcc_lo, s0, v1
	s_and_saveexec_b32 s0, vcc_lo
	s_cbranch_execz .LBB53_23
; %bb.6:
	s_load_dwordx8 s[8:15], s[4:5], 0x10
	v_ashrrev_i32_e32 v2, 31, v1
	v_and_b32_e32 v0, 31, v0
	s_cmp_lg_u32 s1, 0
	v_lshlrev_b64 v[2:3], 2, v[1:2]
	s_waitcnt lgkmcnt(0)
	v_add_co_u32 v2, vcc_lo, s8, v2
	v_add_co_ci_u32_e64 v3, null, s9, v3, vcc_lo
	global_load_dwordx2 v[2:3], v[2:3], off
	s_waitcnt vmcnt(0)
	v_subrev_nc_u32_e32 v2, s18, v2
	v_subrev_nc_u32_e32 v11, s18, v3
	v_add_nc_u32_e32 v2, v2, v0
	v_cmp_lt_i32_e64 s0, v2, v11
	s_cbranch_scc0 .LBB53_12
; %bb.7:
	v_mov_b32_e32 v9, 0
	v_mov_b32_e32 v10, 0
	s_and_saveexec_b32 s1, s0
	s_cbranch_execz .LBB53_11
; %bb.8:
	v_mad_u64_u32 v[3:4], null, v2, 24, 22
	v_mov_b32_e32 v6, 0
	v_mov_b32_e32 v7, v2
	;; [unrolled: 1-line block ×4, first 2 shown]
	s_mov_b32 s3, 0
.LBB53_9:                               ; =>This Inner Loop Header: Depth=1
	v_ashrrev_i32_e32 v8, 31, v7
	v_mov_b32_e32 v29, v6
	v_lshlrev_b64 v[4:5], 2, v[7:8]
	v_add_nc_u32_e32 v7, 32, v7
	v_add_co_u32 v4, vcc_lo, s10, v4
	v_add_co_ci_u32_e64 v5, null, s11, v5, vcc_lo
	global_load_dword v8, v[4:5], off
	v_subrev_nc_u32_e32 v5, 22, v3
	v_mov_b32_e32 v4, v6
	v_lshlrev_b64 v[12:13], 2, v[5:6]
	v_add_nc_u32_e32 v5, -14, v3
	v_lshlrev_b64 v[32:33], 2, v[3:4]
	v_lshlrev_b64 v[4:5], 2, v[5:6]
	v_add_co_u32 v16, vcc_lo, s12, v12
	v_add_co_ci_u32_e64 v17, null, s13, v13, vcc_lo
	v_add_co_u32 v4, vcc_lo, s12, v4
	v_add_co_ci_u32_e64 v5, null, s13, v5, vcc_lo
	s_clause 0x2
	global_load_dwordx4 v[12:15], v[16:17], off offset:16
	global_load_dwordx4 v[16:19], v[16:17], off
	global_load_dwordx2 v[34:35], v[4:5], off
	s_waitcnt vmcnt(3)
	v_subrev_nc_u32_e32 v4, s18, v8
	v_mul_lo_u32 v28, v4, 12
	v_add_nc_u32_e32 v5, 4, v28
	v_lshlrev_b64 v[20:21], 2, v[28:29]
	v_lshlrev_b64 v[22:23], 2, v[5:6]
	v_add_nc_u32_e32 v5, -12, v3
	v_add_co_u32 v20, vcc_lo, s14, v20
	v_add_co_ci_u32_e64 v21, null, s15, v21, vcc_lo
	v_lshlrev_b64 v[29:30], 2, v[5:6]
	v_add_nc_u32_e32 v5, -10, v3
	v_add_co_u32 v24, vcc_lo, s14, v22
	v_add_co_ci_u32_e64 v25, null, s15, v23, vcc_lo
	global_load_dwordx4 v[20:23], v[20:21], off
	v_lshlrev_b64 v[36:37], 2, v[5:6]
	v_add_nc_u32_e32 v5, -8, v3
	v_add_co_u32 v29, vcc_lo, s12, v29
	v_add_co_ci_u32_e64 v30, null, s13, v30, vcc_lo
	v_lshlrev_b64 v[38:39], 2, v[5:6]
	v_add_co_u32 v36, vcc_lo, s12, v36
	v_add_co_ci_u32_e64 v37, null, s13, v37, vcc_lo
	v_add_nc_u32_e32 v5, -6, v3
	v_add_co_u32 v38, vcc_lo, s12, v38
	v_add_co_ci_u32_e64 v39, null, s13, v39, vcc_lo
	global_load_dwordx2 v[40:41], v[29:30], off
	global_load_dwordx4 v[24:27], v[24:25], off
	s_clause 0x1
	global_load_dwordx2 v[36:37], v[36:37], off
	global_load_dwordx2 v[38:39], v[38:39], off
	v_lshlrev_b64 v[29:30], 2, v[5:6]
	v_add_nc_u32_e32 v5, 8, v28
	v_lshlrev_b64 v[42:43], 2, v[5:6]
	v_add_nc_u32_e32 v5, -4, v3
	v_add_co_u32 v28, vcc_lo, s12, v29
	v_add_co_ci_u32_e64 v29, null, s13, v30, vcc_lo
	v_lshlrev_b64 v[30:31], 2, v[5:6]
	v_add_nc_u32_e32 v5, -2, v3
	v_add_nc_u32_e32 v3, 0x300, v3
	global_load_dwordx2 v[44:45], v[28:29], off
	v_add_co_u32 v28, vcc_lo, s14, v42
	v_add_co_ci_u32_e64 v29, null, s15, v43, vcc_lo
	v_add_co_u32 v42, vcc_lo, s12, v30
	v_lshlrev_b64 v[4:5], 2, v[5:6]
	v_add_co_ci_u32_e64 v43, null, s13, v31, vcc_lo
	global_load_dwordx4 v[28:31], v[28:29], off
	global_load_dwordx2 v[42:43], v[42:43], off
	v_add_co_u32 v4, vcc_lo, s12, v4
	v_add_co_ci_u32_e64 v5, null, s13, v5, vcc_lo
	v_add_co_u32 v32, vcc_lo, s12, v32
	v_add_co_ci_u32_e64 v33, null, s13, v33, vcc_lo
	s_clause 0x1
	global_load_dwordx2 v[4:5], v[4:5], off
	global_load_dwordx2 v[32:33], v[32:33], off
	v_cmp_ge_i32_e32 vcc_lo, v7, v11
	s_or_b32 s3, vcc_lo, s3
	s_waitcnt vmcnt(9)
	v_fmac_f32_e32 v9, v16, v20
	v_fmac_f32_e32 v10, v17, v20
	;; [unrolled: 1-line block ×8, first 2 shown]
	s_waitcnt vmcnt(7)
	v_fmac_f32_e32 v9, v34, v24
	v_fmac_f32_e32 v10, v35, v24
	;; [unrolled: 1-line block ×4, first 2 shown]
	s_waitcnt vmcnt(6)
	v_fmac_f32_e32 v9, v36, v26
	v_fmac_f32_e32 v10, v37, v26
	s_waitcnt vmcnt(5)
	v_fmac_f32_e32 v9, v38, v27
	v_fmac_f32_e32 v10, v39, v27
	;; [unrolled: 3-line block ×6, first 2 shown]
	s_andn2_b32 exec_lo, exec_lo, s3
	s_cbranch_execnz .LBB53_9
; %bb.10:
	s_or_b32 exec_lo, exec_lo, s3
.LBB53_11:
	s_or_b32 exec_lo, exec_lo, s1
	s_cbranch_execz .LBB53_13
	s_branch .LBB53_18
.LBB53_12:
                                        ; implicit-def: $vgpr9
                                        ; implicit-def: $vgpr10
.LBB53_13:
	v_mov_b32_e32 v9, 0
	v_mov_b32_e32 v10, 0
	s_and_saveexec_b32 s1, s0
	s_cbranch_execz .LBB53_17
; %bb.14:
	v_mad_u64_u32 v[4:5], null, v2, 24, 23
	v_mov_b32_e32 v7, 0
	v_mov_b32_e32 v9, 0
	;; [unrolled: 1-line block ×3, first 2 shown]
	s_mov_b32 s0, 0
.LBB53_15:                              ; =>This Inner Loop Header: Depth=1
	v_ashrrev_i32_e32 v3, 31, v2
	v_add_nc_u32_e32 v12, -11, v4
	v_mov_b32_e32 v13, v7
	v_mov_b32_e32 v29, v7
	v_lshlrev_b64 v[5:6], 2, v[2:3]
	v_add_nc_u32_e32 v2, 32, v2
	v_lshlrev_b64 v[12:13], 2, v[12:13]
	v_add_co_u32 v5, vcc_lo, s10, v5
	v_add_co_ci_u32_e64 v6, null, s11, v6, vcc_lo
	global_load_dword v3, v[5:6], off
	v_subrev_nc_u32_e32 v6, 23, v4
	v_mov_b32_e32 v5, v7
	v_lshlrev_b64 v[14:15], 2, v[6:7]
	v_add_nc_u32_e32 v6, -10, v4
	v_lshlrev_b64 v[16:17], 2, v[4:5]
	v_lshlrev_b64 v[18:19], 2, v[6:7]
	v_add_nc_u32_e32 v6, -9, v4
	v_add_co_u32 v20, vcc_lo, s12, v14
	v_add_co_ci_u32_e64 v21, null, s13, v15, vcc_lo
	v_lshlrev_b64 v[24:25], 2, v[6:7]
	v_add_nc_u32_e32 v6, -8, v4
	v_add_co_u32 v22, vcc_lo, s12, v12
	v_add_co_ci_u32_e64 v23, null, s13, v13, vcc_lo
	v_add_co_u32 v32, vcc_lo, s12, v16
	v_lshlrev_b64 v[5:6], 2, v[6:7]
	v_add_co_ci_u32_e64 v33, null, s13, v17, vcc_lo
	v_add_co_u32 v26, vcc_lo, s12, v18
	v_add_co_ci_u32_e64 v27, null, s13, v19, vcc_lo
	s_clause 0x2
	global_load_dwordx4 v[12:15], v[20:21], off offset:16
	global_load_dwordx4 v[16:19], v[20:21], off
	global_load_dword v8, v[22:23], off
	v_add_co_u32 v20, vcc_lo, s12, v24
	v_add_co_ci_u32_e64 v21, null, s13, v25, vcc_lo
	v_add_co_u32 v5, vcc_lo, s12, v5
	v_add_co_ci_u32_e64 v6, null, s13, v6, vcc_lo
	s_clause 0x2
	global_load_dword v40, v[26:27], off
	global_load_dword v41, v[20:21], off
	;; [unrolled: 1-line block ×3, first 2 shown]
	s_waitcnt vmcnt(6)
	v_subrev_nc_u32_e32 v3, s18, v3
	v_mul_lo_u32 v28, v3, 12
	v_add_nc_u32_e32 v6, 4, v28
	v_lshlrev_b64 v[20:21], 2, v[28:29]
	v_lshlrev_b64 v[22:23], 2, v[6:7]
	v_add_nc_u32_e32 v6, -7, v4
	v_add_co_u32 v20, vcc_lo, s14, v20
	v_add_co_ci_u32_e64 v21, null, s15, v21, vcc_lo
	v_lshlrev_b64 v[29:30], 2, v[6:7]
	v_add_nc_u32_e32 v6, -6, v4
	v_add_co_u32 v24, vcc_lo, s14, v22
	v_add_co_ci_u32_e64 v25, null, s15, v23, vcc_lo
	;; [unrolled: 4-line block ×3, first 2 shown]
	v_add_co_u32 v34, vcc_lo, s12, v34
	v_lshlrev_b64 v[36:37], 2, v[6:7]
	v_add_nc_u32_e32 v6, -4, v4
	v_add_co_ci_u32_e64 v35, null, s13, v35, vcc_lo
	global_load_dword v3, v[29:30], off
	s_clause 0x1
	global_load_dwordx4 v[20:23], v[20:21], off
	global_load_dwordx4 v[24:27], v[24:25], off
	global_load_dword v43, v[34:35], off
	v_lshlrev_b64 v[29:30], 2, v[6:7]
	v_add_nc_u32_e32 v6, -15, v4
	v_add_co_u32 v34, vcc_lo, s12, v36
	v_add_co_ci_u32_e64 v35, null, s13, v37, vcc_lo
	v_lshlrev_b64 v[36:37], 2, v[6:7]
	v_add_nc_u32_e32 v6, 8, v28
	v_add_co_u32 v28, vcc_lo, s12, v29
	v_add_co_ci_u32_e64 v29, null, s13, v30, vcc_lo
	v_lshlrev_b64 v[30:31], 2, v[6:7]
	v_add_nc_u32_e32 v6, -3, v4
	s_clause 0x1
	global_load_dword v44, v[34:35], off
	global_load_dword v45, v[28:29], off
	v_add_co_u32 v28, vcc_lo, s12, v36
	v_lshlrev_b64 v[34:35], 2, v[6:7]
	v_add_nc_u32_e32 v6, -14, v4
	v_add_co_ci_u32_e64 v29, null, s13, v37, vcc_lo
	v_add_co_u32 v30, vcc_lo, s14, v30
	v_lshlrev_b64 v[36:37], 2, v[6:7]
	v_add_nc_u32_e32 v6, -2, v4
	v_add_co_ci_u32_e64 v31, null, s15, v31, vcc_lo
	v_add_co_u32 v34, vcc_lo, s12, v34
	v_add_co_ci_u32_e64 v35, null, s13, v35, vcc_lo
	v_add_co_u32 v36, vcc_lo, s12, v36
	v_lshlrev_b64 v[38:39], 2, v[6:7]
	v_add_nc_u32_e32 v6, -13, v4
	v_add_co_ci_u32_e64 v37, null, s13, v37, vcc_lo
	s_clause 0x2
	global_load_dword v46, v[28:29], off
	global_load_dword v47, v[34:35], off
	;; [unrolled: 1-line block ×3, first 2 shown]
	v_lshlrev_b64 v[34:35], 2, v[6:7]
	v_add_nc_u32_e32 v6, -1, v4
	v_add_co_u32 v36, vcc_lo, s12, v38
	v_add_co_ci_u32_e64 v37, null, s13, v39, vcc_lo
	v_lshlrev_b64 v[38:39], 2, v[6:7]
	v_add_nc_u32_e32 v6, -12, v4
	v_add_co_u32 v34, vcc_lo, s12, v34
	v_add_co_ci_u32_e64 v35, null, s13, v35, vcc_lo
	global_load_dwordx4 v[28:31], v[30:31], off
	v_lshlrev_b64 v[5:6], 2, v[6:7]
	s_clause 0x1
	global_load_dword v36, v[36:37], off
	global_load_dword v37, v[34:35], off
	v_add_co_u32 v34, vcc_lo, s12, v38
	v_add_co_ci_u32_e64 v35, null, s13, v39, vcc_lo
	v_add_co_u32 v5, vcc_lo, s12, v5
	v_add_co_ci_u32_e64 v6, null, s13, v6, vcc_lo
	s_clause 0x2
	global_load_dword v34, v[34:35], off
	global_load_dword v5, v[5:6], off
	;; [unrolled: 1-line block ×3, first 2 shown]
	v_cmp_ge_i32_e32 vcc_lo, v2, v11
	v_add_nc_u32_e32 v4, 0x300, v4
	s_or_b32 s0, vcc_lo, s0
	s_waitcnt vmcnt(13)
	v_fmac_f32_e32 v9, v16, v20
	v_fmac_f32_e32 v10, v8, v20
	;; [unrolled: 1-line block ×8, first 2 shown]
	s_waitcnt vmcnt(12)
	v_fmac_f32_e32 v9, v12, v24
	v_fmac_f32_e32 v10, v3, v24
	;; [unrolled: 1-line block ×3, first 2 shown]
	s_waitcnt vmcnt(11)
	v_fmac_f32_e32 v10, v43, v25
	v_fmac_f32_e32 v9, v14, v26
	s_waitcnt vmcnt(10)
	v_fmac_f32_e32 v10, v44, v26
	v_fmac_f32_e32 v9, v15, v27
	s_waitcnt vmcnt(9)
	v_fmac_f32_e32 v10, v45, v27
	s_waitcnt vmcnt(5)
	v_fmac_f32_e32 v9, v46, v28
	v_fmac_f32_e32 v10, v47, v28
	;; [unrolled: 1-line block ×3, first 2 shown]
	s_waitcnt vmcnt(4)
	v_fmac_f32_e32 v10, v36, v29
	s_waitcnt vmcnt(3)
	v_fmac_f32_e32 v9, v37, v30
	;; [unrolled: 2-line block ×5, first 2 shown]
	s_andn2_b32 exec_lo, exec_lo, s0
	s_cbranch_execnz .LBB53_15
; %bb.16:
	s_or_b32 exec_lo, exec_lo, s0
.LBB53_17:
	s_or_b32 exec_lo, exec_lo, s1
.LBB53_18:
	v_mbcnt_lo_u32_b32 v2, -1, 0
	s_mov_b32 s3, -1
	v_xor_b32_e32 v3, 16, v2
	v_xor_b32_e32 v5, 8, v2
	;; [unrolled: 1-line block ×3, first 2 shown]
	v_cmp_gt_i32_e32 vcc_lo, 32, v3
	v_cndmask_b32_e32 v3, v2, v3, vcc_lo
	v_cmp_gt_i32_e32 vcc_lo, 32, v5
	v_lshlrev_b32_e32 v3, 2, v3
	v_cndmask_b32_e32 v5, v2, v5, vcc_lo
	v_cmp_gt_i32_e32 vcc_lo, 32, v7
	ds_bpermute_b32 v4, v3, v9
	ds_bpermute_b32 v3, v3, v10
	v_lshlrev_b32_e32 v5, 2, v5
	v_cndmask_b32_e32 v7, v2, v7, vcc_lo
	v_lshlrev_b32_e32 v7, 2, v7
	s_waitcnt lgkmcnt(1)
	v_add_f32_e32 v4, v9, v4
	s_waitcnt lgkmcnt(0)
	v_add_f32_e32 v3, v10, v3
	ds_bpermute_b32 v6, v5, v4
	ds_bpermute_b32 v5, v5, v3
	s_waitcnt lgkmcnt(1)
	v_add_f32_e32 v4, v4, v6
	s_waitcnt lgkmcnt(0)
	v_add_f32_e32 v3, v3, v5
	ds_bpermute_b32 v5, v7, v4
	ds_bpermute_b32 v6, v7, v3
	v_xor_b32_e32 v7, 2, v2
	v_cmp_gt_i32_e32 vcc_lo, 32, v7
	v_cndmask_b32_e32 v7, v2, v7, vcc_lo
	v_lshlrev_b32_e32 v7, 2, v7
	s_waitcnt lgkmcnt(1)
	v_add_f32_e32 v4, v4, v5
	s_waitcnt lgkmcnt(0)
	v_add_f32_e32 v3, v3, v6
	ds_bpermute_b32 v5, v7, v4
	ds_bpermute_b32 v6, v7, v3
	v_xor_b32_e32 v7, 1, v2
	v_cmp_gt_i32_e32 vcc_lo, 32, v7
	v_cndmask_b32_e32 v2, v2, v7, vcc_lo
	v_cmp_eq_u32_e32 vcc_lo, 31, v0
	v_lshlrev_b32_e32 v7, 2, v2
	s_waitcnt lgkmcnt(1)
	v_add_f32_e32 v2, v4, v5
	s_waitcnt lgkmcnt(0)
	v_add_f32_e32 v3, v3, v6
	ds_bpermute_b32 v4, v7, v2
	ds_bpermute_b32 v5, v7, v3
	s_and_b32 exec_lo, exec_lo, vcc_lo
	s_cbranch_execz .LBB53_23
; %bb.19:
	s_load_dwordx2 s[0:1], s[4:5], 0x38
	s_waitcnt lgkmcnt(0)
	v_add_f32_e32 v0, v2, v4
	v_add_f32_e32 v3, v3, v5
	v_cmp_eq_f32_e64 s4, s2, 0
	v_mul_f32_e32 v2, s16, v0
	v_mul_f32_e32 v3, s16, v3
	v_lshlrev_b32_e32 v0, 1, v1
	s_and_b32 vcc_lo, exec_lo, s4
	s_cbranch_vccz .LBB53_21
; %bb.20:
	v_ashrrev_i32_e32 v1, 31, v0
	s_mov_b32 s3, 0
	v_lshlrev_b64 v[4:5], 2, v[0:1]
	v_add_co_u32 v4, vcc_lo, s0, v4
	v_add_co_ci_u32_e64 v5, null, s1, v5, vcc_lo
	global_store_dwordx2 v[4:5], v[2:3], off
.LBB53_21:
	s_andn2_b32 vcc_lo, exec_lo, s3
	s_cbranch_vccnz .LBB53_23
; %bb.22:
	v_ashrrev_i32_e32 v1, 31, v0
	v_lshlrev_b64 v[0:1], 2, v[0:1]
	v_add_co_u32 v0, vcc_lo, s0, v0
	v_add_co_ci_u32_e64 v1, null, s1, v1, vcc_lo
	global_load_dwordx2 v[4:5], v[0:1], off
	s_waitcnt vmcnt(0)
	v_fmac_f32_e32 v2, s2, v4
	v_fmac_f32_e32 v3, s2, v5
	global_store_dwordx2 v[0:1], v[2:3], off
.LBB53_23:
	s_endpgm
	.section	.rodata,"a",@progbits
	.p2align	6, 0x0
	.amdhsa_kernel _ZN9rocsparseL19gebsrmvn_2xn_kernelILj128ELj12ELj32EfEEvi20rocsparse_direction_NS_24const_host_device_scalarIT2_EEPKiS6_PKS3_S8_S4_PS3_21rocsparse_index_base_b
		.amdhsa_group_segment_fixed_size 0
		.amdhsa_private_segment_fixed_size 0
		.amdhsa_kernarg_size 72
		.amdhsa_user_sgpr_count 6
		.amdhsa_user_sgpr_private_segment_buffer 1
		.amdhsa_user_sgpr_dispatch_ptr 0
		.amdhsa_user_sgpr_queue_ptr 0
		.amdhsa_user_sgpr_kernarg_segment_ptr 1
		.amdhsa_user_sgpr_dispatch_id 0
		.amdhsa_user_sgpr_flat_scratch_init 0
		.amdhsa_user_sgpr_private_segment_size 0
		.amdhsa_wavefront_size32 1
		.amdhsa_uses_dynamic_stack 0
		.amdhsa_system_sgpr_private_segment_wavefront_offset 0
		.amdhsa_system_sgpr_workgroup_id_x 1
		.amdhsa_system_sgpr_workgroup_id_y 0
		.amdhsa_system_sgpr_workgroup_id_z 0
		.amdhsa_system_sgpr_workgroup_info 0
		.amdhsa_system_vgpr_workitem_id 0
		.amdhsa_next_free_vgpr 49
		.amdhsa_next_free_sgpr 20
		.amdhsa_reserve_vcc 1
		.amdhsa_reserve_flat_scratch 0
		.amdhsa_float_round_mode_32 0
		.amdhsa_float_round_mode_16_64 0
		.amdhsa_float_denorm_mode_32 3
		.amdhsa_float_denorm_mode_16_64 3
		.amdhsa_dx10_clamp 1
		.amdhsa_ieee_mode 1
		.amdhsa_fp16_overflow 0
		.amdhsa_workgroup_processor_mode 1
		.amdhsa_memory_ordered 1
		.amdhsa_forward_progress 1
		.amdhsa_shared_vgpr_count 0
		.amdhsa_exception_fp_ieee_invalid_op 0
		.amdhsa_exception_fp_denorm_src 0
		.amdhsa_exception_fp_ieee_div_zero 0
		.amdhsa_exception_fp_ieee_overflow 0
		.amdhsa_exception_fp_ieee_underflow 0
		.amdhsa_exception_fp_ieee_inexact 0
		.amdhsa_exception_int_div_zero 0
	.end_amdhsa_kernel
	.section	.text._ZN9rocsparseL19gebsrmvn_2xn_kernelILj128ELj12ELj32EfEEvi20rocsparse_direction_NS_24const_host_device_scalarIT2_EEPKiS6_PKS3_S8_S4_PS3_21rocsparse_index_base_b,"axG",@progbits,_ZN9rocsparseL19gebsrmvn_2xn_kernelILj128ELj12ELj32EfEEvi20rocsparse_direction_NS_24const_host_device_scalarIT2_EEPKiS6_PKS3_S8_S4_PS3_21rocsparse_index_base_b,comdat
.Lfunc_end53:
	.size	_ZN9rocsparseL19gebsrmvn_2xn_kernelILj128ELj12ELj32EfEEvi20rocsparse_direction_NS_24const_host_device_scalarIT2_EEPKiS6_PKS3_S8_S4_PS3_21rocsparse_index_base_b, .Lfunc_end53-_ZN9rocsparseL19gebsrmvn_2xn_kernelILj128ELj12ELj32EfEEvi20rocsparse_direction_NS_24const_host_device_scalarIT2_EEPKiS6_PKS3_S8_S4_PS3_21rocsparse_index_base_b
                                        ; -- End function
	.set _ZN9rocsparseL19gebsrmvn_2xn_kernelILj128ELj12ELj32EfEEvi20rocsparse_direction_NS_24const_host_device_scalarIT2_EEPKiS6_PKS3_S8_S4_PS3_21rocsparse_index_base_b.num_vgpr, 49
	.set _ZN9rocsparseL19gebsrmvn_2xn_kernelILj128ELj12ELj32EfEEvi20rocsparse_direction_NS_24const_host_device_scalarIT2_EEPKiS6_PKS3_S8_S4_PS3_21rocsparse_index_base_b.num_agpr, 0
	.set _ZN9rocsparseL19gebsrmvn_2xn_kernelILj128ELj12ELj32EfEEvi20rocsparse_direction_NS_24const_host_device_scalarIT2_EEPKiS6_PKS3_S8_S4_PS3_21rocsparse_index_base_b.numbered_sgpr, 20
	.set _ZN9rocsparseL19gebsrmvn_2xn_kernelILj128ELj12ELj32EfEEvi20rocsparse_direction_NS_24const_host_device_scalarIT2_EEPKiS6_PKS3_S8_S4_PS3_21rocsparse_index_base_b.num_named_barrier, 0
	.set _ZN9rocsparseL19gebsrmvn_2xn_kernelILj128ELj12ELj32EfEEvi20rocsparse_direction_NS_24const_host_device_scalarIT2_EEPKiS6_PKS3_S8_S4_PS3_21rocsparse_index_base_b.private_seg_size, 0
	.set _ZN9rocsparseL19gebsrmvn_2xn_kernelILj128ELj12ELj32EfEEvi20rocsparse_direction_NS_24const_host_device_scalarIT2_EEPKiS6_PKS3_S8_S4_PS3_21rocsparse_index_base_b.uses_vcc, 1
	.set _ZN9rocsparseL19gebsrmvn_2xn_kernelILj128ELj12ELj32EfEEvi20rocsparse_direction_NS_24const_host_device_scalarIT2_EEPKiS6_PKS3_S8_S4_PS3_21rocsparse_index_base_b.uses_flat_scratch, 0
	.set _ZN9rocsparseL19gebsrmvn_2xn_kernelILj128ELj12ELj32EfEEvi20rocsparse_direction_NS_24const_host_device_scalarIT2_EEPKiS6_PKS3_S8_S4_PS3_21rocsparse_index_base_b.has_dyn_sized_stack, 0
	.set _ZN9rocsparseL19gebsrmvn_2xn_kernelILj128ELj12ELj32EfEEvi20rocsparse_direction_NS_24const_host_device_scalarIT2_EEPKiS6_PKS3_S8_S4_PS3_21rocsparse_index_base_b.has_recursion, 0
	.set _ZN9rocsparseL19gebsrmvn_2xn_kernelILj128ELj12ELj32EfEEvi20rocsparse_direction_NS_24const_host_device_scalarIT2_EEPKiS6_PKS3_S8_S4_PS3_21rocsparse_index_base_b.has_indirect_call, 0
	.section	.AMDGPU.csdata,"",@progbits
; Kernel info:
; codeLenInByte = 2380
; TotalNumSgprs: 22
; NumVgprs: 49
; ScratchSize: 0
; MemoryBound: 0
; FloatMode: 240
; IeeeMode: 1
; LDSByteSize: 0 bytes/workgroup (compile time only)
; SGPRBlocks: 0
; VGPRBlocks: 6
; NumSGPRsForWavesPerEU: 22
; NumVGPRsForWavesPerEU: 49
; Occupancy: 16
; WaveLimiterHint : 1
; COMPUTE_PGM_RSRC2:SCRATCH_EN: 0
; COMPUTE_PGM_RSRC2:USER_SGPR: 6
; COMPUTE_PGM_RSRC2:TRAP_HANDLER: 0
; COMPUTE_PGM_RSRC2:TGID_X_EN: 1
; COMPUTE_PGM_RSRC2:TGID_Y_EN: 0
; COMPUTE_PGM_RSRC2:TGID_Z_EN: 0
; COMPUTE_PGM_RSRC2:TIDIG_COMP_CNT: 0
	.section	.text._ZN9rocsparseL19gebsrmvn_2xn_kernelILj128ELj12ELj64EfEEvi20rocsparse_direction_NS_24const_host_device_scalarIT2_EEPKiS6_PKS3_S8_S4_PS3_21rocsparse_index_base_b,"axG",@progbits,_ZN9rocsparseL19gebsrmvn_2xn_kernelILj128ELj12ELj64EfEEvi20rocsparse_direction_NS_24const_host_device_scalarIT2_EEPKiS6_PKS3_S8_S4_PS3_21rocsparse_index_base_b,comdat
	.globl	_ZN9rocsparseL19gebsrmvn_2xn_kernelILj128ELj12ELj64EfEEvi20rocsparse_direction_NS_24const_host_device_scalarIT2_EEPKiS6_PKS3_S8_S4_PS3_21rocsparse_index_base_b ; -- Begin function _ZN9rocsparseL19gebsrmvn_2xn_kernelILj128ELj12ELj64EfEEvi20rocsparse_direction_NS_24const_host_device_scalarIT2_EEPKiS6_PKS3_S8_S4_PS3_21rocsparse_index_base_b
	.p2align	8
	.type	_ZN9rocsparseL19gebsrmvn_2xn_kernelILj128ELj12ELj64EfEEvi20rocsparse_direction_NS_24const_host_device_scalarIT2_EEPKiS6_PKS3_S8_S4_PS3_21rocsparse_index_base_b,@function
_ZN9rocsparseL19gebsrmvn_2xn_kernelILj128ELj12ELj64EfEEvi20rocsparse_direction_NS_24const_host_device_scalarIT2_EEPKiS6_PKS3_S8_S4_PS3_21rocsparse_index_base_b: ; @_ZN9rocsparseL19gebsrmvn_2xn_kernelILj128ELj12ELj64EfEEvi20rocsparse_direction_NS_24const_host_device_scalarIT2_EEPKiS6_PKS3_S8_S4_PS3_21rocsparse_index_base_b
; %bb.0:
	s_clause 0x2
	s_load_dwordx2 s[18:19], s[4:5], 0x40
	s_load_dwordx2 s[16:17], s[4:5], 0x8
	;; [unrolled: 1-line block ×3, first 2 shown]
	s_waitcnt lgkmcnt(0)
	s_bitcmp1_b32 s19, 0
	s_cselect_b32 s0, -1, 0
	s_and_b32 vcc_lo, exec_lo, s0
	s_xor_b32 s0, s0, -1
	s_cbranch_vccnz .LBB54_2
; %bb.1:
	s_load_dword s16, s[16:17], 0x0
.LBB54_2:
	s_andn2_b32 vcc_lo, exec_lo, s0
	s_cbranch_vccnz .LBB54_4
; %bb.3:
	s_load_dword s2, s[2:3], 0x0
.LBB54_4:
	s_waitcnt lgkmcnt(0)
	v_cmp_eq_f32_e64 s0, s16, 0
	v_cmp_eq_f32_e64 s1, s2, 1.0
	s_and_b32 s0, s0, s1
	s_and_b32 vcc_lo, exec_lo, s0
	s_cbranch_vccnz .LBB54_23
; %bb.5:
	s_load_dwordx2 s[0:1], s[4:5], 0x0
	v_lshrrev_b32_e32 v1, 6, v0
	v_lshl_or_b32 v1, s6, 1, v1
	s_waitcnt lgkmcnt(0)
	v_cmp_gt_i32_e32 vcc_lo, s0, v1
	s_and_saveexec_b32 s0, vcc_lo
	s_cbranch_execz .LBB54_23
; %bb.6:
	s_load_dwordx8 s[8:15], s[4:5], 0x10
	v_ashrrev_i32_e32 v2, 31, v1
	v_and_b32_e32 v0, 63, v0
	s_cmp_lg_u32 s1, 0
	v_lshlrev_b64 v[2:3], 2, v[1:2]
	s_waitcnt lgkmcnt(0)
	v_add_co_u32 v2, vcc_lo, s8, v2
	v_add_co_ci_u32_e64 v3, null, s9, v3, vcc_lo
	global_load_dwordx2 v[2:3], v[2:3], off
	s_waitcnt vmcnt(0)
	v_subrev_nc_u32_e32 v2, s18, v2
	v_subrev_nc_u32_e32 v11, s18, v3
	v_add_nc_u32_e32 v2, v2, v0
	v_cmp_lt_i32_e64 s0, v2, v11
	s_cbranch_scc0 .LBB54_12
; %bb.7:
	v_mov_b32_e32 v9, 0
	v_mov_b32_e32 v10, 0
	s_and_saveexec_b32 s1, s0
	s_cbranch_execz .LBB54_11
; %bb.8:
	v_mad_u64_u32 v[3:4], null, v2, 24, 22
	v_mov_b32_e32 v6, 0
	v_mov_b32_e32 v7, v2
	;; [unrolled: 1-line block ×4, first 2 shown]
	s_mov_b32 s3, 0
.LBB54_9:                               ; =>This Inner Loop Header: Depth=1
	v_ashrrev_i32_e32 v8, 31, v7
	v_mov_b32_e32 v29, v6
	v_lshlrev_b64 v[4:5], 2, v[7:8]
	v_add_nc_u32_e32 v7, 64, v7
	v_add_co_u32 v4, vcc_lo, s10, v4
	v_add_co_ci_u32_e64 v5, null, s11, v5, vcc_lo
	global_load_dword v8, v[4:5], off
	v_subrev_nc_u32_e32 v5, 22, v3
	v_mov_b32_e32 v4, v6
	v_lshlrev_b64 v[12:13], 2, v[5:6]
	v_add_nc_u32_e32 v5, -14, v3
	v_lshlrev_b64 v[32:33], 2, v[3:4]
	v_lshlrev_b64 v[4:5], 2, v[5:6]
	v_add_co_u32 v16, vcc_lo, s12, v12
	v_add_co_ci_u32_e64 v17, null, s13, v13, vcc_lo
	v_add_co_u32 v4, vcc_lo, s12, v4
	v_add_co_ci_u32_e64 v5, null, s13, v5, vcc_lo
	s_clause 0x2
	global_load_dwordx4 v[12:15], v[16:17], off offset:16
	global_load_dwordx4 v[16:19], v[16:17], off
	global_load_dwordx2 v[34:35], v[4:5], off
	s_waitcnt vmcnt(3)
	v_subrev_nc_u32_e32 v4, s18, v8
	v_mul_lo_u32 v28, v4, 12
	v_add_nc_u32_e32 v5, 4, v28
	v_lshlrev_b64 v[20:21], 2, v[28:29]
	v_lshlrev_b64 v[22:23], 2, v[5:6]
	v_add_nc_u32_e32 v5, -12, v3
	v_add_co_u32 v20, vcc_lo, s14, v20
	v_add_co_ci_u32_e64 v21, null, s15, v21, vcc_lo
	v_lshlrev_b64 v[29:30], 2, v[5:6]
	v_add_nc_u32_e32 v5, -10, v3
	v_add_co_u32 v24, vcc_lo, s14, v22
	v_add_co_ci_u32_e64 v25, null, s15, v23, vcc_lo
	global_load_dwordx4 v[20:23], v[20:21], off
	v_lshlrev_b64 v[36:37], 2, v[5:6]
	v_add_nc_u32_e32 v5, -8, v3
	v_add_co_u32 v29, vcc_lo, s12, v29
	v_add_co_ci_u32_e64 v30, null, s13, v30, vcc_lo
	v_lshlrev_b64 v[38:39], 2, v[5:6]
	v_add_co_u32 v36, vcc_lo, s12, v36
	v_add_co_ci_u32_e64 v37, null, s13, v37, vcc_lo
	v_add_nc_u32_e32 v5, -6, v3
	v_add_co_u32 v38, vcc_lo, s12, v38
	v_add_co_ci_u32_e64 v39, null, s13, v39, vcc_lo
	global_load_dwordx2 v[40:41], v[29:30], off
	global_load_dwordx4 v[24:27], v[24:25], off
	s_clause 0x1
	global_load_dwordx2 v[36:37], v[36:37], off
	global_load_dwordx2 v[38:39], v[38:39], off
	v_lshlrev_b64 v[29:30], 2, v[5:6]
	v_add_nc_u32_e32 v5, 8, v28
	v_lshlrev_b64 v[42:43], 2, v[5:6]
	v_add_nc_u32_e32 v5, -4, v3
	v_add_co_u32 v28, vcc_lo, s12, v29
	v_add_co_ci_u32_e64 v29, null, s13, v30, vcc_lo
	v_lshlrev_b64 v[30:31], 2, v[5:6]
	v_add_nc_u32_e32 v5, -2, v3
	v_add_nc_u32_e32 v3, 0x600, v3
	global_load_dwordx2 v[44:45], v[28:29], off
	v_add_co_u32 v28, vcc_lo, s14, v42
	v_add_co_ci_u32_e64 v29, null, s15, v43, vcc_lo
	v_add_co_u32 v42, vcc_lo, s12, v30
	v_lshlrev_b64 v[4:5], 2, v[5:6]
	v_add_co_ci_u32_e64 v43, null, s13, v31, vcc_lo
	global_load_dwordx4 v[28:31], v[28:29], off
	global_load_dwordx2 v[42:43], v[42:43], off
	v_add_co_u32 v4, vcc_lo, s12, v4
	v_add_co_ci_u32_e64 v5, null, s13, v5, vcc_lo
	v_add_co_u32 v32, vcc_lo, s12, v32
	v_add_co_ci_u32_e64 v33, null, s13, v33, vcc_lo
	s_clause 0x1
	global_load_dwordx2 v[4:5], v[4:5], off
	global_load_dwordx2 v[32:33], v[32:33], off
	v_cmp_ge_i32_e32 vcc_lo, v7, v11
	s_or_b32 s3, vcc_lo, s3
	s_waitcnt vmcnt(9)
	v_fmac_f32_e32 v9, v16, v20
	v_fmac_f32_e32 v10, v17, v20
	;; [unrolled: 1-line block ×8, first 2 shown]
	s_waitcnt vmcnt(7)
	v_fmac_f32_e32 v9, v34, v24
	v_fmac_f32_e32 v10, v35, v24
	;; [unrolled: 1-line block ×4, first 2 shown]
	s_waitcnt vmcnt(6)
	v_fmac_f32_e32 v9, v36, v26
	v_fmac_f32_e32 v10, v37, v26
	s_waitcnt vmcnt(5)
	v_fmac_f32_e32 v9, v38, v27
	v_fmac_f32_e32 v10, v39, v27
	;; [unrolled: 3-line block ×6, first 2 shown]
	s_andn2_b32 exec_lo, exec_lo, s3
	s_cbranch_execnz .LBB54_9
; %bb.10:
	s_or_b32 exec_lo, exec_lo, s3
.LBB54_11:
	s_or_b32 exec_lo, exec_lo, s1
	s_cbranch_execz .LBB54_13
	s_branch .LBB54_18
.LBB54_12:
                                        ; implicit-def: $vgpr9
                                        ; implicit-def: $vgpr10
.LBB54_13:
	v_mov_b32_e32 v9, 0
	v_mov_b32_e32 v10, 0
	s_and_saveexec_b32 s1, s0
	s_cbranch_execz .LBB54_17
; %bb.14:
	v_mad_u64_u32 v[4:5], null, v2, 24, 23
	v_mov_b32_e32 v7, 0
	v_mov_b32_e32 v9, 0
	;; [unrolled: 1-line block ×3, first 2 shown]
	s_mov_b32 s0, 0
.LBB54_15:                              ; =>This Inner Loop Header: Depth=1
	v_ashrrev_i32_e32 v3, 31, v2
	v_add_nc_u32_e32 v12, -11, v4
	v_mov_b32_e32 v13, v7
	v_mov_b32_e32 v29, v7
	v_lshlrev_b64 v[5:6], 2, v[2:3]
	v_add_nc_u32_e32 v2, 64, v2
	v_lshlrev_b64 v[12:13], 2, v[12:13]
	v_add_co_u32 v5, vcc_lo, s10, v5
	v_add_co_ci_u32_e64 v6, null, s11, v6, vcc_lo
	global_load_dword v3, v[5:6], off
	v_subrev_nc_u32_e32 v6, 23, v4
	v_mov_b32_e32 v5, v7
	v_lshlrev_b64 v[14:15], 2, v[6:7]
	v_add_nc_u32_e32 v6, -10, v4
	v_lshlrev_b64 v[16:17], 2, v[4:5]
	v_lshlrev_b64 v[18:19], 2, v[6:7]
	v_add_nc_u32_e32 v6, -9, v4
	v_add_co_u32 v20, vcc_lo, s12, v14
	v_add_co_ci_u32_e64 v21, null, s13, v15, vcc_lo
	v_lshlrev_b64 v[24:25], 2, v[6:7]
	v_add_nc_u32_e32 v6, -8, v4
	v_add_co_u32 v22, vcc_lo, s12, v12
	v_add_co_ci_u32_e64 v23, null, s13, v13, vcc_lo
	v_add_co_u32 v32, vcc_lo, s12, v16
	v_lshlrev_b64 v[5:6], 2, v[6:7]
	v_add_co_ci_u32_e64 v33, null, s13, v17, vcc_lo
	v_add_co_u32 v26, vcc_lo, s12, v18
	v_add_co_ci_u32_e64 v27, null, s13, v19, vcc_lo
	s_clause 0x2
	global_load_dwordx4 v[12:15], v[20:21], off offset:16
	global_load_dwordx4 v[16:19], v[20:21], off
	global_load_dword v8, v[22:23], off
	v_add_co_u32 v20, vcc_lo, s12, v24
	v_add_co_ci_u32_e64 v21, null, s13, v25, vcc_lo
	v_add_co_u32 v5, vcc_lo, s12, v5
	v_add_co_ci_u32_e64 v6, null, s13, v6, vcc_lo
	s_clause 0x2
	global_load_dword v40, v[26:27], off
	global_load_dword v41, v[20:21], off
	;; [unrolled: 1-line block ×3, first 2 shown]
	s_waitcnt vmcnt(6)
	v_subrev_nc_u32_e32 v3, s18, v3
	v_mul_lo_u32 v28, v3, 12
	v_add_nc_u32_e32 v6, 4, v28
	v_lshlrev_b64 v[20:21], 2, v[28:29]
	v_lshlrev_b64 v[22:23], 2, v[6:7]
	v_add_nc_u32_e32 v6, -7, v4
	v_add_co_u32 v20, vcc_lo, s14, v20
	v_add_co_ci_u32_e64 v21, null, s15, v21, vcc_lo
	v_lshlrev_b64 v[29:30], 2, v[6:7]
	v_add_nc_u32_e32 v6, -6, v4
	v_add_co_u32 v24, vcc_lo, s14, v22
	v_add_co_ci_u32_e64 v25, null, s15, v23, vcc_lo
	v_lshlrev_b64 v[34:35], 2, v[6:7]
	v_add_nc_u32_e32 v6, -5, v4
	v_add_co_u32 v29, vcc_lo, s12, v29
	v_add_co_ci_u32_e64 v30, null, s13, v30, vcc_lo
	v_add_co_u32 v34, vcc_lo, s12, v34
	v_lshlrev_b64 v[36:37], 2, v[6:7]
	v_add_nc_u32_e32 v6, -4, v4
	v_add_co_ci_u32_e64 v35, null, s13, v35, vcc_lo
	global_load_dword v3, v[29:30], off
	s_clause 0x1
	global_load_dwordx4 v[20:23], v[20:21], off
	global_load_dwordx4 v[24:27], v[24:25], off
	global_load_dword v43, v[34:35], off
	v_lshlrev_b64 v[29:30], 2, v[6:7]
	v_add_nc_u32_e32 v6, -15, v4
	v_add_co_u32 v34, vcc_lo, s12, v36
	v_add_co_ci_u32_e64 v35, null, s13, v37, vcc_lo
	v_lshlrev_b64 v[36:37], 2, v[6:7]
	v_add_nc_u32_e32 v6, 8, v28
	v_add_co_u32 v28, vcc_lo, s12, v29
	v_add_co_ci_u32_e64 v29, null, s13, v30, vcc_lo
	v_lshlrev_b64 v[30:31], 2, v[6:7]
	v_add_nc_u32_e32 v6, -3, v4
	s_clause 0x1
	global_load_dword v44, v[34:35], off
	global_load_dword v45, v[28:29], off
	v_add_co_u32 v28, vcc_lo, s12, v36
	v_lshlrev_b64 v[34:35], 2, v[6:7]
	v_add_nc_u32_e32 v6, -14, v4
	v_add_co_ci_u32_e64 v29, null, s13, v37, vcc_lo
	v_add_co_u32 v30, vcc_lo, s14, v30
	v_lshlrev_b64 v[36:37], 2, v[6:7]
	v_add_nc_u32_e32 v6, -2, v4
	v_add_co_ci_u32_e64 v31, null, s15, v31, vcc_lo
	v_add_co_u32 v34, vcc_lo, s12, v34
	v_add_co_ci_u32_e64 v35, null, s13, v35, vcc_lo
	v_add_co_u32 v36, vcc_lo, s12, v36
	v_lshlrev_b64 v[38:39], 2, v[6:7]
	v_add_nc_u32_e32 v6, -13, v4
	v_add_co_ci_u32_e64 v37, null, s13, v37, vcc_lo
	s_clause 0x2
	global_load_dword v46, v[28:29], off
	global_load_dword v47, v[34:35], off
	;; [unrolled: 1-line block ×3, first 2 shown]
	v_lshlrev_b64 v[34:35], 2, v[6:7]
	v_add_nc_u32_e32 v6, -1, v4
	v_add_co_u32 v36, vcc_lo, s12, v38
	v_add_co_ci_u32_e64 v37, null, s13, v39, vcc_lo
	v_lshlrev_b64 v[38:39], 2, v[6:7]
	v_add_nc_u32_e32 v6, -12, v4
	v_add_co_u32 v34, vcc_lo, s12, v34
	v_add_co_ci_u32_e64 v35, null, s13, v35, vcc_lo
	global_load_dwordx4 v[28:31], v[30:31], off
	v_lshlrev_b64 v[5:6], 2, v[6:7]
	s_clause 0x1
	global_load_dword v36, v[36:37], off
	global_load_dword v37, v[34:35], off
	v_add_co_u32 v34, vcc_lo, s12, v38
	v_add_co_ci_u32_e64 v35, null, s13, v39, vcc_lo
	v_add_co_u32 v5, vcc_lo, s12, v5
	v_add_co_ci_u32_e64 v6, null, s13, v6, vcc_lo
	s_clause 0x2
	global_load_dword v34, v[34:35], off
	global_load_dword v5, v[5:6], off
	;; [unrolled: 1-line block ×3, first 2 shown]
	v_cmp_ge_i32_e32 vcc_lo, v2, v11
	v_add_nc_u32_e32 v4, 0x600, v4
	s_or_b32 s0, vcc_lo, s0
	s_waitcnt vmcnt(13)
	v_fmac_f32_e32 v9, v16, v20
	v_fmac_f32_e32 v10, v8, v20
	;; [unrolled: 1-line block ×8, first 2 shown]
	s_waitcnt vmcnt(12)
	v_fmac_f32_e32 v9, v12, v24
	v_fmac_f32_e32 v10, v3, v24
	;; [unrolled: 1-line block ×3, first 2 shown]
	s_waitcnt vmcnt(11)
	v_fmac_f32_e32 v10, v43, v25
	v_fmac_f32_e32 v9, v14, v26
	s_waitcnt vmcnt(10)
	v_fmac_f32_e32 v10, v44, v26
	v_fmac_f32_e32 v9, v15, v27
	s_waitcnt vmcnt(9)
	v_fmac_f32_e32 v10, v45, v27
	s_waitcnt vmcnt(5)
	v_fmac_f32_e32 v9, v46, v28
	v_fmac_f32_e32 v10, v47, v28
	;; [unrolled: 1-line block ×3, first 2 shown]
	s_waitcnt vmcnt(4)
	v_fmac_f32_e32 v10, v36, v29
	s_waitcnt vmcnt(3)
	v_fmac_f32_e32 v9, v37, v30
	;; [unrolled: 2-line block ×5, first 2 shown]
	s_andn2_b32 exec_lo, exec_lo, s0
	s_cbranch_execnz .LBB54_15
; %bb.16:
	s_or_b32 exec_lo, exec_lo, s0
.LBB54_17:
	s_or_b32 exec_lo, exec_lo, s1
.LBB54_18:
	v_mbcnt_lo_u32_b32 v2, -1, 0
	s_mov_b32 s3, -1
	v_or_b32_e32 v3, 32, v2
	v_xor_b32_e32 v5, 16, v2
	v_xor_b32_e32 v7, 8, v2
	v_cmp_gt_i32_e32 vcc_lo, 32, v3
	v_cndmask_b32_e32 v3, v2, v3, vcc_lo
	v_cmp_gt_i32_e32 vcc_lo, 32, v5
	v_lshlrev_b32_e32 v3, 2, v3
	v_cndmask_b32_e32 v5, v2, v5, vcc_lo
	v_cmp_gt_i32_e32 vcc_lo, 32, v7
	ds_bpermute_b32 v4, v3, v9
	ds_bpermute_b32 v3, v3, v10
	v_lshlrev_b32_e32 v5, 2, v5
	v_cndmask_b32_e32 v7, v2, v7, vcc_lo
	v_lshlrev_b32_e32 v7, 2, v7
	s_waitcnt lgkmcnt(1)
	v_add_f32_e32 v4, v9, v4
	s_waitcnt lgkmcnt(0)
	v_add_f32_e32 v3, v10, v3
	ds_bpermute_b32 v6, v5, v4
	ds_bpermute_b32 v5, v5, v3
	s_waitcnt lgkmcnt(1)
	v_add_f32_e32 v4, v4, v6
	s_waitcnt lgkmcnt(0)
	v_add_f32_e32 v3, v3, v5
	ds_bpermute_b32 v5, v7, v4
	ds_bpermute_b32 v6, v7, v3
	v_xor_b32_e32 v7, 4, v2
	v_cmp_gt_i32_e32 vcc_lo, 32, v7
	v_cndmask_b32_e32 v7, v2, v7, vcc_lo
	v_lshlrev_b32_e32 v7, 2, v7
	s_waitcnt lgkmcnt(1)
	v_add_f32_e32 v4, v4, v5
	s_waitcnt lgkmcnt(0)
	v_add_f32_e32 v3, v3, v6
	ds_bpermute_b32 v5, v7, v4
	ds_bpermute_b32 v6, v7, v3
	v_xor_b32_e32 v7, 2, v2
	v_cmp_gt_i32_e32 vcc_lo, 32, v7
	v_cndmask_b32_e32 v7, v2, v7, vcc_lo
	v_lshlrev_b32_e32 v7, 2, v7
	s_waitcnt lgkmcnt(1)
	v_add_f32_e32 v4, v4, v5
	s_waitcnt lgkmcnt(0)
	v_add_f32_e32 v3, v3, v6
	ds_bpermute_b32 v5, v7, v4
	ds_bpermute_b32 v6, v7, v3
	v_xor_b32_e32 v7, 1, v2
	v_cmp_gt_i32_e32 vcc_lo, 32, v7
	v_cndmask_b32_e32 v2, v2, v7, vcc_lo
	v_cmp_eq_u32_e32 vcc_lo, 63, v0
	v_lshlrev_b32_e32 v7, 2, v2
	s_waitcnt lgkmcnt(1)
	v_add_f32_e32 v2, v4, v5
	s_waitcnt lgkmcnt(0)
	v_add_f32_e32 v3, v3, v6
	ds_bpermute_b32 v4, v7, v2
	ds_bpermute_b32 v5, v7, v3
	s_and_b32 exec_lo, exec_lo, vcc_lo
	s_cbranch_execz .LBB54_23
; %bb.19:
	s_load_dwordx2 s[0:1], s[4:5], 0x38
	s_waitcnt lgkmcnt(0)
	v_add_f32_e32 v0, v2, v4
	v_add_f32_e32 v3, v3, v5
	v_cmp_eq_f32_e64 s4, s2, 0
	v_mul_f32_e32 v2, s16, v0
	v_mul_f32_e32 v3, s16, v3
	v_lshlrev_b32_e32 v0, 1, v1
	s_and_b32 vcc_lo, exec_lo, s4
	s_cbranch_vccz .LBB54_21
; %bb.20:
	v_ashrrev_i32_e32 v1, 31, v0
	s_mov_b32 s3, 0
	v_lshlrev_b64 v[4:5], 2, v[0:1]
	v_add_co_u32 v4, vcc_lo, s0, v4
	v_add_co_ci_u32_e64 v5, null, s1, v5, vcc_lo
	global_store_dwordx2 v[4:5], v[2:3], off
.LBB54_21:
	s_andn2_b32 vcc_lo, exec_lo, s3
	s_cbranch_vccnz .LBB54_23
; %bb.22:
	v_ashrrev_i32_e32 v1, 31, v0
	v_lshlrev_b64 v[0:1], 2, v[0:1]
	v_add_co_u32 v0, vcc_lo, s0, v0
	v_add_co_ci_u32_e64 v1, null, s1, v1, vcc_lo
	global_load_dwordx2 v[4:5], v[0:1], off
	s_waitcnt vmcnt(0)
	v_fmac_f32_e32 v2, s2, v4
	v_fmac_f32_e32 v3, s2, v5
	global_store_dwordx2 v[0:1], v[2:3], off
.LBB54_23:
	s_endpgm
	.section	.rodata,"a",@progbits
	.p2align	6, 0x0
	.amdhsa_kernel _ZN9rocsparseL19gebsrmvn_2xn_kernelILj128ELj12ELj64EfEEvi20rocsparse_direction_NS_24const_host_device_scalarIT2_EEPKiS6_PKS3_S8_S4_PS3_21rocsparse_index_base_b
		.amdhsa_group_segment_fixed_size 0
		.amdhsa_private_segment_fixed_size 0
		.amdhsa_kernarg_size 72
		.amdhsa_user_sgpr_count 6
		.amdhsa_user_sgpr_private_segment_buffer 1
		.amdhsa_user_sgpr_dispatch_ptr 0
		.amdhsa_user_sgpr_queue_ptr 0
		.amdhsa_user_sgpr_kernarg_segment_ptr 1
		.amdhsa_user_sgpr_dispatch_id 0
		.amdhsa_user_sgpr_flat_scratch_init 0
		.amdhsa_user_sgpr_private_segment_size 0
		.amdhsa_wavefront_size32 1
		.amdhsa_uses_dynamic_stack 0
		.amdhsa_system_sgpr_private_segment_wavefront_offset 0
		.amdhsa_system_sgpr_workgroup_id_x 1
		.amdhsa_system_sgpr_workgroup_id_y 0
		.amdhsa_system_sgpr_workgroup_id_z 0
		.amdhsa_system_sgpr_workgroup_info 0
		.amdhsa_system_vgpr_workitem_id 0
		.amdhsa_next_free_vgpr 49
		.amdhsa_next_free_sgpr 20
		.amdhsa_reserve_vcc 1
		.amdhsa_reserve_flat_scratch 0
		.amdhsa_float_round_mode_32 0
		.amdhsa_float_round_mode_16_64 0
		.amdhsa_float_denorm_mode_32 3
		.amdhsa_float_denorm_mode_16_64 3
		.amdhsa_dx10_clamp 1
		.amdhsa_ieee_mode 1
		.amdhsa_fp16_overflow 0
		.amdhsa_workgroup_processor_mode 1
		.amdhsa_memory_ordered 1
		.amdhsa_forward_progress 1
		.amdhsa_shared_vgpr_count 0
		.amdhsa_exception_fp_ieee_invalid_op 0
		.amdhsa_exception_fp_denorm_src 0
		.amdhsa_exception_fp_ieee_div_zero 0
		.amdhsa_exception_fp_ieee_overflow 0
		.amdhsa_exception_fp_ieee_underflow 0
		.amdhsa_exception_fp_ieee_inexact 0
		.amdhsa_exception_int_div_zero 0
	.end_amdhsa_kernel
	.section	.text._ZN9rocsparseL19gebsrmvn_2xn_kernelILj128ELj12ELj64EfEEvi20rocsparse_direction_NS_24const_host_device_scalarIT2_EEPKiS6_PKS3_S8_S4_PS3_21rocsparse_index_base_b,"axG",@progbits,_ZN9rocsparseL19gebsrmvn_2xn_kernelILj128ELj12ELj64EfEEvi20rocsparse_direction_NS_24const_host_device_scalarIT2_EEPKiS6_PKS3_S8_S4_PS3_21rocsparse_index_base_b,comdat
.Lfunc_end54:
	.size	_ZN9rocsparseL19gebsrmvn_2xn_kernelILj128ELj12ELj64EfEEvi20rocsparse_direction_NS_24const_host_device_scalarIT2_EEPKiS6_PKS3_S8_S4_PS3_21rocsparse_index_base_b, .Lfunc_end54-_ZN9rocsparseL19gebsrmvn_2xn_kernelILj128ELj12ELj64EfEEvi20rocsparse_direction_NS_24const_host_device_scalarIT2_EEPKiS6_PKS3_S8_S4_PS3_21rocsparse_index_base_b
                                        ; -- End function
	.set _ZN9rocsparseL19gebsrmvn_2xn_kernelILj128ELj12ELj64EfEEvi20rocsparse_direction_NS_24const_host_device_scalarIT2_EEPKiS6_PKS3_S8_S4_PS3_21rocsparse_index_base_b.num_vgpr, 49
	.set _ZN9rocsparseL19gebsrmvn_2xn_kernelILj128ELj12ELj64EfEEvi20rocsparse_direction_NS_24const_host_device_scalarIT2_EEPKiS6_PKS3_S8_S4_PS3_21rocsparse_index_base_b.num_agpr, 0
	.set _ZN9rocsparseL19gebsrmvn_2xn_kernelILj128ELj12ELj64EfEEvi20rocsparse_direction_NS_24const_host_device_scalarIT2_EEPKiS6_PKS3_S8_S4_PS3_21rocsparse_index_base_b.numbered_sgpr, 20
	.set _ZN9rocsparseL19gebsrmvn_2xn_kernelILj128ELj12ELj64EfEEvi20rocsparse_direction_NS_24const_host_device_scalarIT2_EEPKiS6_PKS3_S8_S4_PS3_21rocsparse_index_base_b.num_named_barrier, 0
	.set _ZN9rocsparseL19gebsrmvn_2xn_kernelILj128ELj12ELj64EfEEvi20rocsparse_direction_NS_24const_host_device_scalarIT2_EEPKiS6_PKS3_S8_S4_PS3_21rocsparse_index_base_b.private_seg_size, 0
	.set _ZN9rocsparseL19gebsrmvn_2xn_kernelILj128ELj12ELj64EfEEvi20rocsparse_direction_NS_24const_host_device_scalarIT2_EEPKiS6_PKS3_S8_S4_PS3_21rocsparse_index_base_b.uses_vcc, 1
	.set _ZN9rocsparseL19gebsrmvn_2xn_kernelILj128ELj12ELj64EfEEvi20rocsparse_direction_NS_24const_host_device_scalarIT2_EEPKiS6_PKS3_S8_S4_PS3_21rocsparse_index_base_b.uses_flat_scratch, 0
	.set _ZN9rocsparseL19gebsrmvn_2xn_kernelILj128ELj12ELj64EfEEvi20rocsparse_direction_NS_24const_host_device_scalarIT2_EEPKiS6_PKS3_S8_S4_PS3_21rocsparse_index_base_b.has_dyn_sized_stack, 0
	.set _ZN9rocsparseL19gebsrmvn_2xn_kernelILj128ELj12ELj64EfEEvi20rocsparse_direction_NS_24const_host_device_scalarIT2_EEPKiS6_PKS3_S8_S4_PS3_21rocsparse_index_base_b.has_recursion, 0
	.set _ZN9rocsparseL19gebsrmvn_2xn_kernelILj128ELj12ELj64EfEEvi20rocsparse_direction_NS_24const_host_device_scalarIT2_EEPKiS6_PKS3_S8_S4_PS3_21rocsparse_index_base_b.has_indirect_call, 0
	.section	.AMDGPU.csdata,"",@progbits
; Kernel info:
; codeLenInByte = 2428
; TotalNumSgprs: 22
; NumVgprs: 49
; ScratchSize: 0
; MemoryBound: 0
; FloatMode: 240
; IeeeMode: 1
; LDSByteSize: 0 bytes/workgroup (compile time only)
; SGPRBlocks: 0
; VGPRBlocks: 6
; NumSGPRsForWavesPerEU: 22
; NumVGPRsForWavesPerEU: 49
; Occupancy: 16
; WaveLimiterHint : 1
; COMPUTE_PGM_RSRC2:SCRATCH_EN: 0
; COMPUTE_PGM_RSRC2:USER_SGPR: 6
; COMPUTE_PGM_RSRC2:TRAP_HANDLER: 0
; COMPUTE_PGM_RSRC2:TGID_X_EN: 1
; COMPUTE_PGM_RSRC2:TGID_Y_EN: 0
; COMPUTE_PGM_RSRC2:TGID_Z_EN: 0
; COMPUTE_PGM_RSRC2:TIDIG_COMP_CNT: 0
	.section	.text._ZN9rocsparseL19gebsrmvn_2xn_kernelILj128ELj13ELj4EfEEvi20rocsparse_direction_NS_24const_host_device_scalarIT2_EEPKiS6_PKS3_S8_S4_PS3_21rocsparse_index_base_b,"axG",@progbits,_ZN9rocsparseL19gebsrmvn_2xn_kernelILj128ELj13ELj4EfEEvi20rocsparse_direction_NS_24const_host_device_scalarIT2_EEPKiS6_PKS3_S8_S4_PS3_21rocsparse_index_base_b,comdat
	.globl	_ZN9rocsparseL19gebsrmvn_2xn_kernelILj128ELj13ELj4EfEEvi20rocsparse_direction_NS_24const_host_device_scalarIT2_EEPKiS6_PKS3_S8_S4_PS3_21rocsparse_index_base_b ; -- Begin function _ZN9rocsparseL19gebsrmvn_2xn_kernelILj128ELj13ELj4EfEEvi20rocsparse_direction_NS_24const_host_device_scalarIT2_EEPKiS6_PKS3_S8_S4_PS3_21rocsparse_index_base_b
	.p2align	8
	.type	_ZN9rocsparseL19gebsrmvn_2xn_kernelILj128ELj13ELj4EfEEvi20rocsparse_direction_NS_24const_host_device_scalarIT2_EEPKiS6_PKS3_S8_S4_PS3_21rocsparse_index_base_b,@function
_ZN9rocsparseL19gebsrmvn_2xn_kernelILj128ELj13ELj4EfEEvi20rocsparse_direction_NS_24const_host_device_scalarIT2_EEPKiS6_PKS3_S8_S4_PS3_21rocsparse_index_base_b: ; @_ZN9rocsparseL19gebsrmvn_2xn_kernelILj128ELj13ELj4EfEEvi20rocsparse_direction_NS_24const_host_device_scalarIT2_EEPKiS6_PKS3_S8_S4_PS3_21rocsparse_index_base_b
; %bb.0:
	s_clause 0x2
	s_load_dwordx2 s[18:19], s[4:5], 0x40
	s_load_dwordx2 s[16:17], s[4:5], 0x8
	;; [unrolled: 1-line block ×3, first 2 shown]
	s_waitcnt lgkmcnt(0)
	s_bitcmp1_b32 s19, 0
	s_cselect_b32 s0, -1, 0
	s_and_b32 vcc_lo, exec_lo, s0
	s_xor_b32 s0, s0, -1
	s_cbranch_vccnz .LBB55_2
; %bb.1:
	s_load_dword s16, s[16:17], 0x0
.LBB55_2:
	s_andn2_b32 vcc_lo, exec_lo, s0
	s_cbranch_vccnz .LBB55_4
; %bb.3:
	s_load_dword s2, s[2:3], 0x0
.LBB55_4:
	s_waitcnt lgkmcnt(0)
	v_cmp_eq_f32_e64 s0, s16, 0
	v_cmp_eq_f32_e64 s1, s2, 1.0
	s_and_b32 s0, s0, s1
	s_and_b32 vcc_lo, exec_lo, s0
	s_cbranch_vccnz .LBB55_23
; %bb.5:
	s_load_dwordx2 s[0:1], s[4:5], 0x0
	v_lshrrev_b32_e32 v1, 2, v0
	v_lshl_or_b32 v1, s6, 5, v1
	s_waitcnt lgkmcnt(0)
	v_cmp_gt_i32_e32 vcc_lo, s0, v1
	s_and_saveexec_b32 s0, vcc_lo
	s_cbranch_execz .LBB55_23
; %bb.6:
	s_load_dwordx8 s[8:15], s[4:5], 0x10
	v_ashrrev_i32_e32 v2, 31, v1
	v_and_b32_e32 v0, 3, v0
	s_cmp_lg_u32 s1, 0
	v_lshlrev_b64 v[2:3], 2, v[1:2]
	s_waitcnt lgkmcnt(0)
	v_add_co_u32 v2, vcc_lo, s8, v2
	v_add_co_ci_u32_e64 v3, null, s9, v3, vcc_lo
	global_load_dwordx2 v[2:3], v[2:3], off
	s_waitcnt vmcnt(0)
	v_subrev_nc_u32_e32 v2, s18, v2
	v_subrev_nc_u32_e32 v12, s18, v3
	v_add_nc_u32_e32 v2, v2, v0
	v_cmp_lt_i32_e64 s0, v2, v12
	s_cbranch_scc0 .LBB55_12
; %bb.7:
	v_mov_b32_e32 v10, 0
	v_mov_b32_e32 v11, 0
	s_and_saveexec_b32 s1, s0
	s_cbranch_execz .LBB55_11
; %bb.8:
	v_mad_u64_u32 v[3:4], null, v2, 26, 24
	v_mov_b32_e32 v6, 0
	v_mov_b32_e32 v7, v2
	;; [unrolled: 1-line block ×4, first 2 shown]
	s_mov_b32 s3, 0
.LBB55_9:                               ; =>This Inner Loop Header: Depth=1
	v_ashrrev_i32_e32 v8, 31, v7
	v_mov_b32_e32 v9, v6
	v_lshlrev_b64 v[4:5], 2, v[7:8]
	v_add_nc_u32_e32 v7, 4, v7
	v_add_co_u32 v4, vcc_lo, s10, v4
	v_add_co_ci_u32_e64 v5, null, s11, v5, vcc_lo
	global_load_dword v8, v[4:5], off
	v_subrev_nc_u32_e32 v5, 24, v3
	v_mov_b32_e32 v4, v6
	v_lshlrev_b64 v[13:14], 2, v[5:6]
	v_subrev_nc_u32_e32 v5, 22, v3
	v_lshlrev_b64 v[15:16], 2, v[3:4]
	v_lshlrev_b64 v[4:5], 2, v[5:6]
	v_add_co_u32 v13, vcc_lo, s12, v13
	v_add_co_ci_u32_e64 v14, null, s13, v14, vcc_lo
	v_add_co_u32 v15, vcc_lo, s12, v15
	v_add_co_ci_u32_e64 v16, null, s13, v16, vcc_lo
	;; [unrolled: 2-line block ×3, first 2 shown]
	s_clause 0x1
	global_load_dwordx2 v[13:14], v[13:14], off
	global_load_dwordx2 v[17:18], v[4:5], off
	s_waitcnt vmcnt(2)
	v_subrev_nc_u32_e32 v4, s18, v8
	v_mul_lo_u32 v8, v4, 13
	v_add_nc_u32_e32 v5, 1, v8
	v_lshlrev_b64 v[19:20], 2, v[8:9]
	v_lshlrev_b64 v[21:22], 2, v[5:6]
	v_subrev_nc_u32_e32 v5, 20, v3
	v_add_co_u32 v19, vcc_lo, s14, v19
	v_add_co_ci_u32_e64 v20, null, s15, v20, vcc_lo
	v_add_co_u32 v21, vcc_lo, s14, v21
	v_lshlrev_b64 v[23:24], 2, v[5:6]
	v_add_nc_u32_e32 v5, 2, v8
	v_add_co_ci_u32_e64 v22, null, s15, v22, vcc_lo
	s_clause 0x1
	global_load_dword v43, v[19:20], off
	global_load_dword v44, v[21:22], off
	v_lshlrev_b64 v[19:20], 2, v[5:6]
	v_subrev_nc_u32_e32 v5, 18, v3
	v_add_co_u32 v21, vcc_lo, s12, v23
	v_add_co_ci_u32_e64 v22, null, s13, v24, vcc_lo
	v_lshlrev_b64 v[23:24], 2, v[5:6]
	v_add_nc_u32_e32 v5, 3, v8
	v_add_co_u32 v19, vcc_lo, s14, v19
	v_add_co_ci_u32_e64 v20, null, s15, v20, vcc_lo
	v_lshlrev_b64 v[25:26], 2, v[5:6]
	v_add_nc_u32_e32 v5, -16, v3
	global_load_dwordx2 v[21:22], v[21:22], off
	global_load_dword v45, v[19:20], off
	v_add_co_u32 v19, vcc_lo, s12, v23
	v_add_co_ci_u32_e64 v20, null, s13, v24, vcc_lo
	v_lshlrev_b64 v[23:24], 2, v[5:6]
	v_add_nc_u32_e32 v5, 4, v8
	v_add_co_u32 v25, vcc_lo, s14, v25
	v_add_co_ci_u32_e64 v26, null, s15, v26, vcc_lo
	v_lshlrev_b64 v[27:28], 2, v[5:6]
	v_add_co_u32 v23, vcc_lo, s12, v23
	v_add_co_ci_u32_e64 v24, null, s13, v24, vcc_lo
	v_add_nc_u32_e32 v5, -14, v3
	v_add_co_u32 v27, vcc_lo, s14, v27
	v_add_co_ci_u32_e64 v28, null, s15, v28, vcc_lo
	global_load_dword v46, v[25:26], off
	s_clause 0x1
	global_load_dwordx2 v[23:24], v[23:24], off
	global_load_dwordx2 v[19:20], v[19:20], off
	global_load_dword v47, v[27:28], off
	v_lshlrev_b64 v[25:26], 2, v[5:6]
	v_add_nc_u32_e32 v5, 5, v8
	v_lshlrev_b64 v[29:30], 2, v[5:6]
	v_add_nc_u32_e32 v5, -12, v3
	v_add_co_u32 v25, vcc_lo, s12, v25
	v_add_co_ci_u32_e64 v26, null, s13, v26, vcc_lo
	v_lshlrev_b64 v[27:28], 2, v[5:6]
	v_add_nc_u32_e32 v5, 6, v8
	v_add_co_u32 v29, vcc_lo, s14, v29
	v_add_co_ci_u32_e64 v30, null, s15, v30, vcc_lo
	v_lshlrev_b64 v[31:32], 2, v[5:6]
	v_add_co_u32 v27, vcc_lo, s12, v27
	v_add_co_ci_u32_e64 v28, null, s13, v28, vcc_lo
	v_add_nc_u32_e32 v5, -10, v3
	v_add_co_u32 v31, vcc_lo, s14, v31
	v_add_co_ci_u32_e64 v32, null, s15, v32, vcc_lo
	global_load_dword v48, v[29:30], off
	s_clause 0x1
	global_load_dwordx2 v[25:26], v[25:26], off
	global_load_dwordx2 v[27:28], v[27:28], off
	global_load_dword v49, v[31:32], off
	v_lshlrev_b64 v[29:30], 2, v[5:6]
	v_add_nc_u32_e32 v5, 7, v8
	v_lshlrev_b64 v[33:34], 2, v[5:6]
	v_add_nc_u32_e32 v5, -8, v3
	v_add_co_u32 v29, vcc_lo, s12, v29
	v_add_co_ci_u32_e64 v30, null, s13, v30, vcc_lo
	v_lshlrev_b64 v[31:32], 2, v[5:6]
	v_add_nc_u32_e32 v5, 8, v8
	v_add_co_u32 v33, vcc_lo, s14, v33
	v_add_co_ci_u32_e64 v34, null, s15, v34, vcc_lo
	v_lshlrev_b64 v[35:36], 2, v[5:6]
	v_add_co_u32 v31, vcc_lo, s12, v31
	v_add_co_ci_u32_e64 v32, null, s13, v32, vcc_lo
	v_add_nc_u32_e32 v5, -6, v3
	v_add_co_u32 v35, vcc_lo, s14, v35
	v_add_co_ci_u32_e64 v36, null, s15, v36, vcc_lo
	global_load_dword v50, v[33:34], off
	s_clause 0x1
	global_load_dwordx2 v[29:30], v[29:30], off
	global_load_dwordx2 v[31:32], v[31:32], off
	global_load_dword v51, v[35:36], off
	v_lshlrev_b64 v[33:34], 2, v[5:6]
	v_add_nc_u32_e32 v5, 9, v8
	v_lshlrev_b64 v[37:38], 2, v[5:6]
	v_add_nc_u32_e32 v5, -4, v3
	v_add_co_u32 v33, vcc_lo, s12, v33
	v_add_co_ci_u32_e64 v34, null, s13, v34, vcc_lo
	v_lshlrev_b64 v[35:36], 2, v[5:6]
	v_add_nc_u32_e32 v5, 10, v8
	v_add_co_u32 v37, vcc_lo, s14, v37
	v_add_co_ci_u32_e64 v38, null, s15, v38, vcc_lo
	v_lshlrev_b64 v[39:40], 2, v[5:6]
	v_add_co_u32 v35, vcc_lo, s12, v35
	v_add_co_ci_u32_e64 v36, null, s13, v36, vcc_lo
	v_add_nc_u32_e32 v5, -2, v3
	v_add_co_u32 v39, vcc_lo, s14, v39
	v_add_co_ci_u32_e64 v40, null, s15, v40, vcc_lo
	global_load_dword v52, v[37:38], off
	s_clause 0x1
	global_load_dwordx2 v[33:34], v[33:34], off
	global_load_dwordx2 v[35:36], v[35:36], off
	global_load_dword v39, v[39:40], off
	v_lshlrev_b64 v[37:38], 2, v[5:6]
	v_add_nc_u32_e32 v5, 11, v8
	v_add_nc_u32_e32 v3, 0x68, v3
	v_lshlrev_b64 v[41:42], 2, v[5:6]
	v_add_nc_u32_e32 v5, 12, v8
	v_add_co_u32 v8, vcc_lo, s12, v37
	v_add_co_ci_u32_e64 v9, null, s13, v38, vcc_lo
	v_lshlrev_b64 v[4:5], 2, v[5:6]
	v_add_co_u32 v37, vcc_lo, s14, v41
	v_add_co_ci_u32_e64 v38, null, s15, v42, vcc_lo
	global_load_dwordx2 v[8:9], v[8:9], off
	global_load_dword v37, v[37:38], off
	v_add_co_u32 v4, vcc_lo, s14, v4
	v_add_co_ci_u32_e64 v5, null, s15, v5, vcc_lo
	global_load_dwordx2 v[15:16], v[15:16], off
	global_load_dword v4, v[4:5], off
	v_cmp_ge_i32_e32 vcc_lo, v7, v12
	s_or_b32 s3, vcc_lo, s3
	s_waitcnt vmcnt(23)
	v_fmac_f32_e32 v10, v13, v43
	v_fmac_f32_e32 v11, v14, v43
	s_waitcnt vmcnt(22)
	v_fmac_f32_e32 v10, v17, v44
	v_fmac_f32_e32 v11, v18, v44
	;; [unrolled: 3-line block ×13, first 2 shown]
	s_andn2_b32 exec_lo, exec_lo, s3
	s_cbranch_execnz .LBB55_9
; %bb.10:
	s_or_b32 exec_lo, exec_lo, s3
.LBB55_11:
	s_or_b32 exec_lo, exec_lo, s1
	s_cbranch_execz .LBB55_13
	s_branch .LBB55_18
.LBB55_12:
                                        ; implicit-def: $vgpr10
                                        ; implicit-def: $vgpr11
.LBB55_13:
	v_mov_b32_e32 v10, 0
	v_mov_b32_e32 v11, 0
	s_and_saveexec_b32 s1, s0
	s_cbranch_execz .LBB55_17
; %bb.14:
	v_mad_u64_u32 v[4:5], null, v2, 26, 25
	v_mov_b32_e32 v7, 0
	v_mov_b32_e32 v10, 0
	;; [unrolled: 1-line block ×3, first 2 shown]
	s_mov_b32 s0, 0
.LBB55_15:                              ; =>This Inner Loop Header: Depth=1
	v_ashrrev_i32_e32 v3, 31, v2
	v_add_nc_u32_e32 v13, -12, v4
	v_mov_b32_e32 v14, v7
	v_mov_b32_e32 v9, v7
	v_lshlrev_b64 v[5:6], 2, v[2:3]
	v_add_nc_u32_e32 v2, 4, v2
	v_lshlrev_b64 v[13:14], 2, v[13:14]
	v_add_co_u32 v5, vcc_lo, s10, v5
	v_add_co_ci_u32_e64 v6, null, s11, v6, vcc_lo
	global_load_dword v3, v[5:6], off
	v_subrev_nc_u32_e32 v6, 25, v4
	v_mov_b32_e32 v5, v7
	v_lshlrev_b64 v[15:16], 2, v[6:7]
	v_lshlrev_b64 v[5:6], 2, v[4:5]
	v_add_co_u32 v15, vcc_lo, s12, v15
	v_add_co_ci_u32_e64 v16, null, s13, v16, vcc_lo
	v_add_co_u32 v13, vcc_lo, s12, v13
	v_add_co_ci_u32_e64 v14, null, s13, v14, vcc_lo
	v_add_co_u32 v17, vcc_lo, s12, v5
	v_add_co_ci_u32_e64 v18, null, s13, v6, vcc_lo
	s_clause 0x1
	global_load_dwordx2 v[15:16], v[15:16], off
	global_load_dword v23, v[13:14], off
	s_waitcnt vmcnt(2)
	v_subrev_nc_u32_e32 v3, s18, v3
	v_mul_lo_u32 v8, v3, 13
	v_add_nc_u32_e32 v6, 1, v8
	v_lshlrev_b64 v[13:14], 2, v[8:9]
	v_lshlrev_b64 v[19:20], 2, v[6:7]
	v_add_nc_u32_e32 v6, -11, v4
	v_add_co_u32 v13, vcc_lo, s14, v13
	v_add_co_ci_u32_e64 v14, null, s15, v14, vcc_lo
	v_lshlrev_b64 v[21:22], 2, v[6:7]
	v_subrev_nc_u32_e32 v6, 23, v4
	global_load_dword v3, v[13:14], off
	v_add_co_u32 v13, vcc_lo, s14, v19
	v_add_co_ci_u32_e64 v14, null, s15, v20, vcc_lo
	v_lshlrev_b64 v[19:20], 2, v[6:7]
	v_add_nc_u32_e32 v6, 2, v8
	v_add_co_u32 v21, vcc_lo, s12, v21
	v_add_co_ci_u32_e64 v22, null, s13, v22, vcc_lo
	global_load_dword v24, v[13:14], off
	v_lshlrev_b64 v[13:14], 2, v[6:7]
	v_add_co_u32 v19, vcc_lo, s12, v19
	v_add_nc_u32_e32 v6, -10, v4
	v_add_co_ci_u32_e64 v20, null, s13, v20, vcc_lo
	v_add_co_u32 v13, vcc_lo, s14, v13
	s_clause 0x1
	global_load_dword v25, v[21:22], off
	global_load_dword v26, v[19:20], off
	v_lshlrev_b64 v[21:22], 2, v[6:7]
	v_add_co_ci_u32_e64 v14, null, s15, v14, vcc_lo
	v_subrev_nc_u32_e32 v6, 22, v4
	global_load_dword v27, v[13:14], off
	v_add_co_u32 v13, vcc_lo, s12, v21
	v_add_co_ci_u32_e64 v14, null, s13, v22, vcc_lo
	global_load_dword v28, v[13:14], off
	v_lshlrev_b64 v[19:20], 2, v[6:7]
	v_add_nc_u32_e32 v6, 3, v8
	v_lshlrev_b64 v[21:22], 2, v[6:7]
	v_add_nc_u32_e32 v6, -9, v4
	v_add_co_u32 v19, vcc_lo, s12, v19
	v_add_co_ci_u32_e64 v20, null, s13, v20, vcc_lo
	v_lshlrev_b64 v[13:14], 2, v[6:7]
	v_subrev_nc_u32_e32 v6, 21, v4
	global_load_dword v29, v[19:20], off
	v_add_co_u32 v19, vcc_lo, s14, v21
	v_add_co_ci_u32_e64 v20, null, s15, v22, vcc_lo
	v_lshlrev_b64 v[21:22], 2, v[6:7]
	v_add_nc_u32_e32 v6, 4, v8
	v_add_co_u32 v13, vcc_lo, s12, v13
	v_add_co_ci_u32_e64 v14, null, s13, v14, vcc_lo
	global_load_dword v30, v[19:20], off
	v_lshlrev_b64 v[19:20], 2, v[6:7]
	v_add_nc_u32_e32 v6, -8, v4
	global_load_dword v31, v[13:14], off
	v_add_co_u32 v13, vcc_lo, s12, v21
	v_add_co_ci_u32_e64 v14, null, s13, v22, vcc_lo
	v_lshlrev_b64 v[21:22], 2, v[6:7]
	v_subrev_nc_u32_e32 v6, 20, v4
	v_add_co_u32 v19, vcc_lo, s14, v19
	v_add_co_ci_u32_e64 v20, null, s15, v20, vcc_lo
	global_load_dword v32, v[13:14], off
	v_lshlrev_b64 v[13:14], 2, v[6:7]
	v_add_nc_u32_e32 v6, 5, v8
	global_load_dword v33, v[19:20], off
	v_add_co_u32 v19, vcc_lo, s12, v21
	v_add_co_ci_u32_e64 v20, null, s13, v22, vcc_lo
	v_add_co_u32 v13, vcc_lo, s12, v13
	v_lshlrev_b64 v[21:22], 2, v[6:7]
	v_add_nc_u32_e32 v6, -7, v4
	v_add_co_ci_u32_e64 v14, null, s13, v14, vcc_lo
	s_clause 0x1
	global_load_dword v34, v[19:20], off
	global_load_dword v35, v[13:14], off
	v_lshlrev_b64 v[19:20], 2, v[6:7]
	v_subrev_nc_u32_e32 v6, 19, v4
	v_add_co_u32 v13, vcc_lo, s14, v21
	v_add_co_ci_u32_e64 v14, null, s15, v22, vcc_lo
	v_lshlrev_b64 v[21:22], 2, v[6:7]
	v_add_nc_u32_e32 v6, 6, v8
	v_add_co_u32 v19, vcc_lo, s12, v19
	v_add_co_ci_u32_e64 v20, null, s13, v20, vcc_lo
	global_load_dword v36, v[13:14], off
	v_lshlrev_b64 v[13:14], 2, v[6:7]
	v_add_nc_u32_e32 v6, -6, v4
	global_load_dword v37, v[19:20], off
	v_add_co_u32 v19, vcc_lo, s12, v21
	v_add_co_ci_u32_e64 v20, null, s13, v22, vcc_lo
	v_add_co_u32 v13, vcc_lo, s14, v13
	v_lshlrev_b64 v[21:22], 2, v[6:7]
	v_add_co_ci_u32_e64 v14, null, s15, v14, vcc_lo
	v_subrev_nc_u32_e32 v6, 18, v4
	global_load_dword v38, v[19:20], off
	global_load_dword v39, v[13:14], off
	v_add_co_u32 v13, vcc_lo, s12, v21
	v_add_co_ci_u32_e64 v14, null, s13, v22, vcc_lo
	global_load_dword v40, v[13:14], off
	v_lshlrev_b64 v[19:20], 2, v[6:7]
	v_add_nc_u32_e32 v6, 7, v8
	v_lshlrev_b64 v[21:22], 2, v[6:7]
	v_add_nc_u32_e32 v6, -5, v4
	v_add_co_u32 v19, vcc_lo, s12, v19
	v_add_co_ci_u32_e64 v20, null, s13, v20, vcc_lo
	v_lshlrev_b64 v[13:14], 2, v[6:7]
	v_subrev_nc_u32_e32 v6, 17, v4
	global_load_dword v41, v[19:20], off
	v_add_co_u32 v19, vcc_lo, s14, v21
	v_add_co_ci_u32_e64 v20, null, s15, v22, vcc_lo
	v_lshlrev_b64 v[21:22], 2, v[6:7]
	v_add_nc_u32_e32 v6, 8, v8
	v_add_co_u32 v13, vcc_lo, s12, v13
	v_add_co_ci_u32_e64 v14, null, s13, v14, vcc_lo
	global_load_dword v42, v[19:20], off
	v_lshlrev_b64 v[19:20], 2, v[6:7]
	v_add_nc_u32_e32 v6, -4, v4
	global_load_dword v43, v[13:14], off
	v_add_co_u32 v13, vcc_lo, s12, v21
	v_add_co_ci_u32_e64 v14, null, s13, v22, vcc_lo
	v_lshlrev_b64 v[21:22], 2, v[6:7]
	v_add_nc_u32_e32 v6, -16, v4
	v_add_co_u32 v19, vcc_lo, s14, v19
	v_add_co_ci_u32_e64 v20, null, s15, v20, vcc_lo
	global_load_dword v44, v[13:14], off
	v_lshlrev_b64 v[13:14], 2, v[6:7]
	v_add_nc_u32_e32 v6, 9, v8
	global_load_dword v45, v[19:20], off
	v_add_co_u32 v19, vcc_lo, s12, v21
	v_add_co_ci_u32_e64 v20, null, s13, v22, vcc_lo
	v_add_co_u32 v13, vcc_lo, s12, v13
	v_lshlrev_b64 v[21:22], 2, v[6:7]
	v_add_nc_u32_e32 v6, -3, v4
	v_add_co_ci_u32_e64 v14, null, s13, v14, vcc_lo
	s_clause 0x1
	global_load_dword v46, v[19:20], off
	global_load_dword v47, v[13:14], off
	v_lshlrev_b64 v[19:20], 2, v[6:7]
	v_add_nc_u32_e32 v6, -15, v4
	v_add_co_u32 v13, vcc_lo, s14, v21
	v_add_co_ci_u32_e64 v14, null, s15, v22, vcc_lo
	v_lshlrev_b64 v[21:22], 2, v[6:7]
	v_add_nc_u32_e32 v6, 10, v8
	v_add_co_u32 v19, vcc_lo, s12, v19
	v_add_co_ci_u32_e64 v20, null, s13, v20, vcc_lo
	global_load_dword v48, v[13:14], off
	v_lshlrev_b64 v[13:14], 2, v[6:7]
	v_add_nc_u32_e32 v6, -2, v4
	global_load_dword v49, v[19:20], off
	v_add_co_u32 v19, vcc_lo, s12, v21
	v_add_co_ci_u32_e64 v20, null, s13, v22, vcc_lo
	v_add_co_u32 v13, vcc_lo, s14, v13
	v_lshlrev_b64 v[21:22], 2, v[6:7]
	v_add_co_ci_u32_e64 v14, null, s15, v14, vcc_lo
	v_add_nc_u32_e32 v6, -14, v4
	global_load_dword v50, v[19:20], off
	global_load_dword v51, v[13:14], off
	v_add_co_u32 v13, vcc_lo, s12, v21
	v_add_co_ci_u32_e64 v14, null, s13, v22, vcc_lo
	global_load_dword v52, v[13:14], off
	v_lshlrev_b64 v[19:20], 2, v[6:7]
	v_add_nc_u32_e32 v6, 11, v8
	v_lshlrev_b64 v[21:22], 2, v[6:7]
	v_add_nc_u32_e32 v6, -1, v4
	v_add_co_u32 v19, vcc_lo, s12, v19
	v_add_co_ci_u32_e64 v20, null, s13, v20, vcc_lo
	v_lshlrev_b64 v[13:14], 2, v[6:7]
	v_add_nc_u32_e32 v6, -13, v4
	v_add_nc_u32_e32 v4, 0x68, v4
	global_load_dword v53, v[19:20], off
	v_add_co_u32 v19, vcc_lo, s14, v21
	v_add_co_ci_u32_e64 v20, null, s15, v22, vcc_lo
	v_lshlrev_b64 v[21:22], 2, v[6:7]
	v_add_nc_u32_e32 v6, 12, v8
	v_add_co_u32 v8, vcc_lo, s12, v13
	v_add_co_ci_u32_e64 v9, null, s13, v14, vcc_lo
	v_lshlrev_b64 v[5:6], 2, v[6:7]
	global_load_dword v13, v[19:20], off
	global_load_dword v14, v[8:9], off
	v_add_co_u32 v8, vcc_lo, s12, v21
	v_add_co_ci_u32_e64 v9, null, s13, v22, vcc_lo
	v_add_co_u32 v5, vcc_lo, s14, v5
	v_add_co_ci_u32_e64 v6, null, s15, v6, vcc_lo
	s_clause 0x1
	global_load_dword v17, v[17:18], off
	global_load_dword v8, v[8:9], off
	;; [unrolled: 1-line block ×3, first 2 shown]
	v_cmp_ge_i32_e32 vcc_lo, v2, v12
	s_or_b32 s0, vcc_lo, s0
	s_waitcnt vmcnt(35)
	v_fmac_f32_e32 v10, v15, v3
	v_fmac_f32_e32 v11, v23, v3
	s_waitcnt vmcnt(34)
	v_fmac_f32_e32 v10, v16, v24
	s_waitcnt vmcnt(33)
	;; [unrolled: 2-line block ×23, first 2 shown]
	v_fmac_f32_e32 v10, v8, v5
	v_fmac_f32_e32 v11, v17, v5
	s_andn2_b32 exec_lo, exec_lo, s0
	s_cbranch_execnz .LBB55_15
; %bb.16:
	s_or_b32 exec_lo, exec_lo, s0
.LBB55_17:
	s_or_b32 exec_lo, exec_lo, s1
.LBB55_18:
	v_mbcnt_lo_u32_b32 v2, -1, 0
	s_mov_b32 s3, -1
	v_xor_b32_e32 v3, 2, v2
	v_xor_b32_e32 v5, 1, v2
	v_cmp_gt_i32_e32 vcc_lo, 32, v3
	v_cndmask_b32_e32 v3, v2, v3, vcc_lo
	v_cmp_gt_i32_e32 vcc_lo, 32, v5
	v_lshlrev_b32_e32 v3, 2, v3
	v_cndmask_b32_e32 v2, v2, v5, vcc_lo
	v_cmp_eq_u32_e32 vcc_lo, 3, v0
	ds_bpermute_b32 v4, v3, v10
	ds_bpermute_b32 v3, v3, v11
	v_lshlrev_b32_e32 v5, 2, v2
	s_waitcnt lgkmcnt(1)
	v_add_f32_e32 v2, v10, v4
	s_waitcnt lgkmcnt(0)
	v_add_f32_e32 v3, v11, v3
	ds_bpermute_b32 v4, v5, v2
	ds_bpermute_b32 v5, v5, v3
	s_and_b32 exec_lo, exec_lo, vcc_lo
	s_cbranch_execz .LBB55_23
; %bb.19:
	s_load_dwordx2 s[0:1], s[4:5], 0x38
	s_waitcnt lgkmcnt(0)
	v_add_f32_e32 v0, v2, v4
	v_add_f32_e32 v3, v3, v5
	v_cmp_eq_f32_e64 s4, s2, 0
	v_mul_f32_e32 v2, s16, v0
	v_mul_f32_e32 v3, s16, v3
	v_lshlrev_b32_e32 v0, 1, v1
	s_and_b32 vcc_lo, exec_lo, s4
	s_cbranch_vccz .LBB55_21
; %bb.20:
	v_ashrrev_i32_e32 v1, 31, v0
	s_mov_b32 s3, 0
	v_lshlrev_b64 v[4:5], 2, v[0:1]
	v_add_co_u32 v4, vcc_lo, s0, v4
	v_add_co_ci_u32_e64 v5, null, s1, v5, vcc_lo
	global_store_dwordx2 v[4:5], v[2:3], off
.LBB55_21:
	s_andn2_b32 vcc_lo, exec_lo, s3
	s_cbranch_vccnz .LBB55_23
; %bb.22:
	v_ashrrev_i32_e32 v1, 31, v0
	v_lshlrev_b64 v[0:1], 2, v[0:1]
	v_add_co_u32 v0, vcc_lo, s0, v0
	v_add_co_ci_u32_e64 v1, null, s1, v1, vcc_lo
	global_load_dwordx2 v[4:5], v[0:1], off
	s_waitcnt vmcnt(0)
	v_fmac_f32_e32 v2, s2, v4
	v_fmac_f32_e32 v3, s2, v5
	global_store_dwordx2 v[0:1], v[2:3], off
.LBB55_23:
	s_endpgm
	.section	.rodata,"a",@progbits
	.p2align	6, 0x0
	.amdhsa_kernel _ZN9rocsparseL19gebsrmvn_2xn_kernelILj128ELj13ELj4EfEEvi20rocsparse_direction_NS_24const_host_device_scalarIT2_EEPKiS6_PKS3_S8_S4_PS3_21rocsparse_index_base_b
		.amdhsa_group_segment_fixed_size 0
		.amdhsa_private_segment_fixed_size 0
		.amdhsa_kernarg_size 72
		.amdhsa_user_sgpr_count 6
		.amdhsa_user_sgpr_private_segment_buffer 1
		.amdhsa_user_sgpr_dispatch_ptr 0
		.amdhsa_user_sgpr_queue_ptr 0
		.amdhsa_user_sgpr_kernarg_segment_ptr 1
		.amdhsa_user_sgpr_dispatch_id 0
		.amdhsa_user_sgpr_flat_scratch_init 0
		.amdhsa_user_sgpr_private_segment_size 0
		.amdhsa_wavefront_size32 1
		.amdhsa_uses_dynamic_stack 0
		.amdhsa_system_sgpr_private_segment_wavefront_offset 0
		.amdhsa_system_sgpr_workgroup_id_x 1
		.amdhsa_system_sgpr_workgroup_id_y 0
		.amdhsa_system_sgpr_workgroup_id_z 0
		.amdhsa_system_sgpr_workgroup_info 0
		.amdhsa_system_vgpr_workitem_id 0
		.amdhsa_next_free_vgpr 54
		.amdhsa_next_free_sgpr 20
		.amdhsa_reserve_vcc 1
		.amdhsa_reserve_flat_scratch 0
		.amdhsa_float_round_mode_32 0
		.amdhsa_float_round_mode_16_64 0
		.amdhsa_float_denorm_mode_32 3
		.amdhsa_float_denorm_mode_16_64 3
		.amdhsa_dx10_clamp 1
		.amdhsa_ieee_mode 1
		.amdhsa_fp16_overflow 0
		.amdhsa_workgroup_processor_mode 1
		.amdhsa_memory_ordered 1
		.amdhsa_forward_progress 1
		.amdhsa_shared_vgpr_count 0
		.amdhsa_exception_fp_ieee_invalid_op 0
		.amdhsa_exception_fp_denorm_src 0
		.amdhsa_exception_fp_ieee_div_zero 0
		.amdhsa_exception_fp_ieee_overflow 0
		.amdhsa_exception_fp_ieee_underflow 0
		.amdhsa_exception_fp_ieee_inexact 0
		.amdhsa_exception_int_div_zero 0
	.end_amdhsa_kernel
	.section	.text._ZN9rocsparseL19gebsrmvn_2xn_kernelILj128ELj13ELj4EfEEvi20rocsparse_direction_NS_24const_host_device_scalarIT2_EEPKiS6_PKS3_S8_S4_PS3_21rocsparse_index_base_b,"axG",@progbits,_ZN9rocsparseL19gebsrmvn_2xn_kernelILj128ELj13ELj4EfEEvi20rocsparse_direction_NS_24const_host_device_scalarIT2_EEPKiS6_PKS3_S8_S4_PS3_21rocsparse_index_base_b,comdat
.Lfunc_end55:
	.size	_ZN9rocsparseL19gebsrmvn_2xn_kernelILj128ELj13ELj4EfEEvi20rocsparse_direction_NS_24const_host_device_scalarIT2_EEPKiS6_PKS3_S8_S4_PS3_21rocsparse_index_base_b, .Lfunc_end55-_ZN9rocsparseL19gebsrmvn_2xn_kernelILj128ELj13ELj4EfEEvi20rocsparse_direction_NS_24const_host_device_scalarIT2_EEPKiS6_PKS3_S8_S4_PS3_21rocsparse_index_base_b
                                        ; -- End function
	.set _ZN9rocsparseL19gebsrmvn_2xn_kernelILj128ELj13ELj4EfEEvi20rocsparse_direction_NS_24const_host_device_scalarIT2_EEPKiS6_PKS3_S8_S4_PS3_21rocsparse_index_base_b.num_vgpr, 54
	.set _ZN9rocsparseL19gebsrmvn_2xn_kernelILj128ELj13ELj4EfEEvi20rocsparse_direction_NS_24const_host_device_scalarIT2_EEPKiS6_PKS3_S8_S4_PS3_21rocsparse_index_base_b.num_agpr, 0
	.set _ZN9rocsparseL19gebsrmvn_2xn_kernelILj128ELj13ELj4EfEEvi20rocsparse_direction_NS_24const_host_device_scalarIT2_EEPKiS6_PKS3_S8_S4_PS3_21rocsparse_index_base_b.numbered_sgpr, 20
	.set _ZN9rocsparseL19gebsrmvn_2xn_kernelILj128ELj13ELj4EfEEvi20rocsparse_direction_NS_24const_host_device_scalarIT2_EEPKiS6_PKS3_S8_S4_PS3_21rocsparse_index_base_b.num_named_barrier, 0
	.set _ZN9rocsparseL19gebsrmvn_2xn_kernelILj128ELj13ELj4EfEEvi20rocsparse_direction_NS_24const_host_device_scalarIT2_EEPKiS6_PKS3_S8_S4_PS3_21rocsparse_index_base_b.private_seg_size, 0
	.set _ZN9rocsparseL19gebsrmvn_2xn_kernelILj128ELj13ELj4EfEEvi20rocsparse_direction_NS_24const_host_device_scalarIT2_EEPKiS6_PKS3_S8_S4_PS3_21rocsparse_index_base_b.uses_vcc, 1
	.set _ZN9rocsparseL19gebsrmvn_2xn_kernelILj128ELj13ELj4EfEEvi20rocsparse_direction_NS_24const_host_device_scalarIT2_EEPKiS6_PKS3_S8_S4_PS3_21rocsparse_index_base_b.uses_flat_scratch, 0
	.set _ZN9rocsparseL19gebsrmvn_2xn_kernelILj128ELj13ELj4EfEEvi20rocsparse_direction_NS_24const_host_device_scalarIT2_EEPKiS6_PKS3_S8_S4_PS3_21rocsparse_index_base_b.has_dyn_sized_stack, 0
	.set _ZN9rocsparseL19gebsrmvn_2xn_kernelILj128ELj13ELj4EfEEvi20rocsparse_direction_NS_24const_host_device_scalarIT2_EEPKiS6_PKS3_S8_S4_PS3_21rocsparse_index_base_b.has_recursion, 0
	.set _ZN9rocsparseL19gebsrmvn_2xn_kernelILj128ELj13ELj4EfEEvi20rocsparse_direction_NS_24const_host_device_scalarIT2_EEPKiS6_PKS3_S8_S4_PS3_21rocsparse_index_base_b.has_indirect_call, 0
	.section	.AMDGPU.csdata,"",@progbits
; Kernel info:
; codeLenInByte = 3464
; TotalNumSgprs: 22
; NumVgprs: 54
; ScratchSize: 0
; MemoryBound: 0
; FloatMode: 240
; IeeeMode: 1
; LDSByteSize: 0 bytes/workgroup (compile time only)
; SGPRBlocks: 0
; VGPRBlocks: 6
; NumSGPRsForWavesPerEU: 22
; NumVGPRsForWavesPerEU: 54
; Occupancy: 16
; WaveLimiterHint : 1
; COMPUTE_PGM_RSRC2:SCRATCH_EN: 0
; COMPUTE_PGM_RSRC2:USER_SGPR: 6
; COMPUTE_PGM_RSRC2:TRAP_HANDLER: 0
; COMPUTE_PGM_RSRC2:TGID_X_EN: 1
; COMPUTE_PGM_RSRC2:TGID_Y_EN: 0
; COMPUTE_PGM_RSRC2:TGID_Z_EN: 0
; COMPUTE_PGM_RSRC2:TIDIG_COMP_CNT: 0
	.section	.text._ZN9rocsparseL19gebsrmvn_2xn_kernelILj128ELj13ELj8EfEEvi20rocsparse_direction_NS_24const_host_device_scalarIT2_EEPKiS6_PKS3_S8_S4_PS3_21rocsparse_index_base_b,"axG",@progbits,_ZN9rocsparseL19gebsrmvn_2xn_kernelILj128ELj13ELj8EfEEvi20rocsparse_direction_NS_24const_host_device_scalarIT2_EEPKiS6_PKS3_S8_S4_PS3_21rocsparse_index_base_b,comdat
	.globl	_ZN9rocsparseL19gebsrmvn_2xn_kernelILj128ELj13ELj8EfEEvi20rocsparse_direction_NS_24const_host_device_scalarIT2_EEPKiS6_PKS3_S8_S4_PS3_21rocsparse_index_base_b ; -- Begin function _ZN9rocsparseL19gebsrmvn_2xn_kernelILj128ELj13ELj8EfEEvi20rocsparse_direction_NS_24const_host_device_scalarIT2_EEPKiS6_PKS3_S8_S4_PS3_21rocsparse_index_base_b
	.p2align	8
	.type	_ZN9rocsparseL19gebsrmvn_2xn_kernelILj128ELj13ELj8EfEEvi20rocsparse_direction_NS_24const_host_device_scalarIT2_EEPKiS6_PKS3_S8_S4_PS3_21rocsparse_index_base_b,@function
_ZN9rocsparseL19gebsrmvn_2xn_kernelILj128ELj13ELj8EfEEvi20rocsparse_direction_NS_24const_host_device_scalarIT2_EEPKiS6_PKS3_S8_S4_PS3_21rocsparse_index_base_b: ; @_ZN9rocsparseL19gebsrmvn_2xn_kernelILj128ELj13ELj8EfEEvi20rocsparse_direction_NS_24const_host_device_scalarIT2_EEPKiS6_PKS3_S8_S4_PS3_21rocsparse_index_base_b
; %bb.0:
	s_clause 0x2
	s_load_dwordx2 s[18:19], s[4:5], 0x40
	s_load_dwordx2 s[16:17], s[4:5], 0x8
	;; [unrolled: 1-line block ×3, first 2 shown]
	s_waitcnt lgkmcnt(0)
	s_bitcmp1_b32 s19, 0
	s_cselect_b32 s0, -1, 0
	s_and_b32 vcc_lo, exec_lo, s0
	s_xor_b32 s0, s0, -1
	s_cbranch_vccnz .LBB56_2
; %bb.1:
	s_load_dword s16, s[16:17], 0x0
.LBB56_2:
	s_andn2_b32 vcc_lo, exec_lo, s0
	s_cbranch_vccnz .LBB56_4
; %bb.3:
	s_load_dword s2, s[2:3], 0x0
.LBB56_4:
	s_waitcnt lgkmcnt(0)
	v_cmp_eq_f32_e64 s0, s16, 0
	v_cmp_eq_f32_e64 s1, s2, 1.0
	s_and_b32 s0, s0, s1
	s_and_b32 vcc_lo, exec_lo, s0
	s_cbranch_vccnz .LBB56_23
; %bb.5:
	s_load_dwordx2 s[0:1], s[4:5], 0x0
	v_lshrrev_b32_e32 v1, 3, v0
	v_lshl_or_b32 v1, s6, 4, v1
	s_waitcnt lgkmcnt(0)
	v_cmp_gt_i32_e32 vcc_lo, s0, v1
	s_and_saveexec_b32 s0, vcc_lo
	s_cbranch_execz .LBB56_23
; %bb.6:
	s_load_dwordx8 s[8:15], s[4:5], 0x10
	v_ashrrev_i32_e32 v2, 31, v1
	v_and_b32_e32 v0, 7, v0
	s_cmp_lg_u32 s1, 0
	v_lshlrev_b64 v[2:3], 2, v[1:2]
	s_waitcnt lgkmcnt(0)
	v_add_co_u32 v2, vcc_lo, s8, v2
	v_add_co_ci_u32_e64 v3, null, s9, v3, vcc_lo
	global_load_dwordx2 v[2:3], v[2:3], off
	s_waitcnt vmcnt(0)
	v_subrev_nc_u32_e32 v2, s18, v2
	v_subrev_nc_u32_e32 v12, s18, v3
	v_add_nc_u32_e32 v2, v2, v0
	v_cmp_lt_i32_e64 s0, v2, v12
	s_cbranch_scc0 .LBB56_12
; %bb.7:
	v_mov_b32_e32 v10, 0
	v_mov_b32_e32 v11, 0
	s_and_saveexec_b32 s1, s0
	s_cbranch_execz .LBB56_11
; %bb.8:
	v_mad_u64_u32 v[3:4], null, v2, 26, 24
	v_mov_b32_e32 v6, 0
	v_mov_b32_e32 v7, v2
	;; [unrolled: 1-line block ×4, first 2 shown]
	s_mov_b32 s3, 0
.LBB56_9:                               ; =>This Inner Loop Header: Depth=1
	v_ashrrev_i32_e32 v8, 31, v7
	v_mov_b32_e32 v9, v6
	v_lshlrev_b64 v[4:5], 2, v[7:8]
	v_add_nc_u32_e32 v7, 8, v7
	v_add_co_u32 v4, vcc_lo, s10, v4
	v_add_co_ci_u32_e64 v5, null, s11, v5, vcc_lo
	global_load_dword v8, v[4:5], off
	v_subrev_nc_u32_e32 v5, 24, v3
	v_mov_b32_e32 v4, v6
	v_lshlrev_b64 v[13:14], 2, v[5:6]
	v_subrev_nc_u32_e32 v5, 22, v3
	v_lshlrev_b64 v[15:16], 2, v[3:4]
	v_lshlrev_b64 v[4:5], 2, v[5:6]
	v_add_co_u32 v13, vcc_lo, s12, v13
	v_add_co_ci_u32_e64 v14, null, s13, v14, vcc_lo
	v_add_co_u32 v15, vcc_lo, s12, v15
	v_add_co_ci_u32_e64 v16, null, s13, v16, vcc_lo
	;; [unrolled: 2-line block ×3, first 2 shown]
	s_clause 0x1
	global_load_dwordx2 v[13:14], v[13:14], off
	global_load_dwordx2 v[17:18], v[4:5], off
	s_waitcnt vmcnt(2)
	v_subrev_nc_u32_e32 v4, s18, v8
	v_mul_lo_u32 v8, v4, 13
	v_add_nc_u32_e32 v5, 1, v8
	v_lshlrev_b64 v[19:20], 2, v[8:9]
	v_lshlrev_b64 v[21:22], 2, v[5:6]
	v_subrev_nc_u32_e32 v5, 20, v3
	v_add_co_u32 v19, vcc_lo, s14, v19
	v_add_co_ci_u32_e64 v20, null, s15, v20, vcc_lo
	v_add_co_u32 v21, vcc_lo, s14, v21
	v_lshlrev_b64 v[23:24], 2, v[5:6]
	v_add_nc_u32_e32 v5, 2, v8
	v_add_co_ci_u32_e64 v22, null, s15, v22, vcc_lo
	s_clause 0x1
	global_load_dword v43, v[19:20], off
	global_load_dword v44, v[21:22], off
	v_lshlrev_b64 v[19:20], 2, v[5:6]
	v_subrev_nc_u32_e32 v5, 18, v3
	v_add_co_u32 v21, vcc_lo, s12, v23
	v_add_co_ci_u32_e64 v22, null, s13, v24, vcc_lo
	v_lshlrev_b64 v[23:24], 2, v[5:6]
	v_add_nc_u32_e32 v5, 3, v8
	v_add_co_u32 v19, vcc_lo, s14, v19
	v_add_co_ci_u32_e64 v20, null, s15, v20, vcc_lo
	v_lshlrev_b64 v[25:26], 2, v[5:6]
	v_add_nc_u32_e32 v5, -16, v3
	global_load_dwordx2 v[21:22], v[21:22], off
	global_load_dword v45, v[19:20], off
	v_add_co_u32 v19, vcc_lo, s12, v23
	v_add_co_ci_u32_e64 v20, null, s13, v24, vcc_lo
	v_lshlrev_b64 v[23:24], 2, v[5:6]
	v_add_nc_u32_e32 v5, 4, v8
	v_add_co_u32 v25, vcc_lo, s14, v25
	v_add_co_ci_u32_e64 v26, null, s15, v26, vcc_lo
	v_lshlrev_b64 v[27:28], 2, v[5:6]
	v_add_co_u32 v23, vcc_lo, s12, v23
	v_add_co_ci_u32_e64 v24, null, s13, v24, vcc_lo
	v_add_nc_u32_e32 v5, -14, v3
	v_add_co_u32 v27, vcc_lo, s14, v27
	v_add_co_ci_u32_e64 v28, null, s15, v28, vcc_lo
	global_load_dword v46, v[25:26], off
	s_clause 0x1
	global_load_dwordx2 v[23:24], v[23:24], off
	global_load_dwordx2 v[19:20], v[19:20], off
	global_load_dword v47, v[27:28], off
	v_lshlrev_b64 v[25:26], 2, v[5:6]
	v_add_nc_u32_e32 v5, 5, v8
	v_lshlrev_b64 v[29:30], 2, v[5:6]
	v_add_nc_u32_e32 v5, -12, v3
	v_add_co_u32 v25, vcc_lo, s12, v25
	v_add_co_ci_u32_e64 v26, null, s13, v26, vcc_lo
	v_lshlrev_b64 v[27:28], 2, v[5:6]
	v_add_nc_u32_e32 v5, 6, v8
	v_add_co_u32 v29, vcc_lo, s14, v29
	v_add_co_ci_u32_e64 v30, null, s15, v30, vcc_lo
	v_lshlrev_b64 v[31:32], 2, v[5:6]
	v_add_co_u32 v27, vcc_lo, s12, v27
	v_add_co_ci_u32_e64 v28, null, s13, v28, vcc_lo
	v_add_nc_u32_e32 v5, -10, v3
	v_add_co_u32 v31, vcc_lo, s14, v31
	v_add_co_ci_u32_e64 v32, null, s15, v32, vcc_lo
	global_load_dword v48, v[29:30], off
	s_clause 0x1
	global_load_dwordx2 v[25:26], v[25:26], off
	global_load_dwordx2 v[27:28], v[27:28], off
	global_load_dword v49, v[31:32], off
	v_lshlrev_b64 v[29:30], 2, v[5:6]
	v_add_nc_u32_e32 v5, 7, v8
	v_lshlrev_b64 v[33:34], 2, v[5:6]
	v_add_nc_u32_e32 v5, -8, v3
	;; [unrolled: 21-line block ×3, first 2 shown]
	v_add_co_u32 v33, vcc_lo, s12, v33
	v_add_co_ci_u32_e64 v34, null, s13, v34, vcc_lo
	v_lshlrev_b64 v[35:36], 2, v[5:6]
	v_add_nc_u32_e32 v5, 10, v8
	v_add_co_u32 v37, vcc_lo, s14, v37
	v_add_co_ci_u32_e64 v38, null, s15, v38, vcc_lo
	v_lshlrev_b64 v[39:40], 2, v[5:6]
	v_add_co_u32 v35, vcc_lo, s12, v35
	v_add_co_ci_u32_e64 v36, null, s13, v36, vcc_lo
	v_add_nc_u32_e32 v5, -2, v3
	v_add_co_u32 v39, vcc_lo, s14, v39
	v_add_co_ci_u32_e64 v40, null, s15, v40, vcc_lo
	global_load_dword v52, v[37:38], off
	s_clause 0x1
	global_load_dwordx2 v[33:34], v[33:34], off
	global_load_dwordx2 v[35:36], v[35:36], off
	global_load_dword v39, v[39:40], off
	v_lshlrev_b64 v[37:38], 2, v[5:6]
	v_add_nc_u32_e32 v5, 11, v8
	v_add_nc_u32_e32 v3, 0xd0, v3
	v_lshlrev_b64 v[41:42], 2, v[5:6]
	v_add_nc_u32_e32 v5, 12, v8
	v_add_co_u32 v8, vcc_lo, s12, v37
	v_add_co_ci_u32_e64 v9, null, s13, v38, vcc_lo
	v_lshlrev_b64 v[4:5], 2, v[5:6]
	v_add_co_u32 v37, vcc_lo, s14, v41
	v_add_co_ci_u32_e64 v38, null, s15, v42, vcc_lo
	global_load_dwordx2 v[8:9], v[8:9], off
	global_load_dword v37, v[37:38], off
	v_add_co_u32 v4, vcc_lo, s14, v4
	v_add_co_ci_u32_e64 v5, null, s15, v5, vcc_lo
	global_load_dwordx2 v[15:16], v[15:16], off
	global_load_dword v4, v[4:5], off
	v_cmp_ge_i32_e32 vcc_lo, v7, v12
	s_or_b32 s3, vcc_lo, s3
	s_waitcnt vmcnt(23)
	v_fmac_f32_e32 v10, v13, v43
	v_fmac_f32_e32 v11, v14, v43
	s_waitcnt vmcnt(22)
	v_fmac_f32_e32 v10, v17, v44
	v_fmac_f32_e32 v11, v18, v44
	;; [unrolled: 3-line block ×13, first 2 shown]
	s_andn2_b32 exec_lo, exec_lo, s3
	s_cbranch_execnz .LBB56_9
; %bb.10:
	s_or_b32 exec_lo, exec_lo, s3
.LBB56_11:
	s_or_b32 exec_lo, exec_lo, s1
	s_cbranch_execz .LBB56_13
	s_branch .LBB56_18
.LBB56_12:
                                        ; implicit-def: $vgpr10
                                        ; implicit-def: $vgpr11
.LBB56_13:
	v_mov_b32_e32 v10, 0
	v_mov_b32_e32 v11, 0
	s_and_saveexec_b32 s1, s0
	s_cbranch_execz .LBB56_17
; %bb.14:
	v_mad_u64_u32 v[4:5], null, v2, 26, 25
	v_mov_b32_e32 v7, 0
	v_mov_b32_e32 v10, 0
	;; [unrolled: 1-line block ×3, first 2 shown]
	s_mov_b32 s0, 0
.LBB56_15:                              ; =>This Inner Loop Header: Depth=1
	v_ashrrev_i32_e32 v3, 31, v2
	v_add_nc_u32_e32 v13, -12, v4
	v_mov_b32_e32 v14, v7
	v_mov_b32_e32 v9, v7
	v_lshlrev_b64 v[5:6], 2, v[2:3]
	v_add_nc_u32_e32 v2, 8, v2
	v_lshlrev_b64 v[13:14], 2, v[13:14]
	v_add_co_u32 v5, vcc_lo, s10, v5
	v_add_co_ci_u32_e64 v6, null, s11, v6, vcc_lo
	global_load_dword v3, v[5:6], off
	v_subrev_nc_u32_e32 v6, 25, v4
	v_mov_b32_e32 v5, v7
	v_lshlrev_b64 v[15:16], 2, v[6:7]
	v_lshlrev_b64 v[5:6], 2, v[4:5]
	v_add_co_u32 v15, vcc_lo, s12, v15
	v_add_co_ci_u32_e64 v16, null, s13, v16, vcc_lo
	v_add_co_u32 v13, vcc_lo, s12, v13
	v_add_co_ci_u32_e64 v14, null, s13, v14, vcc_lo
	;; [unrolled: 2-line block ×3, first 2 shown]
	s_clause 0x1
	global_load_dwordx2 v[15:16], v[15:16], off
	global_load_dword v23, v[13:14], off
	s_waitcnt vmcnt(2)
	v_subrev_nc_u32_e32 v3, s18, v3
	v_mul_lo_u32 v8, v3, 13
	v_add_nc_u32_e32 v6, 1, v8
	v_lshlrev_b64 v[13:14], 2, v[8:9]
	v_lshlrev_b64 v[19:20], 2, v[6:7]
	v_add_nc_u32_e32 v6, -11, v4
	v_add_co_u32 v13, vcc_lo, s14, v13
	v_add_co_ci_u32_e64 v14, null, s15, v14, vcc_lo
	v_lshlrev_b64 v[21:22], 2, v[6:7]
	v_subrev_nc_u32_e32 v6, 23, v4
	global_load_dword v3, v[13:14], off
	v_add_co_u32 v13, vcc_lo, s14, v19
	v_add_co_ci_u32_e64 v14, null, s15, v20, vcc_lo
	v_lshlrev_b64 v[19:20], 2, v[6:7]
	v_add_nc_u32_e32 v6, 2, v8
	v_add_co_u32 v21, vcc_lo, s12, v21
	v_add_co_ci_u32_e64 v22, null, s13, v22, vcc_lo
	global_load_dword v24, v[13:14], off
	v_lshlrev_b64 v[13:14], 2, v[6:7]
	v_add_co_u32 v19, vcc_lo, s12, v19
	v_add_nc_u32_e32 v6, -10, v4
	v_add_co_ci_u32_e64 v20, null, s13, v20, vcc_lo
	v_add_co_u32 v13, vcc_lo, s14, v13
	s_clause 0x1
	global_load_dword v25, v[21:22], off
	global_load_dword v26, v[19:20], off
	v_lshlrev_b64 v[21:22], 2, v[6:7]
	v_add_co_ci_u32_e64 v14, null, s15, v14, vcc_lo
	v_subrev_nc_u32_e32 v6, 22, v4
	global_load_dword v27, v[13:14], off
	v_add_co_u32 v13, vcc_lo, s12, v21
	v_add_co_ci_u32_e64 v14, null, s13, v22, vcc_lo
	global_load_dword v28, v[13:14], off
	v_lshlrev_b64 v[19:20], 2, v[6:7]
	v_add_nc_u32_e32 v6, 3, v8
	v_lshlrev_b64 v[21:22], 2, v[6:7]
	v_add_nc_u32_e32 v6, -9, v4
	v_add_co_u32 v19, vcc_lo, s12, v19
	v_add_co_ci_u32_e64 v20, null, s13, v20, vcc_lo
	v_lshlrev_b64 v[13:14], 2, v[6:7]
	v_subrev_nc_u32_e32 v6, 21, v4
	global_load_dword v29, v[19:20], off
	v_add_co_u32 v19, vcc_lo, s14, v21
	v_add_co_ci_u32_e64 v20, null, s15, v22, vcc_lo
	v_lshlrev_b64 v[21:22], 2, v[6:7]
	v_add_nc_u32_e32 v6, 4, v8
	v_add_co_u32 v13, vcc_lo, s12, v13
	v_add_co_ci_u32_e64 v14, null, s13, v14, vcc_lo
	global_load_dword v30, v[19:20], off
	v_lshlrev_b64 v[19:20], 2, v[6:7]
	v_add_nc_u32_e32 v6, -8, v4
	global_load_dword v31, v[13:14], off
	v_add_co_u32 v13, vcc_lo, s12, v21
	v_add_co_ci_u32_e64 v14, null, s13, v22, vcc_lo
	v_lshlrev_b64 v[21:22], 2, v[6:7]
	v_subrev_nc_u32_e32 v6, 20, v4
	v_add_co_u32 v19, vcc_lo, s14, v19
	v_add_co_ci_u32_e64 v20, null, s15, v20, vcc_lo
	global_load_dword v32, v[13:14], off
	v_lshlrev_b64 v[13:14], 2, v[6:7]
	v_add_nc_u32_e32 v6, 5, v8
	global_load_dword v33, v[19:20], off
	v_add_co_u32 v19, vcc_lo, s12, v21
	v_add_co_ci_u32_e64 v20, null, s13, v22, vcc_lo
	v_add_co_u32 v13, vcc_lo, s12, v13
	v_lshlrev_b64 v[21:22], 2, v[6:7]
	v_add_nc_u32_e32 v6, -7, v4
	v_add_co_ci_u32_e64 v14, null, s13, v14, vcc_lo
	s_clause 0x1
	global_load_dword v34, v[19:20], off
	global_load_dword v35, v[13:14], off
	v_lshlrev_b64 v[19:20], 2, v[6:7]
	v_subrev_nc_u32_e32 v6, 19, v4
	v_add_co_u32 v13, vcc_lo, s14, v21
	v_add_co_ci_u32_e64 v14, null, s15, v22, vcc_lo
	v_lshlrev_b64 v[21:22], 2, v[6:7]
	v_add_nc_u32_e32 v6, 6, v8
	v_add_co_u32 v19, vcc_lo, s12, v19
	v_add_co_ci_u32_e64 v20, null, s13, v20, vcc_lo
	global_load_dword v36, v[13:14], off
	v_lshlrev_b64 v[13:14], 2, v[6:7]
	v_add_nc_u32_e32 v6, -6, v4
	global_load_dword v37, v[19:20], off
	v_add_co_u32 v19, vcc_lo, s12, v21
	v_add_co_ci_u32_e64 v20, null, s13, v22, vcc_lo
	v_add_co_u32 v13, vcc_lo, s14, v13
	v_lshlrev_b64 v[21:22], 2, v[6:7]
	v_add_co_ci_u32_e64 v14, null, s15, v14, vcc_lo
	v_subrev_nc_u32_e32 v6, 18, v4
	global_load_dword v38, v[19:20], off
	global_load_dword v39, v[13:14], off
	v_add_co_u32 v13, vcc_lo, s12, v21
	v_add_co_ci_u32_e64 v14, null, s13, v22, vcc_lo
	global_load_dword v40, v[13:14], off
	v_lshlrev_b64 v[19:20], 2, v[6:7]
	v_add_nc_u32_e32 v6, 7, v8
	v_lshlrev_b64 v[21:22], 2, v[6:7]
	v_add_nc_u32_e32 v6, -5, v4
	v_add_co_u32 v19, vcc_lo, s12, v19
	v_add_co_ci_u32_e64 v20, null, s13, v20, vcc_lo
	v_lshlrev_b64 v[13:14], 2, v[6:7]
	v_subrev_nc_u32_e32 v6, 17, v4
	global_load_dword v41, v[19:20], off
	v_add_co_u32 v19, vcc_lo, s14, v21
	v_add_co_ci_u32_e64 v20, null, s15, v22, vcc_lo
	v_lshlrev_b64 v[21:22], 2, v[6:7]
	v_add_nc_u32_e32 v6, 8, v8
	v_add_co_u32 v13, vcc_lo, s12, v13
	v_add_co_ci_u32_e64 v14, null, s13, v14, vcc_lo
	global_load_dword v42, v[19:20], off
	v_lshlrev_b64 v[19:20], 2, v[6:7]
	v_add_nc_u32_e32 v6, -4, v4
	global_load_dword v43, v[13:14], off
	v_add_co_u32 v13, vcc_lo, s12, v21
	v_add_co_ci_u32_e64 v14, null, s13, v22, vcc_lo
	v_lshlrev_b64 v[21:22], 2, v[6:7]
	v_add_nc_u32_e32 v6, -16, v4
	v_add_co_u32 v19, vcc_lo, s14, v19
	v_add_co_ci_u32_e64 v20, null, s15, v20, vcc_lo
	global_load_dword v44, v[13:14], off
	v_lshlrev_b64 v[13:14], 2, v[6:7]
	v_add_nc_u32_e32 v6, 9, v8
	global_load_dword v45, v[19:20], off
	v_add_co_u32 v19, vcc_lo, s12, v21
	v_add_co_ci_u32_e64 v20, null, s13, v22, vcc_lo
	v_add_co_u32 v13, vcc_lo, s12, v13
	v_lshlrev_b64 v[21:22], 2, v[6:7]
	v_add_nc_u32_e32 v6, -3, v4
	v_add_co_ci_u32_e64 v14, null, s13, v14, vcc_lo
	s_clause 0x1
	global_load_dword v46, v[19:20], off
	global_load_dword v47, v[13:14], off
	v_lshlrev_b64 v[19:20], 2, v[6:7]
	v_add_nc_u32_e32 v6, -15, v4
	v_add_co_u32 v13, vcc_lo, s14, v21
	v_add_co_ci_u32_e64 v14, null, s15, v22, vcc_lo
	v_lshlrev_b64 v[21:22], 2, v[6:7]
	v_add_nc_u32_e32 v6, 10, v8
	v_add_co_u32 v19, vcc_lo, s12, v19
	v_add_co_ci_u32_e64 v20, null, s13, v20, vcc_lo
	global_load_dword v48, v[13:14], off
	v_lshlrev_b64 v[13:14], 2, v[6:7]
	v_add_nc_u32_e32 v6, -2, v4
	global_load_dword v49, v[19:20], off
	v_add_co_u32 v19, vcc_lo, s12, v21
	v_add_co_ci_u32_e64 v20, null, s13, v22, vcc_lo
	v_add_co_u32 v13, vcc_lo, s14, v13
	v_lshlrev_b64 v[21:22], 2, v[6:7]
	v_add_co_ci_u32_e64 v14, null, s15, v14, vcc_lo
	v_add_nc_u32_e32 v6, -14, v4
	global_load_dword v50, v[19:20], off
	global_load_dword v51, v[13:14], off
	v_add_co_u32 v13, vcc_lo, s12, v21
	v_add_co_ci_u32_e64 v14, null, s13, v22, vcc_lo
	global_load_dword v52, v[13:14], off
	v_lshlrev_b64 v[19:20], 2, v[6:7]
	v_add_nc_u32_e32 v6, 11, v8
	v_lshlrev_b64 v[21:22], 2, v[6:7]
	v_add_nc_u32_e32 v6, -1, v4
	v_add_co_u32 v19, vcc_lo, s12, v19
	v_add_co_ci_u32_e64 v20, null, s13, v20, vcc_lo
	v_lshlrev_b64 v[13:14], 2, v[6:7]
	v_add_nc_u32_e32 v6, -13, v4
	v_add_nc_u32_e32 v4, 0xd0, v4
	global_load_dword v53, v[19:20], off
	v_add_co_u32 v19, vcc_lo, s14, v21
	v_add_co_ci_u32_e64 v20, null, s15, v22, vcc_lo
	v_lshlrev_b64 v[21:22], 2, v[6:7]
	v_add_nc_u32_e32 v6, 12, v8
	v_add_co_u32 v8, vcc_lo, s12, v13
	v_add_co_ci_u32_e64 v9, null, s13, v14, vcc_lo
	v_lshlrev_b64 v[5:6], 2, v[6:7]
	global_load_dword v13, v[19:20], off
	global_load_dword v14, v[8:9], off
	v_add_co_u32 v8, vcc_lo, s12, v21
	v_add_co_ci_u32_e64 v9, null, s13, v22, vcc_lo
	v_add_co_u32 v5, vcc_lo, s14, v5
	v_add_co_ci_u32_e64 v6, null, s15, v6, vcc_lo
	s_clause 0x1
	global_load_dword v17, v[17:18], off
	global_load_dword v8, v[8:9], off
	;; [unrolled: 1-line block ×3, first 2 shown]
	v_cmp_ge_i32_e32 vcc_lo, v2, v12
	s_or_b32 s0, vcc_lo, s0
	s_waitcnt vmcnt(35)
	v_fmac_f32_e32 v10, v15, v3
	v_fmac_f32_e32 v11, v23, v3
	s_waitcnt vmcnt(34)
	v_fmac_f32_e32 v10, v16, v24
	s_waitcnt vmcnt(33)
	;; [unrolled: 2-line block ×23, first 2 shown]
	v_fmac_f32_e32 v10, v8, v5
	v_fmac_f32_e32 v11, v17, v5
	s_andn2_b32 exec_lo, exec_lo, s0
	s_cbranch_execnz .LBB56_15
; %bb.16:
	s_or_b32 exec_lo, exec_lo, s0
.LBB56_17:
	s_or_b32 exec_lo, exec_lo, s1
.LBB56_18:
	v_mbcnt_lo_u32_b32 v2, -1, 0
	s_mov_b32 s3, -1
	v_xor_b32_e32 v3, 4, v2
	v_xor_b32_e32 v5, 2, v2
	;; [unrolled: 1-line block ×3, first 2 shown]
	v_cmp_gt_i32_e32 vcc_lo, 32, v3
	v_cndmask_b32_e32 v3, v2, v3, vcc_lo
	v_cmp_gt_i32_e32 vcc_lo, 32, v5
	v_lshlrev_b32_e32 v3, 2, v3
	v_cndmask_b32_e32 v5, v2, v5, vcc_lo
	v_cmp_gt_i32_e32 vcc_lo, 32, v7
	ds_bpermute_b32 v4, v3, v10
	ds_bpermute_b32 v3, v3, v11
	v_lshlrev_b32_e32 v5, 2, v5
	v_cndmask_b32_e32 v2, v2, v7, vcc_lo
	v_cmp_eq_u32_e32 vcc_lo, 7, v0
	v_lshlrev_b32_e32 v7, 2, v2
	s_waitcnt lgkmcnt(1)
	v_add_f32_e32 v4, v10, v4
	s_waitcnt lgkmcnt(0)
	v_add_f32_e32 v3, v11, v3
	ds_bpermute_b32 v6, v5, v4
	ds_bpermute_b32 v5, v5, v3
	s_waitcnt lgkmcnt(1)
	v_add_f32_e32 v2, v4, v6
	s_waitcnt lgkmcnt(0)
	v_add_f32_e32 v3, v3, v5
	ds_bpermute_b32 v4, v7, v2
	ds_bpermute_b32 v5, v7, v3
	s_and_b32 exec_lo, exec_lo, vcc_lo
	s_cbranch_execz .LBB56_23
; %bb.19:
	s_load_dwordx2 s[0:1], s[4:5], 0x38
	s_waitcnt lgkmcnt(0)
	v_add_f32_e32 v0, v2, v4
	v_add_f32_e32 v3, v3, v5
	v_cmp_eq_f32_e64 s4, s2, 0
	v_mul_f32_e32 v2, s16, v0
	v_mul_f32_e32 v3, s16, v3
	v_lshlrev_b32_e32 v0, 1, v1
	s_and_b32 vcc_lo, exec_lo, s4
	s_cbranch_vccz .LBB56_21
; %bb.20:
	v_ashrrev_i32_e32 v1, 31, v0
	s_mov_b32 s3, 0
	v_lshlrev_b64 v[4:5], 2, v[0:1]
	v_add_co_u32 v4, vcc_lo, s0, v4
	v_add_co_ci_u32_e64 v5, null, s1, v5, vcc_lo
	global_store_dwordx2 v[4:5], v[2:3], off
.LBB56_21:
	s_andn2_b32 vcc_lo, exec_lo, s3
	s_cbranch_vccnz .LBB56_23
; %bb.22:
	v_ashrrev_i32_e32 v1, 31, v0
	v_lshlrev_b64 v[0:1], 2, v[0:1]
	v_add_co_u32 v0, vcc_lo, s0, v0
	v_add_co_ci_u32_e64 v1, null, s1, v1, vcc_lo
	global_load_dwordx2 v[4:5], v[0:1], off
	s_waitcnt vmcnt(0)
	v_fmac_f32_e32 v2, s2, v4
	v_fmac_f32_e32 v3, s2, v5
	global_store_dwordx2 v[0:1], v[2:3], off
.LBB56_23:
	s_endpgm
	.section	.rodata,"a",@progbits
	.p2align	6, 0x0
	.amdhsa_kernel _ZN9rocsparseL19gebsrmvn_2xn_kernelILj128ELj13ELj8EfEEvi20rocsparse_direction_NS_24const_host_device_scalarIT2_EEPKiS6_PKS3_S8_S4_PS3_21rocsparse_index_base_b
		.amdhsa_group_segment_fixed_size 0
		.amdhsa_private_segment_fixed_size 0
		.amdhsa_kernarg_size 72
		.amdhsa_user_sgpr_count 6
		.amdhsa_user_sgpr_private_segment_buffer 1
		.amdhsa_user_sgpr_dispatch_ptr 0
		.amdhsa_user_sgpr_queue_ptr 0
		.amdhsa_user_sgpr_kernarg_segment_ptr 1
		.amdhsa_user_sgpr_dispatch_id 0
		.amdhsa_user_sgpr_flat_scratch_init 0
		.amdhsa_user_sgpr_private_segment_size 0
		.amdhsa_wavefront_size32 1
		.amdhsa_uses_dynamic_stack 0
		.amdhsa_system_sgpr_private_segment_wavefront_offset 0
		.amdhsa_system_sgpr_workgroup_id_x 1
		.amdhsa_system_sgpr_workgroup_id_y 0
		.amdhsa_system_sgpr_workgroup_id_z 0
		.amdhsa_system_sgpr_workgroup_info 0
		.amdhsa_system_vgpr_workitem_id 0
		.amdhsa_next_free_vgpr 54
		.amdhsa_next_free_sgpr 20
		.amdhsa_reserve_vcc 1
		.amdhsa_reserve_flat_scratch 0
		.amdhsa_float_round_mode_32 0
		.amdhsa_float_round_mode_16_64 0
		.amdhsa_float_denorm_mode_32 3
		.amdhsa_float_denorm_mode_16_64 3
		.amdhsa_dx10_clamp 1
		.amdhsa_ieee_mode 1
		.amdhsa_fp16_overflow 0
		.amdhsa_workgroup_processor_mode 1
		.amdhsa_memory_ordered 1
		.amdhsa_forward_progress 1
		.amdhsa_shared_vgpr_count 0
		.amdhsa_exception_fp_ieee_invalid_op 0
		.amdhsa_exception_fp_denorm_src 0
		.amdhsa_exception_fp_ieee_div_zero 0
		.amdhsa_exception_fp_ieee_overflow 0
		.amdhsa_exception_fp_ieee_underflow 0
		.amdhsa_exception_fp_ieee_inexact 0
		.amdhsa_exception_int_div_zero 0
	.end_amdhsa_kernel
	.section	.text._ZN9rocsparseL19gebsrmvn_2xn_kernelILj128ELj13ELj8EfEEvi20rocsparse_direction_NS_24const_host_device_scalarIT2_EEPKiS6_PKS3_S8_S4_PS3_21rocsparse_index_base_b,"axG",@progbits,_ZN9rocsparseL19gebsrmvn_2xn_kernelILj128ELj13ELj8EfEEvi20rocsparse_direction_NS_24const_host_device_scalarIT2_EEPKiS6_PKS3_S8_S4_PS3_21rocsparse_index_base_b,comdat
.Lfunc_end56:
	.size	_ZN9rocsparseL19gebsrmvn_2xn_kernelILj128ELj13ELj8EfEEvi20rocsparse_direction_NS_24const_host_device_scalarIT2_EEPKiS6_PKS3_S8_S4_PS3_21rocsparse_index_base_b, .Lfunc_end56-_ZN9rocsparseL19gebsrmvn_2xn_kernelILj128ELj13ELj8EfEEvi20rocsparse_direction_NS_24const_host_device_scalarIT2_EEPKiS6_PKS3_S8_S4_PS3_21rocsparse_index_base_b
                                        ; -- End function
	.set _ZN9rocsparseL19gebsrmvn_2xn_kernelILj128ELj13ELj8EfEEvi20rocsparse_direction_NS_24const_host_device_scalarIT2_EEPKiS6_PKS3_S8_S4_PS3_21rocsparse_index_base_b.num_vgpr, 54
	.set _ZN9rocsparseL19gebsrmvn_2xn_kernelILj128ELj13ELj8EfEEvi20rocsparse_direction_NS_24const_host_device_scalarIT2_EEPKiS6_PKS3_S8_S4_PS3_21rocsparse_index_base_b.num_agpr, 0
	.set _ZN9rocsparseL19gebsrmvn_2xn_kernelILj128ELj13ELj8EfEEvi20rocsparse_direction_NS_24const_host_device_scalarIT2_EEPKiS6_PKS3_S8_S4_PS3_21rocsparse_index_base_b.numbered_sgpr, 20
	.set _ZN9rocsparseL19gebsrmvn_2xn_kernelILj128ELj13ELj8EfEEvi20rocsparse_direction_NS_24const_host_device_scalarIT2_EEPKiS6_PKS3_S8_S4_PS3_21rocsparse_index_base_b.num_named_barrier, 0
	.set _ZN9rocsparseL19gebsrmvn_2xn_kernelILj128ELj13ELj8EfEEvi20rocsparse_direction_NS_24const_host_device_scalarIT2_EEPKiS6_PKS3_S8_S4_PS3_21rocsparse_index_base_b.private_seg_size, 0
	.set _ZN9rocsparseL19gebsrmvn_2xn_kernelILj128ELj13ELj8EfEEvi20rocsparse_direction_NS_24const_host_device_scalarIT2_EEPKiS6_PKS3_S8_S4_PS3_21rocsparse_index_base_b.uses_vcc, 1
	.set _ZN9rocsparseL19gebsrmvn_2xn_kernelILj128ELj13ELj8EfEEvi20rocsparse_direction_NS_24const_host_device_scalarIT2_EEPKiS6_PKS3_S8_S4_PS3_21rocsparse_index_base_b.uses_flat_scratch, 0
	.set _ZN9rocsparseL19gebsrmvn_2xn_kernelILj128ELj13ELj8EfEEvi20rocsparse_direction_NS_24const_host_device_scalarIT2_EEPKiS6_PKS3_S8_S4_PS3_21rocsparse_index_base_b.has_dyn_sized_stack, 0
	.set _ZN9rocsparseL19gebsrmvn_2xn_kernelILj128ELj13ELj8EfEEvi20rocsparse_direction_NS_24const_host_device_scalarIT2_EEPKiS6_PKS3_S8_S4_PS3_21rocsparse_index_base_b.has_recursion, 0
	.set _ZN9rocsparseL19gebsrmvn_2xn_kernelILj128ELj13ELj8EfEEvi20rocsparse_direction_NS_24const_host_device_scalarIT2_EEPKiS6_PKS3_S8_S4_PS3_21rocsparse_index_base_b.has_indirect_call, 0
	.section	.AMDGPU.csdata,"",@progbits
; Kernel info:
; codeLenInByte = 3512
; TotalNumSgprs: 22
; NumVgprs: 54
; ScratchSize: 0
; MemoryBound: 0
; FloatMode: 240
; IeeeMode: 1
; LDSByteSize: 0 bytes/workgroup (compile time only)
; SGPRBlocks: 0
; VGPRBlocks: 6
; NumSGPRsForWavesPerEU: 22
; NumVGPRsForWavesPerEU: 54
; Occupancy: 16
; WaveLimiterHint : 1
; COMPUTE_PGM_RSRC2:SCRATCH_EN: 0
; COMPUTE_PGM_RSRC2:USER_SGPR: 6
; COMPUTE_PGM_RSRC2:TRAP_HANDLER: 0
; COMPUTE_PGM_RSRC2:TGID_X_EN: 1
; COMPUTE_PGM_RSRC2:TGID_Y_EN: 0
; COMPUTE_PGM_RSRC2:TGID_Z_EN: 0
; COMPUTE_PGM_RSRC2:TIDIG_COMP_CNT: 0
	.section	.text._ZN9rocsparseL19gebsrmvn_2xn_kernelILj128ELj13ELj16EfEEvi20rocsparse_direction_NS_24const_host_device_scalarIT2_EEPKiS6_PKS3_S8_S4_PS3_21rocsparse_index_base_b,"axG",@progbits,_ZN9rocsparseL19gebsrmvn_2xn_kernelILj128ELj13ELj16EfEEvi20rocsparse_direction_NS_24const_host_device_scalarIT2_EEPKiS6_PKS3_S8_S4_PS3_21rocsparse_index_base_b,comdat
	.globl	_ZN9rocsparseL19gebsrmvn_2xn_kernelILj128ELj13ELj16EfEEvi20rocsparse_direction_NS_24const_host_device_scalarIT2_EEPKiS6_PKS3_S8_S4_PS3_21rocsparse_index_base_b ; -- Begin function _ZN9rocsparseL19gebsrmvn_2xn_kernelILj128ELj13ELj16EfEEvi20rocsparse_direction_NS_24const_host_device_scalarIT2_EEPKiS6_PKS3_S8_S4_PS3_21rocsparse_index_base_b
	.p2align	8
	.type	_ZN9rocsparseL19gebsrmvn_2xn_kernelILj128ELj13ELj16EfEEvi20rocsparse_direction_NS_24const_host_device_scalarIT2_EEPKiS6_PKS3_S8_S4_PS3_21rocsparse_index_base_b,@function
_ZN9rocsparseL19gebsrmvn_2xn_kernelILj128ELj13ELj16EfEEvi20rocsparse_direction_NS_24const_host_device_scalarIT2_EEPKiS6_PKS3_S8_S4_PS3_21rocsparse_index_base_b: ; @_ZN9rocsparseL19gebsrmvn_2xn_kernelILj128ELj13ELj16EfEEvi20rocsparse_direction_NS_24const_host_device_scalarIT2_EEPKiS6_PKS3_S8_S4_PS3_21rocsparse_index_base_b
; %bb.0:
	s_clause 0x2
	s_load_dwordx2 s[18:19], s[4:5], 0x40
	s_load_dwordx2 s[16:17], s[4:5], 0x8
	;; [unrolled: 1-line block ×3, first 2 shown]
	s_waitcnt lgkmcnt(0)
	s_bitcmp1_b32 s19, 0
	s_cselect_b32 s0, -1, 0
	s_and_b32 vcc_lo, exec_lo, s0
	s_xor_b32 s0, s0, -1
	s_cbranch_vccnz .LBB57_2
; %bb.1:
	s_load_dword s16, s[16:17], 0x0
.LBB57_2:
	s_andn2_b32 vcc_lo, exec_lo, s0
	s_cbranch_vccnz .LBB57_4
; %bb.3:
	s_load_dword s2, s[2:3], 0x0
.LBB57_4:
	s_waitcnt lgkmcnt(0)
	v_cmp_eq_f32_e64 s0, s16, 0
	v_cmp_eq_f32_e64 s1, s2, 1.0
	s_and_b32 s0, s0, s1
	s_and_b32 vcc_lo, exec_lo, s0
	s_cbranch_vccnz .LBB57_23
; %bb.5:
	s_load_dwordx2 s[0:1], s[4:5], 0x0
	v_lshrrev_b32_e32 v1, 4, v0
	v_lshl_or_b32 v1, s6, 3, v1
	s_waitcnt lgkmcnt(0)
	v_cmp_gt_i32_e32 vcc_lo, s0, v1
	s_and_saveexec_b32 s0, vcc_lo
	s_cbranch_execz .LBB57_23
; %bb.6:
	s_load_dwordx8 s[8:15], s[4:5], 0x10
	v_ashrrev_i32_e32 v2, 31, v1
	v_and_b32_e32 v0, 15, v0
	s_cmp_lg_u32 s1, 0
	v_lshlrev_b64 v[2:3], 2, v[1:2]
	s_waitcnt lgkmcnt(0)
	v_add_co_u32 v2, vcc_lo, s8, v2
	v_add_co_ci_u32_e64 v3, null, s9, v3, vcc_lo
	global_load_dwordx2 v[2:3], v[2:3], off
	s_waitcnt vmcnt(0)
	v_subrev_nc_u32_e32 v2, s18, v2
	v_subrev_nc_u32_e32 v12, s18, v3
	v_add_nc_u32_e32 v2, v2, v0
	v_cmp_lt_i32_e64 s0, v2, v12
	s_cbranch_scc0 .LBB57_12
; %bb.7:
	v_mov_b32_e32 v10, 0
	v_mov_b32_e32 v11, 0
	s_and_saveexec_b32 s1, s0
	s_cbranch_execz .LBB57_11
; %bb.8:
	v_mad_u64_u32 v[3:4], null, v2, 26, 24
	v_mov_b32_e32 v6, 0
	v_mov_b32_e32 v7, v2
	v_mov_b32_e32 v10, 0
	v_mov_b32_e32 v11, 0
	s_mov_b32 s3, 0
.LBB57_9:                               ; =>This Inner Loop Header: Depth=1
	v_ashrrev_i32_e32 v8, 31, v7
	v_mov_b32_e32 v9, v6
	v_lshlrev_b64 v[4:5], 2, v[7:8]
	v_add_nc_u32_e32 v7, 16, v7
	v_add_co_u32 v4, vcc_lo, s10, v4
	v_add_co_ci_u32_e64 v5, null, s11, v5, vcc_lo
	global_load_dword v8, v[4:5], off
	v_subrev_nc_u32_e32 v5, 24, v3
	v_mov_b32_e32 v4, v6
	v_lshlrev_b64 v[13:14], 2, v[5:6]
	v_subrev_nc_u32_e32 v5, 22, v3
	v_lshlrev_b64 v[15:16], 2, v[3:4]
	v_lshlrev_b64 v[4:5], 2, v[5:6]
	v_add_co_u32 v13, vcc_lo, s12, v13
	v_add_co_ci_u32_e64 v14, null, s13, v14, vcc_lo
	v_add_co_u32 v15, vcc_lo, s12, v15
	v_add_co_ci_u32_e64 v16, null, s13, v16, vcc_lo
	;; [unrolled: 2-line block ×3, first 2 shown]
	s_clause 0x1
	global_load_dwordx2 v[13:14], v[13:14], off
	global_load_dwordx2 v[17:18], v[4:5], off
	s_waitcnt vmcnt(2)
	v_subrev_nc_u32_e32 v4, s18, v8
	v_mul_lo_u32 v8, v4, 13
	v_add_nc_u32_e32 v5, 1, v8
	v_lshlrev_b64 v[19:20], 2, v[8:9]
	v_lshlrev_b64 v[21:22], 2, v[5:6]
	v_subrev_nc_u32_e32 v5, 20, v3
	v_add_co_u32 v19, vcc_lo, s14, v19
	v_add_co_ci_u32_e64 v20, null, s15, v20, vcc_lo
	v_add_co_u32 v21, vcc_lo, s14, v21
	v_lshlrev_b64 v[23:24], 2, v[5:6]
	v_add_nc_u32_e32 v5, 2, v8
	v_add_co_ci_u32_e64 v22, null, s15, v22, vcc_lo
	s_clause 0x1
	global_load_dword v43, v[19:20], off
	global_load_dword v44, v[21:22], off
	v_lshlrev_b64 v[19:20], 2, v[5:6]
	v_subrev_nc_u32_e32 v5, 18, v3
	v_add_co_u32 v21, vcc_lo, s12, v23
	v_add_co_ci_u32_e64 v22, null, s13, v24, vcc_lo
	v_lshlrev_b64 v[23:24], 2, v[5:6]
	v_add_nc_u32_e32 v5, 3, v8
	v_add_co_u32 v19, vcc_lo, s14, v19
	v_add_co_ci_u32_e64 v20, null, s15, v20, vcc_lo
	v_lshlrev_b64 v[25:26], 2, v[5:6]
	v_add_nc_u32_e32 v5, -16, v3
	global_load_dwordx2 v[21:22], v[21:22], off
	global_load_dword v45, v[19:20], off
	v_add_co_u32 v19, vcc_lo, s12, v23
	v_add_co_ci_u32_e64 v20, null, s13, v24, vcc_lo
	v_lshlrev_b64 v[23:24], 2, v[5:6]
	v_add_nc_u32_e32 v5, 4, v8
	v_add_co_u32 v25, vcc_lo, s14, v25
	v_add_co_ci_u32_e64 v26, null, s15, v26, vcc_lo
	v_lshlrev_b64 v[27:28], 2, v[5:6]
	v_add_co_u32 v23, vcc_lo, s12, v23
	v_add_co_ci_u32_e64 v24, null, s13, v24, vcc_lo
	v_add_nc_u32_e32 v5, -14, v3
	v_add_co_u32 v27, vcc_lo, s14, v27
	v_add_co_ci_u32_e64 v28, null, s15, v28, vcc_lo
	global_load_dword v46, v[25:26], off
	s_clause 0x1
	global_load_dwordx2 v[23:24], v[23:24], off
	global_load_dwordx2 v[19:20], v[19:20], off
	global_load_dword v47, v[27:28], off
	v_lshlrev_b64 v[25:26], 2, v[5:6]
	v_add_nc_u32_e32 v5, 5, v8
	v_lshlrev_b64 v[29:30], 2, v[5:6]
	v_add_nc_u32_e32 v5, -12, v3
	v_add_co_u32 v25, vcc_lo, s12, v25
	v_add_co_ci_u32_e64 v26, null, s13, v26, vcc_lo
	v_lshlrev_b64 v[27:28], 2, v[5:6]
	v_add_nc_u32_e32 v5, 6, v8
	v_add_co_u32 v29, vcc_lo, s14, v29
	v_add_co_ci_u32_e64 v30, null, s15, v30, vcc_lo
	v_lshlrev_b64 v[31:32], 2, v[5:6]
	v_add_co_u32 v27, vcc_lo, s12, v27
	v_add_co_ci_u32_e64 v28, null, s13, v28, vcc_lo
	v_add_nc_u32_e32 v5, -10, v3
	v_add_co_u32 v31, vcc_lo, s14, v31
	v_add_co_ci_u32_e64 v32, null, s15, v32, vcc_lo
	global_load_dword v48, v[29:30], off
	s_clause 0x1
	global_load_dwordx2 v[25:26], v[25:26], off
	global_load_dwordx2 v[27:28], v[27:28], off
	global_load_dword v49, v[31:32], off
	v_lshlrev_b64 v[29:30], 2, v[5:6]
	v_add_nc_u32_e32 v5, 7, v8
	v_lshlrev_b64 v[33:34], 2, v[5:6]
	v_add_nc_u32_e32 v5, -8, v3
	;; [unrolled: 21-line block ×3, first 2 shown]
	v_add_co_u32 v33, vcc_lo, s12, v33
	v_add_co_ci_u32_e64 v34, null, s13, v34, vcc_lo
	v_lshlrev_b64 v[35:36], 2, v[5:6]
	v_add_nc_u32_e32 v5, 10, v8
	v_add_co_u32 v37, vcc_lo, s14, v37
	v_add_co_ci_u32_e64 v38, null, s15, v38, vcc_lo
	v_lshlrev_b64 v[39:40], 2, v[5:6]
	v_add_co_u32 v35, vcc_lo, s12, v35
	v_add_co_ci_u32_e64 v36, null, s13, v36, vcc_lo
	v_add_nc_u32_e32 v5, -2, v3
	v_add_co_u32 v39, vcc_lo, s14, v39
	v_add_co_ci_u32_e64 v40, null, s15, v40, vcc_lo
	global_load_dword v52, v[37:38], off
	s_clause 0x1
	global_load_dwordx2 v[33:34], v[33:34], off
	global_load_dwordx2 v[35:36], v[35:36], off
	global_load_dword v39, v[39:40], off
	v_lshlrev_b64 v[37:38], 2, v[5:6]
	v_add_nc_u32_e32 v5, 11, v8
	v_add_nc_u32_e32 v3, 0x1a0, v3
	v_lshlrev_b64 v[41:42], 2, v[5:6]
	v_add_nc_u32_e32 v5, 12, v8
	v_add_co_u32 v8, vcc_lo, s12, v37
	v_add_co_ci_u32_e64 v9, null, s13, v38, vcc_lo
	v_lshlrev_b64 v[4:5], 2, v[5:6]
	v_add_co_u32 v37, vcc_lo, s14, v41
	v_add_co_ci_u32_e64 v38, null, s15, v42, vcc_lo
	global_load_dwordx2 v[8:9], v[8:9], off
	global_load_dword v37, v[37:38], off
	v_add_co_u32 v4, vcc_lo, s14, v4
	v_add_co_ci_u32_e64 v5, null, s15, v5, vcc_lo
	global_load_dwordx2 v[15:16], v[15:16], off
	global_load_dword v4, v[4:5], off
	v_cmp_ge_i32_e32 vcc_lo, v7, v12
	s_or_b32 s3, vcc_lo, s3
	s_waitcnt vmcnt(23)
	v_fmac_f32_e32 v10, v13, v43
	v_fmac_f32_e32 v11, v14, v43
	s_waitcnt vmcnt(22)
	v_fmac_f32_e32 v10, v17, v44
	v_fmac_f32_e32 v11, v18, v44
	s_waitcnt vmcnt(20)
	v_fmac_f32_e32 v10, v21, v45
	v_fmac_f32_e32 v11, v22, v45
	s_waitcnt vmcnt(17)
	v_fmac_f32_e32 v10, v19, v46
	v_fmac_f32_e32 v11, v20, v46
	s_waitcnt vmcnt(16)
	v_fmac_f32_e32 v10, v23, v47
	v_fmac_f32_e32 v11, v24, v47
	s_waitcnt vmcnt(14)
	v_fmac_f32_e32 v10, v25, v48
	v_fmac_f32_e32 v11, v26, v48
	s_waitcnt vmcnt(12)
	v_fmac_f32_e32 v10, v27, v49
	v_fmac_f32_e32 v11, v28, v49
	s_waitcnt vmcnt(10)
	v_fmac_f32_e32 v10, v29, v50
	v_fmac_f32_e32 v11, v30, v50
	s_waitcnt vmcnt(8)
	v_fmac_f32_e32 v10, v31, v51
	v_fmac_f32_e32 v11, v32, v51
	s_waitcnt vmcnt(6)
	v_fmac_f32_e32 v10, v33, v52
	v_fmac_f32_e32 v11, v34, v52
	s_waitcnt vmcnt(4)
	v_fmac_f32_e32 v10, v35, v39
	v_fmac_f32_e32 v11, v36, v39
	s_waitcnt vmcnt(2)
	v_fmac_f32_e32 v10, v8, v37
	v_fmac_f32_e32 v11, v9, v37
	s_waitcnt vmcnt(0)
	v_fmac_f32_e32 v10, v15, v4
	v_fmac_f32_e32 v11, v16, v4
	s_andn2_b32 exec_lo, exec_lo, s3
	s_cbranch_execnz .LBB57_9
; %bb.10:
	s_or_b32 exec_lo, exec_lo, s3
.LBB57_11:
	s_or_b32 exec_lo, exec_lo, s1
	s_cbranch_execz .LBB57_13
	s_branch .LBB57_18
.LBB57_12:
                                        ; implicit-def: $vgpr10
                                        ; implicit-def: $vgpr11
.LBB57_13:
	v_mov_b32_e32 v10, 0
	v_mov_b32_e32 v11, 0
	s_and_saveexec_b32 s1, s0
	s_cbranch_execz .LBB57_17
; %bb.14:
	v_mad_u64_u32 v[4:5], null, v2, 26, 25
	v_mov_b32_e32 v7, 0
	v_mov_b32_e32 v10, 0
	;; [unrolled: 1-line block ×3, first 2 shown]
	s_mov_b32 s0, 0
.LBB57_15:                              ; =>This Inner Loop Header: Depth=1
	v_ashrrev_i32_e32 v3, 31, v2
	v_add_nc_u32_e32 v13, -12, v4
	v_mov_b32_e32 v14, v7
	v_mov_b32_e32 v9, v7
	v_lshlrev_b64 v[5:6], 2, v[2:3]
	v_add_nc_u32_e32 v2, 16, v2
	v_lshlrev_b64 v[13:14], 2, v[13:14]
	v_add_co_u32 v5, vcc_lo, s10, v5
	v_add_co_ci_u32_e64 v6, null, s11, v6, vcc_lo
	global_load_dword v3, v[5:6], off
	v_subrev_nc_u32_e32 v6, 25, v4
	v_mov_b32_e32 v5, v7
	v_lshlrev_b64 v[15:16], 2, v[6:7]
	v_lshlrev_b64 v[5:6], 2, v[4:5]
	v_add_co_u32 v15, vcc_lo, s12, v15
	v_add_co_ci_u32_e64 v16, null, s13, v16, vcc_lo
	v_add_co_u32 v13, vcc_lo, s12, v13
	v_add_co_ci_u32_e64 v14, null, s13, v14, vcc_lo
	;; [unrolled: 2-line block ×3, first 2 shown]
	s_clause 0x1
	global_load_dwordx2 v[15:16], v[15:16], off
	global_load_dword v23, v[13:14], off
	s_waitcnt vmcnt(2)
	v_subrev_nc_u32_e32 v3, s18, v3
	v_mul_lo_u32 v8, v3, 13
	v_add_nc_u32_e32 v6, 1, v8
	v_lshlrev_b64 v[13:14], 2, v[8:9]
	v_lshlrev_b64 v[19:20], 2, v[6:7]
	v_add_nc_u32_e32 v6, -11, v4
	v_add_co_u32 v13, vcc_lo, s14, v13
	v_add_co_ci_u32_e64 v14, null, s15, v14, vcc_lo
	v_lshlrev_b64 v[21:22], 2, v[6:7]
	v_subrev_nc_u32_e32 v6, 23, v4
	global_load_dword v3, v[13:14], off
	v_add_co_u32 v13, vcc_lo, s14, v19
	v_add_co_ci_u32_e64 v14, null, s15, v20, vcc_lo
	v_lshlrev_b64 v[19:20], 2, v[6:7]
	v_add_nc_u32_e32 v6, 2, v8
	v_add_co_u32 v21, vcc_lo, s12, v21
	v_add_co_ci_u32_e64 v22, null, s13, v22, vcc_lo
	global_load_dword v24, v[13:14], off
	v_lshlrev_b64 v[13:14], 2, v[6:7]
	v_add_co_u32 v19, vcc_lo, s12, v19
	v_add_nc_u32_e32 v6, -10, v4
	v_add_co_ci_u32_e64 v20, null, s13, v20, vcc_lo
	v_add_co_u32 v13, vcc_lo, s14, v13
	s_clause 0x1
	global_load_dword v25, v[21:22], off
	global_load_dword v26, v[19:20], off
	v_lshlrev_b64 v[21:22], 2, v[6:7]
	v_add_co_ci_u32_e64 v14, null, s15, v14, vcc_lo
	v_subrev_nc_u32_e32 v6, 22, v4
	global_load_dword v27, v[13:14], off
	v_add_co_u32 v13, vcc_lo, s12, v21
	v_add_co_ci_u32_e64 v14, null, s13, v22, vcc_lo
	global_load_dword v28, v[13:14], off
	v_lshlrev_b64 v[19:20], 2, v[6:7]
	v_add_nc_u32_e32 v6, 3, v8
	v_lshlrev_b64 v[21:22], 2, v[6:7]
	v_add_nc_u32_e32 v6, -9, v4
	v_add_co_u32 v19, vcc_lo, s12, v19
	v_add_co_ci_u32_e64 v20, null, s13, v20, vcc_lo
	v_lshlrev_b64 v[13:14], 2, v[6:7]
	v_subrev_nc_u32_e32 v6, 21, v4
	global_load_dword v29, v[19:20], off
	v_add_co_u32 v19, vcc_lo, s14, v21
	v_add_co_ci_u32_e64 v20, null, s15, v22, vcc_lo
	v_lshlrev_b64 v[21:22], 2, v[6:7]
	v_add_nc_u32_e32 v6, 4, v8
	v_add_co_u32 v13, vcc_lo, s12, v13
	v_add_co_ci_u32_e64 v14, null, s13, v14, vcc_lo
	global_load_dword v30, v[19:20], off
	v_lshlrev_b64 v[19:20], 2, v[6:7]
	v_add_nc_u32_e32 v6, -8, v4
	global_load_dword v31, v[13:14], off
	v_add_co_u32 v13, vcc_lo, s12, v21
	v_add_co_ci_u32_e64 v14, null, s13, v22, vcc_lo
	v_lshlrev_b64 v[21:22], 2, v[6:7]
	v_subrev_nc_u32_e32 v6, 20, v4
	v_add_co_u32 v19, vcc_lo, s14, v19
	v_add_co_ci_u32_e64 v20, null, s15, v20, vcc_lo
	global_load_dword v32, v[13:14], off
	v_lshlrev_b64 v[13:14], 2, v[6:7]
	v_add_nc_u32_e32 v6, 5, v8
	global_load_dword v33, v[19:20], off
	v_add_co_u32 v19, vcc_lo, s12, v21
	v_add_co_ci_u32_e64 v20, null, s13, v22, vcc_lo
	v_add_co_u32 v13, vcc_lo, s12, v13
	v_lshlrev_b64 v[21:22], 2, v[6:7]
	v_add_nc_u32_e32 v6, -7, v4
	v_add_co_ci_u32_e64 v14, null, s13, v14, vcc_lo
	s_clause 0x1
	global_load_dword v34, v[19:20], off
	global_load_dword v35, v[13:14], off
	v_lshlrev_b64 v[19:20], 2, v[6:7]
	v_subrev_nc_u32_e32 v6, 19, v4
	v_add_co_u32 v13, vcc_lo, s14, v21
	v_add_co_ci_u32_e64 v14, null, s15, v22, vcc_lo
	v_lshlrev_b64 v[21:22], 2, v[6:7]
	v_add_nc_u32_e32 v6, 6, v8
	v_add_co_u32 v19, vcc_lo, s12, v19
	v_add_co_ci_u32_e64 v20, null, s13, v20, vcc_lo
	global_load_dword v36, v[13:14], off
	v_lshlrev_b64 v[13:14], 2, v[6:7]
	v_add_nc_u32_e32 v6, -6, v4
	global_load_dword v37, v[19:20], off
	v_add_co_u32 v19, vcc_lo, s12, v21
	v_add_co_ci_u32_e64 v20, null, s13, v22, vcc_lo
	v_add_co_u32 v13, vcc_lo, s14, v13
	v_lshlrev_b64 v[21:22], 2, v[6:7]
	v_add_co_ci_u32_e64 v14, null, s15, v14, vcc_lo
	v_subrev_nc_u32_e32 v6, 18, v4
	global_load_dword v38, v[19:20], off
	global_load_dword v39, v[13:14], off
	v_add_co_u32 v13, vcc_lo, s12, v21
	v_add_co_ci_u32_e64 v14, null, s13, v22, vcc_lo
	global_load_dword v40, v[13:14], off
	v_lshlrev_b64 v[19:20], 2, v[6:7]
	v_add_nc_u32_e32 v6, 7, v8
	v_lshlrev_b64 v[21:22], 2, v[6:7]
	v_add_nc_u32_e32 v6, -5, v4
	v_add_co_u32 v19, vcc_lo, s12, v19
	v_add_co_ci_u32_e64 v20, null, s13, v20, vcc_lo
	v_lshlrev_b64 v[13:14], 2, v[6:7]
	v_subrev_nc_u32_e32 v6, 17, v4
	global_load_dword v41, v[19:20], off
	v_add_co_u32 v19, vcc_lo, s14, v21
	v_add_co_ci_u32_e64 v20, null, s15, v22, vcc_lo
	v_lshlrev_b64 v[21:22], 2, v[6:7]
	v_add_nc_u32_e32 v6, 8, v8
	v_add_co_u32 v13, vcc_lo, s12, v13
	v_add_co_ci_u32_e64 v14, null, s13, v14, vcc_lo
	global_load_dword v42, v[19:20], off
	v_lshlrev_b64 v[19:20], 2, v[6:7]
	v_add_nc_u32_e32 v6, -4, v4
	global_load_dword v43, v[13:14], off
	v_add_co_u32 v13, vcc_lo, s12, v21
	v_add_co_ci_u32_e64 v14, null, s13, v22, vcc_lo
	v_lshlrev_b64 v[21:22], 2, v[6:7]
	v_add_nc_u32_e32 v6, -16, v4
	v_add_co_u32 v19, vcc_lo, s14, v19
	v_add_co_ci_u32_e64 v20, null, s15, v20, vcc_lo
	global_load_dword v44, v[13:14], off
	v_lshlrev_b64 v[13:14], 2, v[6:7]
	v_add_nc_u32_e32 v6, 9, v8
	global_load_dword v45, v[19:20], off
	v_add_co_u32 v19, vcc_lo, s12, v21
	v_add_co_ci_u32_e64 v20, null, s13, v22, vcc_lo
	v_add_co_u32 v13, vcc_lo, s12, v13
	v_lshlrev_b64 v[21:22], 2, v[6:7]
	v_add_nc_u32_e32 v6, -3, v4
	v_add_co_ci_u32_e64 v14, null, s13, v14, vcc_lo
	s_clause 0x1
	global_load_dword v46, v[19:20], off
	global_load_dword v47, v[13:14], off
	v_lshlrev_b64 v[19:20], 2, v[6:7]
	v_add_nc_u32_e32 v6, -15, v4
	v_add_co_u32 v13, vcc_lo, s14, v21
	v_add_co_ci_u32_e64 v14, null, s15, v22, vcc_lo
	v_lshlrev_b64 v[21:22], 2, v[6:7]
	v_add_nc_u32_e32 v6, 10, v8
	v_add_co_u32 v19, vcc_lo, s12, v19
	v_add_co_ci_u32_e64 v20, null, s13, v20, vcc_lo
	global_load_dword v48, v[13:14], off
	v_lshlrev_b64 v[13:14], 2, v[6:7]
	v_add_nc_u32_e32 v6, -2, v4
	global_load_dword v49, v[19:20], off
	v_add_co_u32 v19, vcc_lo, s12, v21
	v_add_co_ci_u32_e64 v20, null, s13, v22, vcc_lo
	v_add_co_u32 v13, vcc_lo, s14, v13
	v_lshlrev_b64 v[21:22], 2, v[6:7]
	v_add_co_ci_u32_e64 v14, null, s15, v14, vcc_lo
	v_add_nc_u32_e32 v6, -14, v4
	global_load_dword v50, v[19:20], off
	global_load_dword v51, v[13:14], off
	v_add_co_u32 v13, vcc_lo, s12, v21
	v_add_co_ci_u32_e64 v14, null, s13, v22, vcc_lo
	global_load_dword v52, v[13:14], off
	v_lshlrev_b64 v[19:20], 2, v[6:7]
	v_add_nc_u32_e32 v6, 11, v8
	v_lshlrev_b64 v[21:22], 2, v[6:7]
	v_add_nc_u32_e32 v6, -1, v4
	v_add_co_u32 v19, vcc_lo, s12, v19
	v_add_co_ci_u32_e64 v20, null, s13, v20, vcc_lo
	v_lshlrev_b64 v[13:14], 2, v[6:7]
	v_add_nc_u32_e32 v6, -13, v4
	v_add_nc_u32_e32 v4, 0x1a0, v4
	global_load_dword v53, v[19:20], off
	v_add_co_u32 v19, vcc_lo, s14, v21
	v_add_co_ci_u32_e64 v20, null, s15, v22, vcc_lo
	v_lshlrev_b64 v[21:22], 2, v[6:7]
	v_add_nc_u32_e32 v6, 12, v8
	v_add_co_u32 v8, vcc_lo, s12, v13
	v_add_co_ci_u32_e64 v9, null, s13, v14, vcc_lo
	v_lshlrev_b64 v[5:6], 2, v[6:7]
	global_load_dword v13, v[19:20], off
	global_load_dword v14, v[8:9], off
	v_add_co_u32 v8, vcc_lo, s12, v21
	v_add_co_ci_u32_e64 v9, null, s13, v22, vcc_lo
	v_add_co_u32 v5, vcc_lo, s14, v5
	v_add_co_ci_u32_e64 v6, null, s15, v6, vcc_lo
	s_clause 0x1
	global_load_dword v17, v[17:18], off
	global_load_dword v8, v[8:9], off
	;; [unrolled: 1-line block ×3, first 2 shown]
	v_cmp_ge_i32_e32 vcc_lo, v2, v12
	s_or_b32 s0, vcc_lo, s0
	s_waitcnt vmcnt(35)
	v_fmac_f32_e32 v10, v15, v3
	v_fmac_f32_e32 v11, v23, v3
	s_waitcnt vmcnt(34)
	v_fmac_f32_e32 v10, v16, v24
	s_waitcnt vmcnt(33)
	;; [unrolled: 2-line block ×23, first 2 shown]
	v_fmac_f32_e32 v10, v8, v5
	v_fmac_f32_e32 v11, v17, v5
	s_andn2_b32 exec_lo, exec_lo, s0
	s_cbranch_execnz .LBB57_15
; %bb.16:
	s_or_b32 exec_lo, exec_lo, s0
.LBB57_17:
	s_or_b32 exec_lo, exec_lo, s1
.LBB57_18:
	v_mbcnt_lo_u32_b32 v2, -1, 0
	s_mov_b32 s3, -1
	v_xor_b32_e32 v3, 8, v2
	v_xor_b32_e32 v5, 4, v2
	;; [unrolled: 1-line block ×3, first 2 shown]
	v_cmp_gt_i32_e32 vcc_lo, 32, v3
	v_cndmask_b32_e32 v3, v2, v3, vcc_lo
	v_cmp_gt_i32_e32 vcc_lo, 32, v5
	v_lshlrev_b32_e32 v3, 2, v3
	v_cndmask_b32_e32 v5, v2, v5, vcc_lo
	v_cmp_gt_i32_e32 vcc_lo, 32, v7
	ds_bpermute_b32 v4, v3, v10
	ds_bpermute_b32 v3, v3, v11
	v_lshlrev_b32_e32 v5, 2, v5
	v_cndmask_b32_e32 v7, v2, v7, vcc_lo
	v_lshlrev_b32_e32 v7, 2, v7
	s_waitcnt lgkmcnt(1)
	v_add_f32_e32 v4, v10, v4
	s_waitcnt lgkmcnt(0)
	v_add_f32_e32 v3, v11, v3
	ds_bpermute_b32 v6, v5, v4
	ds_bpermute_b32 v5, v5, v3
	s_waitcnt lgkmcnt(1)
	v_add_f32_e32 v4, v4, v6
	s_waitcnt lgkmcnt(0)
	v_add_f32_e32 v3, v3, v5
	ds_bpermute_b32 v5, v7, v4
	ds_bpermute_b32 v6, v7, v3
	v_xor_b32_e32 v7, 1, v2
	v_cmp_gt_i32_e32 vcc_lo, 32, v7
	v_cndmask_b32_e32 v2, v2, v7, vcc_lo
	v_cmp_eq_u32_e32 vcc_lo, 15, v0
	v_lshlrev_b32_e32 v7, 2, v2
	s_waitcnt lgkmcnt(1)
	v_add_f32_e32 v2, v4, v5
	s_waitcnt lgkmcnt(0)
	v_add_f32_e32 v3, v3, v6
	ds_bpermute_b32 v4, v7, v2
	ds_bpermute_b32 v5, v7, v3
	s_and_b32 exec_lo, exec_lo, vcc_lo
	s_cbranch_execz .LBB57_23
; %bb.19:
	s_load_dwordx2 s[0:1], s[4:5], 0x38
	s_waitcnt lgkmcnt(0)
	v_add_f32_e32 v0, v2, v4
	v_add_f32_e32 v3, v3, v5
	v_cmp_eq_f32_e64 s4, s2, 0
	v_mul_f32_e32 v2, s16, v0
	v_mul_f32_e32 v3, s16, v3
	v_lshlrev_b32_e32 v0, 1, v1
	s_and_b32 vcc_lo, exec_lo, s4
	s_cbranch_vccz .LBB57_21
; %bb.20:
	v_ashrrev_i32_e32 v1, 31, v0
	s_mov_b32 s3, 0
	v_lshlrev_b64 v[4:5], 2, v[0:1]
	v_add_co_u32 v4, vcc_lo, s0, v4
	v_add_co_ci_u32_e64 v5, null, s1, v5, vcc_lo
	global_store_dwordx2 v[4:5], v[2:3], off
.LBB57_21:
	s_andn2_b32 vcc_lo, exec_lo, s3
	s_cbranch_vccnz .LBB57_23
; %bb.22:
	v_ashrrev_i32_e32 v1, 31, v0
	v_lshlrev_b64 v[0:1], 2, v[0:1]
	v_add_co_u32 v0, vcc_lo, s0, v0
	v_add_co_ci_u32_e64 v1, null, s1, v1, vcc_lo
	global_load_dwordx2 v[4:5], v[0:1], off
	s_waitcnt vmcnt(0)
	v_fmac_f32_e32 v2, s2, v4
	v_fmac_f32_e32 v3, s2, v5
	global_store_dwordx2 v[0:1], v[2:3], off
.LBB57_23:
	s_endpgm
	.section	.rodata,"a",@progbits
	.p2align	6, 0x0
	.amdhsa_kernel _ZN9rocsparseL19gebsrmvn_2xn_kernelILj128ELj13ELj16EfEEvi20rocsparse_direction_NS_24const_host_device_scalarIT2_EEPKiS6_PKS3_S8_S4_PS3_21rocsparse_index_base_b
		.amdhsa_group_segment_fixed_size 0
		.amdhsa_private_segment_fixed_size 0
		.amdhsa_kernarg_size 72
		.amdhsa_user_sgpr_count 6
		.amdhsa_user_sgpr_private_segment_buffer 1
		.amdhsa_user_sgpr_dispatch_ptr 0
		.amdhsa_user_sgpr_queue_ptr 0
		.amdhsa_user_sgpr_kernarg_segment_ptr 1
		.amdhsa_user_sgpr_dispatch_id 0
		.amdhsa_user_sgpr_flat_scratch_init 0
		.amdhsa_user_sgpr_private_segment_size 0
		.amdhsa_wavefront_size32 1
		.amdhsa_uses_dynamic_stack 0
		.amdhsa_system_sgpr_private_segment_wavefront_offset 0
		.amdhsa_system_sgpr_workgroup_id_x 1
		.amdhsa_system_sgpr_workgroup_id_y 0
		.amdhsa_system_sgpr_workgroup_id_z 0
		.amdhsa_system_sgpr_workgroup_info 0
		.amdhsa_system_vgpr_workitem_id 0
		.amdhsa_next_free_vgpr 54
		.amdhsa_next_free_sgpr 20
		.amdhsa_reserve_vcc 1
		.amdhsa_reserve_flat_scratch 0
		.amdhsa_float_round_mode_32 0
		.amdhsa_float_round_mode_16_64 0
		.amdhsa_float_denorm_mode_32 3
		.amdhsa_float_denorm_mode_16_64 3
		.amdhsa_dx10_clamp 1
		.amdhsa_ieee_mode 1
		.amdhsa_fp16_overflow 0
		.amdhsa_workgroup_processor_mode 1
		.amdhsa_memory_ordered 1
		.amdhsa_forward_progress 1
		.amdhsa_shared_vgpr_count 0
		.amdhsa_exception_fp_ieee_invalid_op 0
		.amdhsa_exception_fp_denorm_src 0
		.amdhsa_exception_fp_ieee_div_zero 0
		.amdhsa_exception_fp_ieee_overflow 0
		.amdhsa_exception_fp_ieee_underflow 0
		.amdhsa_exception_fp_ieee_inexact 0
		.amdhsa_exception_int_div_zero 0
	.end_amdhsa_kernel
	.section	.text._ZN9rocsparseL19gebsrmvn_2xn_kernelILj128ELj13ELj16EfEEvi20rocsparse_direction_NS_24const_host_device_scalarIT2_EEPKiS6_PKS3_S8_S4_PS3_21rocsparse_index_base_b,"axG",@progbits,_ZN9rocsparseL19gebsrmvn_2xn_kernelILj128ELj13ELj16EfEEvi20rocsparse_direction_NS_24const_host_device_scalarIT2_EEPKiS6_PKS3_S8_S4_PS3_21rocsparse_index_base_b,comdat
.Lfunc_end57:
	.size	_ZN9rocsparseL19gebsrmvn_2xn_kernelILj128ELj13ELj16EfEEvi20rocsparse_direction_NS_24const_host_device_scalarIT2_EEPKiS6_PKS3_S8_S4_PS3_21rocsparse_index_base_b, .Lfunc_end57-_ZN9rocsparseL19gebsrmvn_2xn_kernelILj128ELj13ELj16EfEEvi20rocsparse_direction_NS_24const_host_device_scalarIT2_EEPKiS6_PKS3_S8_S4_PS3_21rocsparse_index_base_b
                                        ; -- End function
	.set _ZN9rocsparseL19gebsrmvn_2xn_kernelILj128ELj13ELj16EfEEvi20rocsparse_direction_NS_24const_host_device_scalarIT2_EEPKiS6_PKS3_S8_S4_PS3_21rocsparse_index_base_b.num_vgpr, 54
	.set _ZN9rocsparseL19gebsrmvn_2xn_kernelILj128ELj13ELj16EfEEvi20rocsparse_direction_NS_24const_host_device_scalarIT2_EEPKiS6_PKS3_S8_S4_PS3_21rocsparse_index_base_b.num_agpr, 0
	.set _ZN9rocsparseL19gebsrmvn_2xn_kernelILj128ELj13ELj16EfEEvi20rocsparse_direction_NS_24const_host_device_scalarIT2_EEPKiS6_PKS3_S8_S4_PS3_21rocsparse_index_base_b.numbered_sgpr, 20
	.set _ZN9rocsparseL19gebsrmvn_2xn_kernelILj128ELj13ELj16EfEEvi20rocsparse_direction_NS_24const_host_device_scalarIT2_EEPKiS6_PKS3_S8_S4_PS3_21rocsparse_index_base_b.num_named_barrier, 0
	.set _ZN9rocsparseL19gebsrmvn_2xn_kernelILj128ELj13ELj16EfEEvi20rocsparse_direction_NS_24const_host_device_scalarIT2_EEPKiS6_PKS3_S8_S4_PS3_21rocsparse_index_base_b.private_seg_size, 0
	.set _ZN9rocsparseL19gebsrmvn_2xn_kernelILj128ELj13ELj16EfEEvi20rocsparse_direction_NS_24const_host_device_scalarIT2_EEPKiS6_PKS3_S8_S4_PS3_21rocsparse_index_base_b.uses_vcc, 1
	.set _ZN9rocsparseL19gebsrmvn_2xn_kernelILj128ELj13ELj16EfEEvi20rocsparse_direction_NS_24const_host_device_scalarIT2_EEPKiS6_PKS3_S8_S4_PS3_21rocsparse_index_base_b.uses_flat_scratch, 0
	.set _ZN9rocsparseL19gebsrmvn_2xn_kernelILj128ELj13ELj16EfEEvi20rocsparse_direction_NS_24const_host_device_scalarIT2_EEPKiS6_PKS3_S8_S4_PS3_21rocsparse_index_base_b.has_dyn_sized_stack, 0
	.set _ZN9rocsparseL19gebsrmvn_2xn_kernelILj128ELj13ELj16EfEEvi20rocsparse_direction_NS_24const_host_device_scalarIT2_EEPKiS6_PKS3_S8_S4_PS3_21rocsparse_index_base_b.has_recursion, 0
	.set _ZN9rocsparseL19gebsrmvn_2xn_kernelILj128ELj13ELj16EfEEvi20rocsparse_direction_NS_24const_host_device_scalarIT2_EEPKiS6_PKS3_S8_S4_PS3_21rocsparse_index_base_b.has_indirect_call, 0
	.section	.AMDGPU.csdata,"",@progbits
; Kernel info:
; codeLenInByte = 3560
; TotalNumSgprs: 22
; NumVgprs: 54
; ScratchSize: 0
; MemoryBound: 0
; FloatMode: 240
; IeeeMode: 1
; LDSByteSize: 0 bytes/workgroup (compile time only)
; SGPRBlocks: 0
; VGPRBlocks: 6
; NumSGPRsForWavesPerEU: 22
; NumVGPRsForWavesPerEU: 54
; Occupancy: 16
; WaveLimiterHint : 1
; COMPUTE_PGM_RSRC2:SCRATCH_EN: 0
; COMPUTE_PGM_RSRC2:USER_SGPR: 6
; COMPUTE_PGM_RSRC2:TRAP_HANDLER: 0
; COMPUTE_PGM_RSRC2:TGID_X_EN: 1
; COMPUTE_PGM_RSRC2:TGID_Y_EN: 0
; COMPUTE_PGM_RSRC2:TGID_Z_EN: 0
; COMPUTE_PGM_RSRC2:TIDIG_COMP_CNT: 0
	.section	.text._ZN9rocsparseL19gebsrmvn_2xn_kernelILj128ELj13ELj32EfEEvi20rocsparse_direction_NS_24const_host_device_scalarIT2_EEPKiS6_PKS3_S8_S4_PS3_21rocsparse_index_base_b,"axG",@progbits,_ZN9rocsparseL19gebsrmvn_2xn_kernelILj128ELj13ELj32EfEEvi20rocsparse_direction_NS_24const_host_device_scalarIT2_EEPKiS6_PKS3_S8_S4_PS3_21rocsparse_index_base_b,comdat
	.globl	_ZN9rocsparseL19gebsrmvn_2xn_kernelILj128ELj13ELj32EfEEvi20rocsparse_direction_NS_24const_host_device_scalarIT2_EEPKiS6_PKS3_S8_S4_PS3_21rocsparse_index_base_b ; -- Begin function _ZN9rocsparseL19gebsrmvn_2xn_kernelILj128ELj13ELj32EfEEvi20rocsparse_direction_NS_24const_host_device_scalarIT2_EEPKiS6_PKS3_S8_S4_PS3_21rocsparse_index_base_b
	.p2align	8
	.type	_ZN9rocsparseL19gebsrmvn_2xn_kernelILj128ELj13ELj32EfEEvi20rocsparse_direction_NS_24const_host_device_scalarIT2_EEPKiS6_PKS3_S8_S4_PS3_21rocsparse_index_base_b,@function
_ZN9rocsparseL19gebsrmvn_2xn_kernelILj128ELj13ELj32EfEEvi20rocsparse_direction_NS_24const_host_device_scalarIT2_EEPKiS6_PKS3_S8_S4_PS3_21rocsparse_index_base_b: ; @_ZN9rocsparseL19gebsrmvn_2xn_kernelILj128ELj13ELj32EfEEvi20rocsparse_direction_NS_24const_host_device_scalarIT2_EEPKiS6_PKS3_S8_S4_PS3_21rocsparse_index_base_b
; %bb.0:
	s_clause 0x2
	s_load_dwordx2 s[18:19], s[4:5], 0x40
	s_load_dwordx2 s[16:17], s[4:5], 0x8
	;; [unrolled: 1-line block ×3, first 2 shown]
	s_waitcnt lgkmcnt(0)
	s_bitcmp1_b32 s19, 0
	s_cselect_b32 s0, -1, 0
	s_and_b32 vcc_lo, exec_lo, s0
	s_xor_b32 s0, s0, -1
	s_cbranch_vccnz .LBB58_2
; %bb.1:
	s_load_dword s16, s[16:17], 0x0
.LBB58_2:
	s_andn2_b32 vcc_lo, exec_lo, s0
	s_cbranch_vccnz .LBB58_4
; %bb.3:
	s_load_dword s2, s[2:3], 0x0
.LBB58_4:
	s_waitcnt lgkmcnt(0)
	v_cmp_eq_f32_e64 s0, s16, 0
	v_cmp_eq_f32_e64 s1, s2, 1.0
	s_and_b32 s0, s0, s1
	s_and_b32 vcc_lo, exec_lo, s0
	s_cbranch_vccnz .LBB58_23
; %bb.5:
	s_load_dwordx2 s[0:1], s[4:5], 0x0
	v_lshrrev_b32_e32 v1, 5, v0
	v_lshl_or_b32 v1, s6, 2, v1
	s_waitcnt lgkmcnt(0)
	v_cmp_gt_i32_e32 vcc_lo, s0, v1
	s_and_saveexec_b32 s0, vcc_lo
	s_cbranch_execz .LBB58_23
; %bb.6:
	s_load_dwordx8 s[8:15], s[4:5], 0x10
	v_ashrrev_i32_e32 v2, 31, v1
	v_and_b32_e32 v0, 31, v0
	s_cmp_lg_u32 s1, 0
	v_lshlrev_b64 v[2:3], 2, v[1:2]
	s_waitcnt lgkmcnt(0)
	v_add_co_u32 v2, vcc_lo, s8, v2
	v_add_co_ci_u32_e64 v3, null, s9, v3, vcc_lo
	global_load_dwordx2 v[2:3], v[2:3], off
	s_waitcnt vmcnt(0)
	v_subrev_nc_u32_e32 v2, s18, v2
	v_subrev_nc_u32_e32 v12, s18, v3
	v_add_nc_u32_e32 v2, v2, v0
	v_cmp_lt_i32_e64 s0, v2, v12
	s_cbranch_scc0 .LBB58_12
; %bb.7:
	v_mov_b32_e32 v10, 0
	v_mov_b32_e32 v11, 0
	s_and_saveexec_b32 s1, s0
	s_cbranch_execz .LBB58_11
; %bb.8:
	v_mad_u64_u32 v[3:4], null, v2, 26, 24
	v_mov_b32_e32 v6, 0
	v_mov_b32_e32 v7, v2
	;; [unrolled: 1-line block ×4, first 2 shown]
	s_mov_b32 s3, 0
.LBB58_9:                               ; =>This Inner Loop Header: Depth=1
	v_ashrrev_i32_e32 v8, 31, v7
	v_mov_b32_e32 v9, v6
	v_lshlrev_b64 v[4:5], 2, v[7:8]
	v_add_nc_u32_e32 v7, 32, v7
	v_add_co_u32 v4, vcc_lo, s10, v4
	v_add_co_ci_u32_e64 v5, null, s11, v5, vcc_lo
	global_load_dword v8, v[4:5], off
	v_subrev_nc_u32_e32 v5, 24, v3
	v_mov_b32_e32 v4, v6
	v_lshlrev_b64 v[13:14], 2, v[5:6]
	v_subrev_nc_u32_e32 v5, 22, v3
	v_lshlrev_b64 v[15:16], 2, v[3:4]
	v_lshlrev_b64 v[4:5], 2, v[5:6]
	v_add_co_u32 v13, vcc_lo, s12, v13
	v_add_co_ci_u32_e64 v14, null, s13, v14, vcc_lo
	v_add_co_u32 v15, vcc_lo, s12, v15
	v_add_co_ci_u32_e64 v16, null, s13, v16, vcc_lo
	;; [unrolled: 2-line block ×3, first 2 shown]
	s_clause 0x1
	global_load_dwordx2 v[13:14], v[13:14], off
	global_load_dwordx2 v[17:18], v[4:5], off
	s_waitcnt vmcnt(2)
	v_subrev_nc_u32_e32 v4, s18, v8
	v_mul_lo_u32 v8, v4, 13
	v_add_nc_u32_e32 v5, 1, v8
	v_lshlrev_b64 v[19:20], 2, v[8:9]
	v_lshlrev_b64 v[21:22], 2, v[5:6]
	v_subrev_nc_u32_e32 v5, 20, v3
	v_add_co_u32 v19, vcc_lo, s14, v19
	v_add_co_ci_u32_e64 v20, null, s15, v20, vcc_lo
	v_add_co_u32 v21, vcc_lo, s14, v21
	v_lshlrev_b64 v[23:24], 2, v[5:6]
	v_add_nc_u32_e32 v5, 2, v8
	v_add_co_ci_u32_e64 v22, null, s15, v22, vcc_lo
	s_clause 0x1
	global_load_dword v43, v[19:20], off
	global_load_dword v44, v[21:22], off
	v_lshlrev_b64 v[19:20], 2, v[5:6]
	v_subrev_nc_u32_e32 v5, 18, v3
	v_add_co_u32 v21, vcc_lo, s12, v23
	v_add_co_ci_u32_e64 v22, null, s13, v24, vcc_lo
	v_lshlrev_b64 v[23:24], 2, v[5:6]
	v_add_nc_u32_e32 v5, 3, v8
	v_add_co_u32 v19, vcc_lo, s14, v19
	v_add_co_ci_u32_e64 v20, null, s15, v20, vcc_lo
	v_lshlrev_b64 v[25:26], 2, v[5:6]
	v_add_nc_u32_e32 v5, -16, v3
	global_load_dwordx2 v[21:22], v[21:22], off
	global_load_dword v45, v[19:20], off
	v_add_co_u32 v19, vcc_lo, s12, v23
	v_add_co_ci_u32_e64 v20, null, s13, v24, vcc_lo
	v_lshlrev_b64 v[23:24], 2, v[5:6]
	v_add_nc_u32_e32 v5, 4, v8
	v_add_co_u32 v25, vcc_lo, s14, v25
	v_add_co_ci_u32_e64 v26, null, s15, v26, vcc_lo
	v_lshlrev_b64 v[27:28], 2, v[5:6]
	v_add_co_u32 v23, vcc_lo, s12, v23
	v_add_co_ci_u32_e64 v24, null, s13, v24, vcc_lo
	v_add_nc_u32_e32 v5, -14, v3
	v_add_co_u32 v27, vcc_lo, s14, v27
	v_add_co_ci_u32_e64 v28, null, s15, v28, vcc_lo
	global_load_dword v46, v[25:26], off
	s_clause 0x1
	global_load_dwordx2 v[23:24], v[23:24], off
	global_load_dwordx2 v[19:20], v[19:20], off
	global_load_dword v47, v[27:28], off
	v_lshlrev_b64 v[25:26], 2, v[5:6]
	v_add_nc_u32_e32 v5, 5, v8
	v_lshlrev_b64 v[29:30], 2, v[5:6]
	v_add_nc_u32_e32 v5, -12, v3
	v_add_co_u32 v25, vcc_lo, s12, v25
	v_add_co_ci_u32_e64 v26, null, s13, v26, vcc_lo
	v_lshlrev_b64 v[27:28], 2, v[5:6]
	v_add_nc_u32_e32 v5, 6, v8
	v_add_co_u32 v29, vcc_lo, s14, v29
	v_add_co_ci_u32_e64 v30, null, s15, v30, vcc_lo
	v_lshlrev_b64 v[31:32], 2, v[5:6]
	v_add_co_u32 v27, vcc_lo, s12, v27
	v_add_co_ci_u32_e64 v28, null, s13, v28, vcc_lo
	v_add_nc_u32_e32 v5, -10, v3
	v_add_co_u32 v31, vcc_lo, s14, v31
	v_add_co_ci_u32_e64 v32, null, s15, v32, vcc_lo
	global_load_dword v48, v[29:30], off
	s_clause 0x1
	global_load_dwordx2 v[25:26], v[25:26], off
	global_load_dwordx2 v[27:28], v[27:28], off
	global_load_dword v49, v[31:32], off
	v_lshlrev_b64 v[29:30], 2, v[5:6]
	v_add_nc_u32_e32 v5, 7, v8
	v_lshlrev_b64 v[33:34], 2, v[5:6]
	v_add_nc_u32_e32 v5, -8, v3
	v_add_co_u32 v29, vcc_lo, s12, v29
	v_add_co_ci_u32_e64 v30, null, s13, v30, vcc_lo
	v_lshlrev_b64 v[31:32], 2, v[5:6]
	v_add_nc_u32_e32 v5, 8, v8
	v_add_co_u32 v33, vcc_lo, s14, v33
	v_add_co_ci_u32_e64 v34, null, s15, v34, vcc_lo
	v_lshlrev_b64 v[35:36], 2, v[5:6]
	v_add_co_u32 v31, vcc_lo, s12, v31
	v_add_co_ci_u32_e64 v32, null, s13, v32, vcc_lo
	v_add_nc_u32_e32 v5, -6, v3
	v_add_co_u32 v35, vcc_lo, s14, v35
	v_add_co_ci_u32_e64 v36, null, s15, v36, vcc_lo
	global_load_dword v50, v[33:34], off
	s_clause 0x1
	global_load_dwordx2 v[29:30], v[29:30], off
	global_load_dwordx2 v[31:32], v[31:32], off
	global_load_dword v51, v[35:36], off
	v_lshlrev_b64 v[33:34], 2, v[5:6]
	v_add_nc_u32_e32 v5, 9, v8
	v_lshlrev_b64 v[37:38], 2, v[5:6]
	v_add_nc_u32_e32 v5, -4, v3
	v_add_co_u32 v33, vcc_lo, s12, v33
	v_add_co_ci_u32_e64 v34, null, s13, v34, vcc_lo
	v_lshlrev_b64 v[35:36], 2, v[5:6]
	v_add_nc_u32_e32 v5, 10, v8
	v_add_co_u32 v37, vcc_lo, s14, v37
	v_add_co_ci_u32_e64 v38, null, s15, v38, vcc_lo
	v_lshlrev_b64 v[39:40], 2, v[5:6]
	v_add_co_u32 v35, vcc_lo, s12, v35
	v_add_co_ci_u32_e64 v36, null, s13, v36, vcc_lo
	v_add_nc_u32_e32 v5, -2, v3
	v_add_co_u32 v39, vcc_lo, s14, v39
	v_add_co_ci_u32_e64 v40, null, s15, v40, vcc_lo
	global_load_dword v52, v[37:38], off
	s_clause 0x1
	global_load_dwordx2 v[33:34], v[33:34], off
	global_load_dwordx2 v[35:36], v[35:36], off
	global_load_dword v39, v[39:40], off
	v_lshlrev_b64 v[37:38], 2, v[5:6]
	v_add_nc_u32_e32 v5, 11, v8
	v_add_nc_u32_e32 v3, 0x340, v3
	v_lshlrev_b64 v[41:42], 2, v[5:6]
	v_add_nc_u32_e32 v5, 12, v8
	v_add_co_u32 v8, vcc_lo, s12, v37
	v_add_co_ci_u32_e64 v9, null, s13, v38, vcc_lo
	v_lshlrev_b64 v[4:5], 2, v[5:6]
	v_add_co_u32 v37, vcc_lo, s14, v41
	v_add_co_ci_u32_e64 v38, null, s15, v42, vcc_lo
	global_load_dwordx2 v[8:9], v[8:9], off
	global_load_dword v37, v[37:38], off
	v_add_co_u32 v4, vcc_lo, s14, v4
	v_add_co_ci_u32_e64 v5, null, s15, v5, vcc_lo
	global_load_dwordx2 v[15:16], v[15:16], off
	global_load_dword v4, v[4:5], off
	v_cmp_ge_i32_e32 vcc_lo, v7, v12
	s_or_b32 s3, vcc_lo, s3
	s_waitcnt vmcnt(23)
	v_fmac_f32_e32 v10, v13, v43
	v_fmac_f32_e32 v11, v14, v43
	s_waitcnt vmcnt(22)
	v_fmac_f32_e32 v10, v17, v44
	v_fmac_f32_e32 v11, v18, v44
	;; [unrolled: 3-line block ×13, first 2 shown]
	s_andn2_b32 exec_lo, exec_lo, s3
	s_cbranch_execnz .LBB58_9
; %bb.10:
	s_or_b32 exec_lo, exec_lo, s3
.LBB58_11:
	s_or_b32 exec_lo, exec_lo, s1
	s_cbranch_execz .LBB58_13
	s_branch .LBB58_18
.LBB58_12:
                                        ; implicit-def: $vgpr10
                                        ; implicit-def: $vgpr11
.LBB58_13:
	v_mov_b32_e32 v10, 0
	v_mov_b32_e32 v11, 0
	s_and_saveexec_b32 s1, s0
	s_cbranch_execz .LBB58_17
; %bb.14:
	v_mad_u64_u32 v[4:5], null, v2, 26, 25
	v_mov_b32_e32 v7, 0
	v_mov_b32_e32 v10, 0
	;; [unrolled: 1-line block ×3, first 2 shown]
	s_mov_b32 s0, 0
.LBB58_15:                              ; =>This Inner Loop Header: Depth=1
	v_ashrrev_i32_e32 v3, 31, v2
	v_add_nc_u32_e32 v13, -12, v4
	v_mov_b32_e32 v14, v7
	v_mov_b32_e32 v9, v7
	v_lshlrev_b64 v[5:6], 2, v[2:3]
	v_add_nc_u32_e32 v2, 32, v2
	v_lshlrev_b64 v[13:14], 2, v[13:14]
	v_add_co_u32 v5, vcc_lo, s10, v5
	v_add_co_ci_u32_e64 v6, null, s11, v6, vcc_lo
	global_load_dword v3, v[5:6], off
	v_subrev_nc_u32_e32 v6, 25, v4
	v_mov_b32_e32 v5, v7
	v_lshlrev_b64 v[15:16], 2, v[6:7]
	v_lshlrev_b64 v[5:6], 2, v[4:5]
	v_add_co_u32 v15, vcc_lo, s12, v15
	v_add_co_ci_u32_e64 v16, null, s13, v16, vcc_lo
	v_add_co_u32 v13, vcc_lo, s12, v13
	v_add_co_ci_u32_e64 v14, null, s13, v14, vcc_lo
	;; [unrolled: 2-line block ×3, first 2 shown]
	s_clause 0x1
	global_load_dwordx2 v[15:16], v[15:16], off
	global_load_dword v23, v[13:14], off
	s_waitcnt vmcnt(2)
	v_subrev_nc_u32_e32 v3, s18, v3
	v_mul_lo_u32 v8, v3, 13
	v_add_nc_u32_e32 v6, 1, v8
	v_lshlrev_b64 v[13:14], 2, v[8:9]
	v_lshlrev_b64 v[19:20], 2, v[6:7]
	v_add_nc_u32_e32 v6, -11, v4
	v_add_co_u32 v13, vcc_lo, s14, v13
	v_add_co_ci_u32_e64 v14, null, s15, v14, vcc_lo
	v_lshlrev_b64 v[21:22], 2, v[6:7]
	v_subrev_nc_u32_e32 v6, 23, v4
	global_load_dword v3, v[13:14], off
	v_add_co_u32 v13, vcc_lo, s14, v19
	v_add_co_ci_u32_e64 v14, null, s15, v20, vcc_lo
	v_lshlrev_b64 v[19:20], 2, v[6:7]
	v_add_nc_u32_e32 v6, 2, v8
	v_add_co_u32 v21, vcc_lo, s12, v21
	v_add_co_ci_u32_e64 v22, null, s13, v22, vcc_lo
	global_load_dword v24, v[13:14], off
	v_lshlrev_b64 v[13:14], 2, v[6:7]
	v_add_co_u32 v19, vcc_lo, s12, v19
	v_add_nc_u32_e32 v6, -10, v4
	v_add_co_ci_u32_e64 v20, null, s13, v20, vcc_lo
	v_add_co_u32 v13, vcc_lo, s14, v13
	s_clause 0x1
	global_load_dword v25, v[21:22], off
	global_load_dword v26, v[19:20], off
	v_lshlrev_b64 v[21:22], 2, v[6:7]
	v_add_co_ci_u32_e64 v14, null, s15, v14, vcc_lo
	v_subrev_nc_u32_e32 v6, 22, v4
	global_load_dword v27, v[13:14], off
	v_add_co_u32 v13, vcc_lo, s12, v21
	v_add_co_ci_u32_e64 v14, null, s13, v22, vcc_lo
	global_load_dword v28, v[13:14], off
	v_lshlrev_b64 v[19:20], 2, v[6:7]
	v_add_nc_u32_e32 v6, 3, v8
	v_lshlrev_b64 v[21:22], 2, v[6:7]
	v_add_nc_u32_e32 v6, -9, v4
	v_add_co_u32 v19, vcc_lo, s12, v19
	v_add_co_ci_u32_e64 v20, null, s13, v20, vcc_lo
	v_lshlrev_b64 v[13:14], 2, v[6:7]
	v_subrev_nc_u32_e32 v6, 21, v4
	global_load_dword v29, v[19:20], off
	v_add_co_u32 v19, vcc_lo, s14, v21
	v_add_co_ci_u32_e64 v20, null, s15, v22, vcc_lo
	v_lshlrev_b64 v[21:22], 2, v[6:7]
	v_add_nc_u32_e32 v6, 4, v8
	v_add_co_u32 v13, vcc_lo, s12, v13
	v_add_co_ci_u32_e64 v14, null, s13, v14, vcc_lo
	global_load_dword v30, v[19:20], off
	v_lshlrev_b64 v[19:20], 2, v[6:7]
	v_add_nc_u32_e32 v6, -8, v4
	global_load_dword v31, v[13:14], off
	v_add_co_u32 v13, vcc_lo, s12, v21
	v_add_co_ci_u32_e64 v14, null, s13, v22, vcc_lo
	v_lshlrev_b64 v[21:22], 2, v[6:7]
	v_subrev_nc_u32_e32 v6, 20, v4
	v_add_co_u32 v19, vcc_lo, s14, v19
	v_add_co_ci_u32_e64 v20, null, s15, v20, vcc_lo
	global_load_dword v32, v[13:14], off
	v_lshlrev_b64 v[13:14], 2, v[6:7]
	v_add_nc_u32_e32 v6, 5, v8
	global_load_dword v33, v[19:20], off
	v_add_co_u32 v19, vcc_lo, s12, v21
	v_add_co_ci_u32_e64 v20, null, s13, v22, vcc_lo
	v_add_co_u32 v13, vcc_lo, s12, v13
	v_lshlrev_b64 v[21:22], 2, v[6:7]
	v_add_nc_u32_e32 v6, -7, v4
	v_add_co_ci_u32_e64 v14, null, s13, v14, vcc_lo
	s_clause 0x1
	global_load_dword v34, v[19:20], off
	global_load_dword v35, v[13:14], off
	v_lshlrev_b64 v[19:20], 2, v[6:7]
	v_subrev_nc_u32_e32 v6, 19, v4
	v_add_co_u32 v13, vcc_lo, s14, v21
	v_add_co_ci_u32_e64 v14, null, s15, v22, vcc_lo
	v_lshlrev_b64 v[21:22], 2, v[6:7]
	v_add_nc_u32_e32 v6, 6, v8
	v_add_co_u32 v19, vcc_lo, s12, v19
	v_add_co_ci_u32_e64 v20, null, s13, v20, vcc_lo
	global_load_dword v36, v[13:14], off
	v_lshlrev_b64 v[13:14], 2, v[6:7]
	v_add_nc_u32_e32 v6, -6, v4
	global_load_dword v37, v[19:20], off
	v_add_co_u32 v19, vcc_lo, s12, v21
	v_add_co_ci_u32_e64 v20, null, s13, v22, vcc_lo
	v_add_co_u32 v13, vcc_lo, s14, v13
	v_lshlrev_b64 v[21:22], 2, v[6:7]
	v_add_co_ci_u32_e64 v14, null, s15, v14, vcc_lo
	v_subrev_nc_u32_e32 v6, 18, v4
	global_load_dword v38, v[19:20], off
	global_load_dword v39, v[13:14], off
	v_add_co_u32 v13, vcc_lo, s12, v21
	v_add_co_ci_u32_e64 v14, null, s13, v22, vcc_lo
	global_load_dword v40, v[13:14], off
	v_lshlrev_b64 v[19:20], 2, v[6:7]
	v_add_nc_u32_e32 v6, 7, v8
	v_lshlrev_b64 v[21:22], 2, v[6:7]
	v_add_nc_u32_e32 v6, -5, v4
	v_add_co_u32 v19, vcc_lo, s12, v19
	v_add_co_ci_u32_e64 v20, null, s13, v20, vcc_lo
	v_lshlrev_b64 v[13:14], 2, v[6:7]
	v_subrev_nc_u32_e32 v6, 17, v4
	global_load_dword v41, v[19:20], off
	v_add_co_u32 v19, vcc_lo, s14, v21
	v_add_co_ci_u32_e64 v20, null, s15, v22, vcc_lo
	v_lshlrev_b64 v[21:22], 2, v[6:7]
	v_add_nc_u32_e32 v6, 8, v8
	v_add_co_u32 v13, vcc_lo, s12, v13
	v_add_co_ci_u32_e64 v14, null, s13, v14, vcc_lo
	global_load_dword v42, v[19:20], off
	v_lshlrev_b64 v[19:20], 2, v[6:7]
	v_add_nc_u32_e32 v6, -4, v4
	global_load_dword v43, v[13:14], off
	v_add_co_u32 v13, vcc_lo, s12, v21
	v_add_co_ci_u32_e64 v14, null, s13, v22, vcc_lo
	v_lshlrev_b64 v[21:22], 2, v[6:7]
	v_add_nc_u32_e32 v6, -16, v4
	v_add_co_u32 v19, vcc_lo, s14, v19
	v_add_co_ci_u32_e64 v20, null, s15, v20, vcc_lo
	global_load_dword v44, v[13:14], off
	v_lshlrev_b64 v[13:14], 2, v[6:7]
	v_add_nc_u32_e32 v6, 9, v8
	global_load_dword v45, v[19:20], off
	v_add_co_u32 v19, vcc_lo, s12, v21
	v_add_co_ci_u32_e64 v20, null, s13, v22, vcc_lo
	v_add_co_u32 v13, vcc_lo, s12, v13
	v_lshlrev_b64 v[21:22], 2, v[6:7]
	v_add_nc_u32_e32 v6, -3, v4
	v_add_co_ci_u32_e64 v14, null, s13, v14, vcc_lo
	s_clause 0x1
	global_load_dword v46, v[19:20], off
	global_load_dword v47, v[13:14], off
	v_lshlrev_b64 v[19:20], 2, v[6:7]
	v_add_nc_u32_e32 v6, -15, v4
	v_add_co_u32 v13, vcc_lo, s14, v21
	v_add_co_ci_u32_e64 v14, null, s15, v22, vcc_lo
	v_lshlrev_b64 v[21:22], 2, v[6:7]
	v_add_nc_u32_e32 v6, 10, v8
	v_add_co_u32 v19, vcc_lo, s12, v19
	v_add_co_ci_u32_e64 v20, null, s13, v20, vcc_lo
	global_load_dword v48, v[13:14], off
	v_lshlrev_b64 v[13:14], 2, v[6:7]
	v_add_nc_u32_e32 v6, -2, v4
	global_load_dword v49, v[19:20], off
	v_add_co_u32 v19, vcc_lo, s12, v21
	v_add_co_ci_u32_e64 v20, null, s13, v22, vcc_lo
	v_add_co_u32 v13, vcc_lo, s14, v13
	v_lshlrev_b64 v[21:22], 2, v[6:7]
	v_add_co_ci_u32_e64 v14, null, s15, v14, vcc_lo
	v_add_nc_u32_e32 v6, -14, v4
	global_load_dword v50, v[19:20], off
	global_load_dword v51, v[13:14], off
	v_add_co_u32 v13, vcc_lo, s12, v21
	v_add_co_ci_u32_e64 v14, null, s13, v22, vcc_lo
	global_load_dword v52, v[13:14], off
	v_lshlrev_b64 v[19:20], 2, v[6:7]
	v_add_nc_u32_e32 v6, 11, v8
	v_lshlrev_b64 v[21:22], 2, v[6:7]
	v_add_nc_u32_e32 v6, -1, v4
	v_add_co_u32 v19, vcc_lo, s12, v19
	v_add_co_ci_u32_e64 v20, null, s13, v20, vcc_lo
	v_lshlrev_b64 v[13:14], 2, v[6:7]
	v_add_nc_u32_e32 v6, -13, v4
	v_add_nc_u32_e32 v4, 0x340, v4
	global_load_dword v53, v[19:20], off
	v_add_co_u32 v19, vcc_lo, s14, v21
	v_add_co_ci_u32_e64 v20, null, s15, v22, vcc_lo
	v_lshlrev_b64 v[21:22], 2, v[6:7]
	v_add_nc_u32_e32 v6, 12, v8
	v_add_co_u32 v8, vcc_lo, s12, v13
	v_add_co_ci_u32_e64 v9, null, s13, v14, vcc_lo
	v_lshlrev_b64 v[5:6], 2, v[6:7]
	global_load_dword v13, v[19:20], off
	global_load_dword v14, v[8:9], off
	v_add_co_u32 v8, vcc_lo, s12, v21
	v_add_co_ci_u32_e64 v9, null, s13, v22, vcc_lo
	v_add_co_u32 v5, vcc_lo, s14, v5
	v_add_co_ci_u32_e64 v6, null, s15, v6, vcc_lo
	s_clause 0x1
	global_load_dword v17, v[17:18], off
	global_load_dword v8, v[8:9], off
	;; [unrolled: 1-line block ×3, first 2 shown]
	v_cmp_ge_i32_e32 vcc_lo, v2, v12
	s_or_b32 s0, vcc_lo, s0
	s_waitcnt vmcnt(35)
	v_fmac_f32_e32 v10, v15, v3
	v_fmac_f32_e32 v11, v23, v3
	s_waitcnt vmcnt(34)
	v_fmac_f32_e32 v10, v16, v24
	s_waitcnt vmcnt(33)
	;; [unrolled: 2-line block ×23, first 2 shown]
	v_fmac_f32_e32 v10, v8, v5
	v_fmac_f32_e32 v11, v17, v5
	s_andn2_b32 exec_lo, exec_lo, s0
	s_cbranch_execnz .LBB58_15
; %bb.16:
	s_or_b32 exec_lo, exec_lo, s0
.LBB58_17:
	s_or_b32 exec_lo, exec_lo, s1
.LBB58_18:
	v_mbcnt_lo_u32_b32 v2, -1, 0
	s_mov_b32 s3, -1
	v_xor_b32_e32 v3, 16, v2
	v_xor_b32_e32 v5, 8, v2
	v_xor_b32_e32 v7, 4, v2
	v_cmp_gt_i32_e32 vcc_lo, 32, v3
	v_cndmask_b32_e32 v3, v2, v3, vcc_lo
	v_cmp_gt_i32_e32 vcc_lo, 32, v5
	v_lshlrev_b32_e32 v3, 2, v3
	v_cndmask_b32_e32 v5, v2, v5, vcc_lo
	v_cmp_gt_i32_e32 vcc_lo, 32, v7
	ds_bpermute_b32 v4, v3, v10
	ds_bpermute_b32 v3, v3, v11
	v_lshlrev_b32_e32 v5, 2, v5
	v_cndmask_b32_e32 v7, v2, v7, vcc_lo
	v_lshlrev_b32_e32 v7, 2, v7
	s_waitcnt lgkmcnt(1)
	v_add_f32_e32 v4, v10, v4
	s_waitcnt lgkmcnt(0)
	v_add_f32_e32 v3, v11, v3
	ds_bpermute_b32 v6, v5, v4
	ds_bpermute_b32 v5, v5, v3
	s_waitcnt lgkmcnt(1)
	v_add_f32_e32 v4, v4, v6
	s_waitcnt lgkmcnt(0)
	v_add_f32_e32 v3, v3, v5
	ds_bpermute_b32 v5, v7, v4
	ds_bpermute_b32 v6, v7, v3
	v_xor_b32_e32 v7, 2, v2
	v_cmp_gt_i32_e32 vcc_lo, 32, v7
	v_cndmask_b32_e32 v7, v2, v7, vcc_lo
	v_lshlrev_b32_e32 v7, 2, v7
	s_waitcnt lgkmcnt(1)
	v_add_f32_e32 v4, v4, v5
	s_waitcnt lgkmcnt(0)
	v_add_f32_e32 v3, v3, v6
	ds_bpermute_b32 v5, v7, v4
	ds_bpermute_b32 v6, v7, v3
	v_xor_b32_e32 v7, 1, v2
	v_cmp_gt_i32_e32 vcc_lo, 32, v7
	v_cndmask_b32_e32 v2, v2, v7, vcc_lo
	v_cmp_eq_u32_e32 vcc_lo, 31, v0
	v_lshlrev_b32_e32 v7, 2, v2
	s_waitcnt lgkmcnt(1)
	v_add_f32_e32 v2, v4, v5
	s_waitcnt lgkmcnt(0)
	v_add_f32_e32 v3, v3, v6
	ds_bpermute_b32 v4, v7, v2
	ds_bpermute_b32 v5, v7, v3
	s_and_b32 exec_lo, exec_lo, vcc_lo
	s_cbranch_execz .LBB58_23
; %bb.19:
	s_load_dwordx2 s[0:1], s[4:5], 0x38
	s_waitcnt lgkmcnt(0)
	v_add_f32_e32 v0, v2, v4
	v_add_f32_e32 v3, v3, v5
	v_cmp_eq_f32_e64 s4, s2, 0
	v_mul_f32_e32 v2, s16, v0
	v_mul_f32_e32 v3, s16, v3
	v_lshlrev_b32_e32 v0, 1, v1
	s_and_b32 vcc_lo, exec_lo, s4
	s_cbranch_vccz .LBB58_21
; %bb.20:
	v_ashrrev_i32_e32 v1, 31, v0
	s_mov_b32 s3, 0
	v_lshlrev_b64 v[4:5], 2, v[0:1]
	v_add_co_u32 v4, vcc_lo, s0, v4
	v_add_co_ci_u32_e64 v5, null, s1, v5, vcc_lo
	global_store_dwordx2 v[4:5], v[2:3], off
.LBB58_21:
	s_andn2_b32 vcc_lo, exec_lo, s3
	s_cbranch_vccnz .LBB58_23
; %bb.22:
	v_ashrrev_i32_e32 v1, 31, v0
	v_lshlrev_b64 v[0:1], 2, v[0:1]
	v_add_co_u32 v0, vcc_lo, s0, v0
	v_add_co_ci_u32_e64 v1, null, s1, v1, vcc_lo
	global_load_dwordx2 v[4:5], v[0:1], off
	s_waitcnt vmcnt(0)
	v_fmac_f32_e32 v2, s2, v4
	v_fmac_f32_e32 v3, s2, v5
	global_store_dwordx2 v[0:1], v[2:3], off
.LBB58_23:
	s_endpgm
	.section	.rodata,"a",@progbits
	.p2align	6, 0x0
	.amdhsa_kernel _ZN9rocsparseL19gebsrmvn_2xn_kernelILj128ELj13ELj32EfEEvi20rocsparse_direction_NS_24const_host_device_scalarIT2_EEPKiS6_PKS3_S8_S4_PS3_21rocsparse_index_base_b
		.amdhsa_group_segment_fixed_size 0
		.amdhsa_private_segment_fixed_size 0
		.amdhsa_kernarg_size 72
		.amdhsa_user_sgpr_count 6
		.amdhsa_user_sgpr_private_segment_buffer 1
		.amdhsa_user_sgpr_dispatch_ptr 0
		.amdhsa_user_sgpr_queue_ptr 0
		.amdhsa_user_sgpr_kernarg_segment_ptr 1
		.amdhsa_user_sgpr_dispatch_id 0
		.amdhsa_user_sgpr_flat_scratch_init 0
		.amdhsa_user_sgpr_private_segment_size 0
		.amdhsa_wavefront_size32 1
		.amdhsa_uses_dynamic_stack 0
		.amdhsa_system_sgpr_private_segment_wavefront_offset 0
		.amdhsa_system_sgpr_workgroup_id_x 1
		.amdhsa_system_sgpr_workgroup_id_y 0
		.amdhsa_system_sgpr_workgroup_id_z 0
		.amdhsa_system_sgpr_workgroup_info 0
		.amdhsa_system_vgpr_workitem_id 0
		.amdhsa_next_free_vgpr 54
		.amdhsa_next_free_sgpr 20
		.amdhsa_reserve_vcc 1
		.amdhsa_reserve_flat_scratch 0
		.amdhsa_float_round_mode_32 0
		.amdhsa_float_round_mode_16_64 0
		.amdhsa_float_denorm_mode_32 3
		.amdhsa_float_denorm_mode_16_64 3
		.amdhsa_dx10_clamp 1
		.amdhsa_ieee_mode 1
		.amdhsa_fp16_overflow 0
		.amdhsa_workgroup_processor_mode 1
		.amdhsa_memory_ordered 1
		.amdhsa_forward_progress 1
		.amdhsa_shared_vgpr_count 0
		.amdhsa_exception_fp_ieee_invalid_op 0
		.amdhsa_exception_fp_denorm_src 0
		.amdhsa_exception_fp_ieee_div_zero 0
		.amdhsa_exception_fp_ieee_overflow 0
		.amdhsa_exception_fp_ieee_underflow 0
		.amdhsa_exception_fp_ieee_inexact 0
		.amdhsa_exception_int_div_zero 0
	.end_amdhsa_kernel
	.section	.text._ZN9rocsparseL19gebsrmvn_2xn_kernelILj128ELj13ELj32EfEEvi20rocsparse_direction_NS_24const_host_device_scalarIT2_EEPKiS6_PKS3_S8_S4_PS3_21rocsparse_index_base_b,"axG",@progbits,_ZN9rocsparseL19gebsrmvn_2xn_kernelILj128ELj13ELj32EfEEvi20rocsparse_direction_NS_24const_host_device_scalarIT2_EEPKiS6_PKS3_S8_S4_PS3_21rocsparse_index_base_b,comdat
.Lfunc_end58:
	.size	_ZN9rocsparseL19gebsrmvn_2xn_kernelILj128ELj13ELj32EfEEvi20rocsparse_direction_NS_24const_host_device_scalarIT2_EEPKiS6_PKS3_S8_S4_PS3_21rocsparse_index_base_b, .Lfunc_end58-_ZN9rocsparseL19gebsrmvn_2xn_kernelILj128ELj13ELj32EfEEvi20rocsparse_direction_NS_24const_host_device_scalarIT2_EEPKiS6_PKS3_S8_S4_PS3_21rocsparse_index_base_b
                                        ; -- End function
	.set _ZN9rocsparseL19gebsrmvn_2xn_kernelILj128ELj13ELj32EfEEvi20rocsparse_direction_NS_24const_host_device_scalarIT2_EEPKiS6_PKS3_S8_S4_PS3_21rocsparse_index_base_b.num_vgpr, 54
	.set _ZN9rocsparseL19gebsrmvn_2xn_kernelILj128ELj13ELj32EfEEvi20rocsparse_direction_NS_24const_host_device_scalarIT2_EEPKiS6_PKS3_S8_S4_PS3_21rocsparse_index_base_b.num_agpr, 0
	.set _ZN9rocsparseL19gebsrmvn_2xn_kernelILj128ELj13ELj32EfEEvi20rocsparse_direction_NS_24const_host_device_scalarIT2_EEPKiS6_PKS3_S8_S4_PS3_21rocsparse_index_base_b.numbered_sgpr, 20
	.set _ZN9rocsparseL19gebsrmvn_2xn_kernelILj128ELj13ELj32EfEEvi20rocsparse_direction_NS_24const_host_device_scalarIT2_EEPKiS6_PKS3_S8_S4_PS3_21rocsparse_index_base_b.num_named_barrier, 0
	.set _ZN9rocsparseL19gebsrmvn_2xn_kernelILj128ELj13ELj32EfEEvi20rocsparse_direction_NS_24const_host_device_scalarIT2_EEPKiS6_PKS3_S8_S4_PS3_21rocsparse_index_base_b.private_seg_size, 0
	.set _ZN9rocsparseL19gebsrmvn_2xn_kernelILj128ELj13ELj32EfEEvi20rocsparse_direction_NS_24const_host_device_scalarIT2_EEPKiS6_PKS3_S8_S4_PS3_21rocsparse_index_base_b.uses_vcc, 1
	.set _ZN9rocsparseL19gebsrmvn_2xn_kernelILj128ELj13ELj32EfEEvi20rocsparse_direction_NS_24const_host_device_scalarIT2_EEPKiS6_PKS3_S8_S4_PS3_21rocsparse_index_base_b.uses_flat_scratch, 0
	.set _ZN9rocsparseL19gebsrmvn_2xn_kernelILj128ELj13ELj32EfEEvi20rocsparse_direction_NS_24const_host_device_scalarIT2_EEPKiS6_PKS3_S8_S4_PS3_21rocsparse_index_base_b.has_dyn_sized_stack, 0
	.set _ZN9rocsparseL19gebsrmvn_2xn_kernelILj128ELj13ELj32EfEEvi20rocsparse_direction_NS_24const_host_device_scalarIT2_EEPKiS6_PKS3_S8_S4_PS3_21rocsparse_index_base_b.has_recursion, 0
	.set _ZN9rocsparseL19gebsrmvn_2xn_kernelILj128ELj13ELj32EfEEvi20rocsparse_direction_NS_24const_host_device_scalarIT2_EEPKiS6_PKS3_S8_S4_PS3_21rocsparse_index_base_b.has_indirect_call, 0
	.section	.AMDGPU.csdata,"",@progbits
; Kernel info:
; codeLenInByte = 3608
; TotalNumSgprs: 22
; NumVgprs: 54
; ScratchSize: 0
; MemoryBound: 0
; FloatMode: 240
; IeeeMode: 1
; LDSByteSize: 0 bytes/workgroup (compile time only)
; SGPRBlocks: 0
; VGPRBlocks: 6
; NumSGPRsForWavesPerEU: 22
; NumVGPRsForWavesPerEU: 54
; Occupancy: 16
; WaveLimiterHint : 1
; COMPUTE_PGM_RSRC2:SCRATCH_EN: 0
; COMPUTE_PGM_RSRC2:USER_SGPR: 6
; COMPUTE_PGM_RSRC2:TRAP_HANDLER: 0
; COMPUTE_PGM_RSRC2:TGID_X_EN: 1
; COMPUTE_PGM_RSRC2:TGID_Y_EN: 0
; COMPUTE_PGM_RSRC2:TGID_Z_EN: 0
; COMPUTE_PGM_RSRC2:TIDIG_COMP_CNT: 0
	.section	.text._ZN9rocsparseL19gebsrmvn_2xn_kernelILj128ELj13ELj64EfEEvi20rocsparse_direction_NS_24const_host_device_scalarIT2_EEPKiS6_PKS3_S8_S4_PS3_21rocsparse_index_base_b,"axG",@progbits,_ZN9rocsparseL19gebsrmvn_2xn_kernelILj128ELj13ELj64EfEEvi20rocsparse_direction_NS_24const_host_device_scalarIT2_EEPKiS6_PKS3_S8_S4_PS3_21rocsparse_index_base_b,comdat
	.globl	_ZN9rocsparseL19gebsrmvn_2xn_kernelILj128ELj13ELj64EfEEvi20rocsparse_direction_NS_24const_host_device_scalarIT2_EEPKiS6_PKS3_S8_S4_PS3_21rocsparse_index_base_b ; -- Begin function _ZN9rocsparseL19gebsrmvn_2xn_kernelILj128ELj13ELj64EfEEvi20rocsparse_direction_NS_24const_host_device_scalarIT2_EEPKiS6_PKS3_S8_S4_PS3_21rocsparse_index_base_b
	.p2align	8
	.type	_ZN9rocsparseL19gebsrmvn_2xn_kernelILj128ELj13ELj64EfEEvi20rocsparse_direction_NS_24const_host_device_scalarIT2_EEPKiS6_PKS3_S8_S4_PS3_21rocsparse_index_base_b,@function
_ZN9rocsparseL19gebsrmvn_2xn_kernelILj128ELj13ELj64EfEEvi20rocsparse_direction_NS_24const_host_device_scalarIT2_EEPKiS6_PKS3_S8_S4_PS3_21rocsparse_index_base_b: ; @_ZN9rocsparseL19gebsrmvn_2xn_kernelILj128ELj13ELj64EfEEvi20rocsparse_direction_NS_24const_host_device_scalarIT2_EEPKiS6_PKS3_S8_S4_PS3_21rocsparse_index_base_b
; %bb.0:
	s_clause 0x2
	s_load_dwordx2 s[18:19], s[4:5], 0x40
	s_load_dwordx2 s[16:17], s[4:5], 0x8
	;; [unrolled: 1-line block ×3, first 2 shown]
	s_waitcnt lgkmcnt(0)
	s_bitcmp1_b32 s19, 0
	s_cselect_b32 s0, -1, 0
	s_and_b32 vcc_lo, exec_lo, s0
	s_xor_b32 s0, s0, -1
	s_cbranch_vccnz .LBB59_2
; %bb.1:
	s_load_dword s16, s[16:17], 0x0
.LBB59_2:
	s_andn2_b32 vcc_lo, exec_lo, s0
	s_cbranch_vccnz .LBB59_4
; %bb.3:
	s_load_dword s2, s[2:3], 0x0
.LBB59_4:
	s_waitcnt lgkmcnt(0)
	v_cmp_eq_f32_e64 s0, s16, 0
	v_cmp_eq_f32_e64 s1, s2, 1.0
	s_and_b32 s0, s0, s1
	s_and_b32 vcc_lo, exec_lo, s0
	s_cbranch_vccnz .LBB59_23
; %bb.5:
	s_load_dwordx2 s[0:1], s[4:5], 0x0
	v_lshrrev_b32_e32 v1, 6, v0
	v_lshl_or_b32 v1, s6, 1, v1
	s_waitcnt lgkmcnt(0)
	v_cmp_gt_i32_e32 vcc_lo, s0, v1
	s_and_saveexec_b32 s0, vcc_lo
	s_cbranch_execz .LBB59_23
; %bb.6:
	s_load_dwordx8 s[8:15], s[4:5], 0x10
	v_ashrrev_i32_e32 v2, 31, v1
	v_and_b32_e32 v0, 63, v0
	s_cmp_lg_u32 s1, 0
	v_lshlrev_b64 v[2:3], 2, v[1:2]
	s_waitcnt lgkmcnt(0)
	v_add_co_u32 v2, vcc_lo, s8, v2
	v_add_co_ci_u32_e64 v3, null, s9, v3, vcc_lo
	global_load_dwordx2 v[2:3], v[2:3], off
	s_waitcnt vmcnt(0)
	v_subrev_nc_u32_e32 v2, s18, v2
	v_subrev_nc_u32_e32 v12, s18, v3
	v_add_nc_u32_e32 v2, v2, v0
	v_cmp_lt_i32_e64 s0, v2, v12
	s_cbranch_scc0 .LBB59_12
; %bb.7:
	v_mov_b32_e32 v10, 0
	v_mov_b32_e32 v11, 0
	s_and_saveexec_b32 s1, s0
	s_cbranch_execz .LBB59_11
; %bb.8:
	v_mad_u64_u32 v[3:4], null, v2, 26, 24
	v_mov_b32_e32 v6, 0
	v_mov_b32_e32 v7, v2
	;; [unrolled: 1-line block ×4, first 2 shown]
	s_mov_b32 s3, 0
.LBB59_9:                               ; =>This Inner Loop Header: Depth=1
	v_ashrrev_i32_e32 v8, 31, v7
	v_mov_b32_e32 v9, v6
	v_lshlrev_b64 v[4:5], 2, v[7:8]
	v_add_nc_u32_e32 v7, 64, v7
	v_add_co_u32 v4, vcc_lo, s10, v4
	v_add_co_ci_u32_e64 v5, null, s11, v5, vcc_lo
	global_load_dword v8, v[4:5], off
	v_subrev_nc_u32_e32 v5, 24, v3
	v_mov_b32_e32 v4, v6
	v_lshlrev_b64 v[13:14], 2, v[5:6]
	v_subrev_nc_u32_e32 v5, 22, v3
	v_lshlrev_b64 v[15:16], 2, v[3:4]
	v_lshlrev_b64 v[4:5], 2, v[5:6]
	v_add_co_u32 v13, vcc_lo, s12, v13
	v_add_co_ci_u32_e64 v14, null, s13, v14, vcc_lo
	v_add_co_u32 v15, vcc_lo, s12, v15
	v_add_co_ci_u32_e64 v16, null, s13, v16, vcc_lo
	;; [unrolled: 2-line block ×3, first 2 shown]
	s_clause 0x1
	global_load_dwordx2 v[13:14], v[13:14], off
	global_load_dwordx2 v[17:18], v[4:5], off
	s_waitcnt vmcnt(2)
	v_subrev_nc_u32_e32 v4, s18, v8
	v_mul_lo_u32 v8, v4, 13
	v_add_nc_u32_e32 v5, 1, v8
	v_lshlrev_b64 v[19:20], 2, v[8:9]
	v_lshlrev_b64 v[21:22], 2, v[5:6]
	v_subrev_nc_u32_e32 v5, 20, v3
	v_add_co_u32 v19, vcc_lo, s14, v19
	v_add_co_ci_u32_e64 v20, null, s15, v20, vcc_lo
	v_add_co_u32 v21, vcc_lo, s14, v21
	v_lshlrev_b64 v[23:24], 2, v[5:6]
	v_add_nc_u32_e32 v5, 2, v8
	v_add_co_ci_u32_e64 v22, null, s15, v22, vcc_lo
	s_clause 0x1
	global_load_dword v43, v[19:20], off
	global_load_dword v44, v[21:22], off
	v_lshlrev_b64 v[19:20], 2, v[5:6]
	v_subrev_nc_u32_e32 v5, 18, v3
	v_add_co_u32 v21, vcc_lo, s12, v23
	v_add_co_ci_u32_e64 v22, null, s13, v24, vcc_lo
	v_lshlrev_b64 v[23:24], 2, v[5:6]
	v_add_nc_u32_e32 v5, 3, v8
	v_add_co_u32 v19, vcc_lo, s14, v19
	v_add_co_ci_u32_e64 v20, null, s15, v20, vcc_lo
	v_lshlrev_b64 v[25:26], 2, v[5:6]
	v_add_nc_u32_e32 v5, -16, v3
	global_load_dwordx2 v[21:22], v[21:22], off
	global_load_dword v45, v[19:20], off
	v_add_co_u32 v19, vcc_lo, s12, v23
	v_add_co_ci_u32_e64 v20, null, s13, v24, vcc_lo
	v_lshlrev_b64 v[23:24], 2, v[5:6]
	v_add_nc_u32_e32 v5, 4, v8
	v_add_co_u32 v25, vcc_lo, s14, v25
	v_add_co_ci_u32_e64 v26, null, s15, v26, vcc_lo
	v_lshlrev_b64 v[27:28], 2, v[5:6]
	v_add_co_u32 v23, vcc_lo, s12, v23
	v_add_co_ci_u32_e64 v24, null, s13, v24, vcc_lo
	v_add_nc_u32_e32 v5, -14, v3
	v_add_co_u32 v27, vcc_lo, s14, v27
	v_add_co_ci_u32_e64 v28, null, s15, v28, vcc_lo
	global_load_dword v46, v[25:26], off
	s_clause 0x1
	global_load_dwordx2 v[23:24], v[23:24], off
	global_load_dwordx2 v[19:20], v[19:20], off
	global_load_dword v47, v[27:28], off
	v_lshlrev_b64 v[25:26], 2, v[5:6]
	v_add_nc_u32_e32 v5, 5, v8
	v_lshlrev_b64 v[29:30], 2, v[5:6]
	v_add_nc_u32_e32 v5, -12, v3
	v_add_co_u32 v25, vcc_lo, s12, v25
	v_add_co_ci_u32_e64 v26, null, s13, v26, vcc_lo
	v_lshlrev_b64 v[27:28], 2, v[5:6]
	v_add_nc_u32_e32 v5, 6, v8
	v_add_co_u32 v29, vcc_lo, s14, v29
	v_add_co_ci_u32_e64 v30, null, s15, v30, vcc_lo
	v_lshlrev_b64 v[31:32], 2, v[5:6]
	v_add_co_u32 v27, vcc_lo, s12, v27
	v_add_co_ci_u32_e64 v28, null, s13, v28, vcc_lo
	v_add_nc_u32_e32 v5, -10, v3
	v_add_co_u32 v31, vcc_lo, s14, v31
	v_add_co_ci_u32_e64 v32, null, s15, v32, vcc_lo
	global_load_dword v48, v[29:30], off
	s_clause 0x1
	global_load_dwordx2 v[25:26], v[25:26], off
	global_load_dwordx2 v[27:28], v[27:28], off
	global_load_dword v49, v[31:32], off
	v_lshlrev_b64 v[29:30], 2, v[5:6]
	v_add_nc_u32_e32 v5, 7, v8
	v_lshlrev_b64 v[33:34], 2, v[5:6]
	v_add_nc_u32_e32 v5, -8, v3
	;; [unrolled: 21-line block ×3, first 2 shown]
	v_add_co_u32 v33, vcc_lo, s12, v33
	v_add_co_ci_u32_e64 v34, null, s13, v34, vcc_lo
	v_lshlrev_b64 v[35:36], 2, v[5:6]
	v_add_nc_u32_e32 v5, 10, v8
	v_add_co_u32 v37, vcc_lo, s14, v37
	v_add_co_ci_u32_e64 v38, null, s15, v38, vcc_lo
	v_lshlrev_b64 v[39:40], 2, v[5:6]
	v_add_co_u32 v35, vcc_lo, s12, v35
	v_add_co_ci_u32_e64 v36, null, s13, v36, vcc_lo
	v_add_nc_u32_e32 v5, -2, v3
	v_add_co_u32 v39, vcc_lo, s14, v39
	v_add_co_ci_u32_e64 v40, null, s15, v40, vcc_lo
	global_load_dword v52, v[37:38], off
	s_clause 0x1
	global_load_dwordx2 v[33:34], v[33:34], off
	global_load_dwordx2 v[35:36], v[35:36], off
	global_load_dword v39, v[39:40], off
	v_lshlrev_b64 v[37:38], 2, v[5:6]
	v_add_nc_u32_e32 v5, 11, v8
	v_add_nc_u32_e32 v3, 0x680, v3
	v_lshlrev_b64 v[41:42], 2, v[5:6]
	v_add_nc_u32_e32 v5, 12, v8
	v_add_co_u32 v8, vcc_lo, s12, v37
	v_add_co_ci_u32_e64 v9, null, s13, v38, vcc_lo
	v_lshlrev_b64 v[4:5], 2, v[5:6]
	v_add_co_u32 v37, vcc_lo, s14, v41
	v_add_co_ci_u32_e64 v38, null, s15, v42, vcc_lo
	global_load_dwordx2 v[8:9], v[8:9], off
	global_load_dword v37, v[37:38], off
	v_add_co_u32 v4, vcc_lo, s14, v4
	v_add_co_ci_u32_e64 v5, null, s15, v5, vcc_lo
	global_load_dwordx2 v[15:16], v[15:16], off
	global_load_dword v4, v[4:5], off
	v_cmp_ge_i32_e32 vcc_lo, v7, v12
	s_or_b32 s3, vcc_lo, s3
	s_waitcnt vmcnt(23)
	v_fmac_f32_e32 v10, v13, v43
	v_fmac_f32_e32 v11, v14, v43
	s_waitcnt vmcnt(22)
	v_fmac_f32_e32 v10, v17, v44
	v_fmac_f32_e32 v11, v18, v44
	;; [unrolled: 3-line block ×13, first 2 shown]
	s_andn2_b32 exec_lo, exec_lo, s3
	s_cbranch_execnz .LBB59_9
; %bb.10:
	s_or_b32 exec_lo, exec_lo, s3
.LBB59_11:
	s_or_b32 exec_lo, exec_lo, s1
	s_cbranch_execz .LBB59_13
	s_branch .LBB59_18
.LBB59_12:
                                        ; implicit-def: $vgpr10
                                        ; implicit-def: $vgpr11
.LBB59_13:
	v_mov_b32_e32 v10, 0
	v_mov_b32_e32 v11, 0
	s_and_saveexec_b32 s1, s0
	s_cbranch_execz .LBB59_17
; %bb.14:
	v_mad_u64_u32 v[4:5], null, v2, 26, 25
	v_mov_b32_e32 v7, 0
	v_mov_b32_e32 v10, 0
	;; [unrolled: 1-line block ×3, first 2 shown]
	s_mov_b32 s0, 0
.LBB59_15:                              ; =>This Inner Loop Header: Depth=1
	v_ashrrev_i32_e32 v3, 31, v2
	v_add_nc_u32_e32 v13, -12, v4
	v_mov_b32_e32 v14, v7
	v_mov_b32_e32 v9, v7
	v_lshlrev_b64 v[5:6], 2, v[2:3]
	v_add_nc_u32_e32 v2, 64, v2
	v_lshlrev_b64 v[13:14], 2, v[13:14]
	v_add_co_u32 v5, vcc_lo, s10, v5
	v_add_co_ci_u32_e64 v6, null, s11, v6, vcc_lo
	global_load_dword v3, v[5:6], off
	v_subrev_nc_u32_e32 v6, 25, v4
	v_mov_b32_e32 v5, v7
	v_lshlrev_b64 v[15:16], 2, v[6:7]
	v_lshlrev_b64 v[5:6], 2, v[4:5]
	v_add_co_u32 v15, vcc_lo, s12, v15
	v_add_co_ci_u32_e64 v16, null, s13, v16, vcc_lo
	v_add_co_u32 v13, vcc_lo, s12, v13
	v_add_co_ci_u32_e64 v14, null, s13, v14, vcc_lo
	;; [unrolled: 2-line block ×3, first 2 shown]
	s_clause 0x1
	global_load_dwordx2 v[15:16], v[15:16], off
	global_load_dword v23, v[13:14], off
	s_waitcnt vmcnt(2)
	v_subrev_nc_u32_e32 v3, s18, v3
	v_mul_lo_u32 v8, v3, 13
	v_add_nc_u32_e32 v6, 1, v8
	v_lshlrev_b64 v[13:14], 2, v[8:9]
	v_lshlrev_b64 v[19:20], 2, v[6:7]
	v_add_nc_u32_e32 v6, -11, v4
	v_add_co_u32 v13, vcc_lo, s14, v13
	v_add_co_ci_u32_e64 v14, null, s15, v14, vcc_lo
	v_lshlrev_b64 v[21:22], 2, v[6:7]
	v_subrev_nc_u32_e32 v6, 23, v4
	global_load_dword v3, v[13:14], off
	v_add_co_u32 v13, vcc_lo, s14, v19
	v_add_co_ci_u32_e64 v14, null, s15, v20, vcc_lo
	v_lshlrev_b64 v[19:20], 2, v[6:7]
	v_add_nc_u32_e32 v6, 2, v8
	v_add_co_u32 v21, vcc_lo, s12, v21
	v_add_co_ci_u32_e64 v22, null, s13, v22, vcc_lo
	global_load_dword v24, v[13:14], off
	v_lshlrev_b64 v[13:14], 2, v[6:7]
	v_add_co_u32 v19, vcc_lo, s12, v19
	v_add_nc_u32_e32 v6, -10, v4
	v_add_co_ci_u32_e64 v20, null, s13, v20, vcc_lo
	v_add_co_u32 v13, vcc_lo, s14, v13
	s_clause 0x1
	global_load_dword v25, v[21:22], off
	global_load_dword v26, v[19:20], off
	v_lshlrev_b64 v[21:22], 2, v[6:7]
	v_add_co_ci_u32_e64 v14, null, s15, v14, vcc_lo
	v_subrev_nc_u32_e32 v6, 22, v4
	global_load_dword v27, v[13:14], off
	v_add_co_u32 v13, vcc_lo, s12, v21
	v_add_co_ci_u32_e64 v14, null, s13, v22, vcc_lo
	global_load_dword v28, v[13:14], off
	v_lshlrev_b64 v[19:20], 2, v[6:7]
	v_add_nc_u32_e32 v6, 3, v8
	v_lshlrev_b64 v[21:22], 2, v[6:7]
	v_add_nc_u32_e32 v6, -9, v4
	v_add_co_u32 v19, vcc_lo, s12, v19
	v_add_co_ci_u32_e64 v20, null, s13, v20, vcc_lo
	v_lshlrev_b64 v[13:14], 2, v[6:7]
	v_subrev_nc_u32_e32 v6, 21, v4
	global_load_dword v29, v[19:20], off
	v_add_co_u32 v19, vcc_lo, s14, v21
	v_add_co_ci_u32_e64 v20, null, s15, v22, vcc_lo
	v_lshlrev_b64 v[21:22], 2, v[6:7]
	v_add_nc_u32_e32 v6, 4, v8
	v_add_co_u32 v13, vcc_lo, s12, v13
	v_add_co_ci_u32_e64 v14, null, s13, v14, vcc_lo
	global_load_dword v30, v[19:20], off
	v_lshlrev_b64 v[19:20], 2, v[6:7]
	v_add_nc_u32_e32 v6, -8, v4
	global_load_dword v31, v[13:14], off
	v_add_co_u32 v13, vcc_lo, s12, v21
	v_add_co_ci_u32_e64 v14, null, s13, v22, vcc_lo
	v_lshlrev_b64 v[21:22], 2, v[6:7]
	v_subrev_nc_u32_e32 v6, 20, v4
	v_add_co_u32 v19, vcc_lo, s14, v19
	v_add_co_ci_u32_e64 v20, null, s15, v20, vcc_lo
	global_load_dword v32, v[13:14], off
	v_lshlrev_b64 v[13:14], 2, v[6:7]
	v_add_nc_u32_e32 v6, 5, v8
	global_load_dword v33, v[19:20], off
	v_add_co_u32 v19, vcc_lo, s12, v21
	v_add_co_ci_u32_e64 v20, null, s13, v22, vcc_lo
	v_add_co_u32 v13, vcc_lo, s12, v13
	v_lshlrev_b64 v[21:22], 2, v[6:7]
	v_add_nc_u32_e32 v6, -7, v4
	v_add_co_ci_u32_e64 v14, null, s13, v14, vcc_lo
	s_clause 0x1
	global_load_dword v34, v[19:20], off
	global_load_dword v35, v[13:14], off
	v_lshlrev_b64 v[19:20], 2, v[6:7]
	v_subrev_nc_u32_e32 v6, 19, v4
	v_add_co_u32 v13, vcc_lo, s14, v21
	v_add_co_ci_u32_e64 v14, null, s15, v22, vcc_lo
	v_lshlrev_b64 v[21:22], 2, v[6:7]
	v_add_nc_u32_e32 v6, 6, v8
	v_add_co_u32 v19, vcc_lo, s12, v19
	v_add_co_ci_u32_e64 v20, null, s13, v20, vcc_lo
	global_load_dword v36, v[13:14], off
	v_lshlrev_b64 v[13:14], 2, v[6:7]
	v_add_nc_u32_e32 v6, -6, v4
	global_load_dword v37, v[19:20], off
	v_add_co_u32 v19, vcc_lo, s12, v21
	v_add_co_ci_u32_e64 v20, null, s13, v22, vcc_lo
	v_add_co_u32 v13, vcc_lo, s14, v13
	v_lshlrev_b64 v[21:22], 2, v[6:7]
	v_add_co_ci_u32_e64 v14, null, s15, v14, vcc_lo
	v_subrev_nc_u32_e32 v6, 18, v4
	global_load_dword v38, v[19:20], off
	global_load_dword v39, v[13:14], off
	v_add_co_u32 v13, vcc_lo, s12, v21
	v_add_co_ci_u32_e64 v14, null, s13, v22, vcc_lo
	global_load_dword v40, v[13:14], off
	v_lshlrev_b64 v[19:20], 2, v[6:7]
	v_add_nc_u32_e32 v6, 7, v8
	v_lshlrev_b64 v[21:22], 2, v[6:7]
	v_add_nc_u32_e32 v6, -5, v4
	v_add_co_u32 v19, vcc_lo, s12, v19
	v_add_co_ci_u32_e64 v20, null, s13, v20, vcc_lo
	v_lshlrev_b64 v[13:14], 2, v[6:7]
	v_subrev_nc_u32_e32 v6, 17, v4
	global_load_dword v41, v[19:20], off
	v_add_co_u32 v19, vcc_lo, s14, v21
	v_add_co_ci_u32_e64 v20, null, s15, v22, vcc_lo
	v_lshlrev_b64 v[21:22], 2, v[6:7]
	v_add_nc_u32_e32 v6, 8, v8
	v_add_co_u32 v13, vcc_lo, s12, v13
	v_add_co_ci_u32_e64 v14, null, s13, v14, vcc_lo
	global_load_dword v42, v[19:20], off
	v_lshlrev_b64 v[19:20], 2, v[6:7]
	v_add_nc_u32_e32 v6, -4, v4
	global_load_dword v43, v[13:14], off
	v_add_co_u32 v13, vcc_lo, s12, v21
	v_add_co_ci_u32_e64 v14, null, s13, v22, vcc_lo
	v_lshlrev_b64 v[21:22], 2, v[6:7]
	v_add_nc_u32_e32 v6, -16, v4
	v_add_co_u32 v19, vcc_lo, s14, v19
	v_add_co_ci_u32_e64 v20, null, s15, v20, vcc_lo
	global_load_dword v44, v[13:14], off
	v_lshlrev_b64 v[13:14], 2, v[6:7]
	v_add_nc_u32_e32 v6, 9, v8
	global_load_dword v45, v[19:20], off
	v_add_co_u32 v19, vcc_lo, s12, v21
	v_add_co_ci_u32_e64 v20, null, s13, v22, vcc_lo
	v_add_co_u32 v13, vcc_lo, s12, v13
	v_lshlrev_b64 v[21:22], 2, v[6:7]
	v_add_nc_u32_e32 v6, -3, v4
	v_add_co_ci_u32_e64 v14, null, s13, v14, vcc_lo
	s_clause 0x1
	global_load_dword v46, v[19:20], off
	global_load_dword v47, v[13:14], off
	v_lshlrev_b64 v[19:20], 2, v[6:7]
	v_add_nc_u32_e32 v6, -15, v4
	v_add_co_u32 v13, vcc_lo, s14, v21
	v_add_co_ci_u32_e64 v14, null, s15, v22, vcc_lo
	v_lshlrev_b64 v[21:22], 2, v[6:7]
	v_add_nc_u32_e32 v6, 10, v8
	v_add_co_u32 v19, vcc_lo, s12, v19
	v_add_co_ci_u32_e64 v20, null, s13, v20, vcc_lo
	global_load_dword v48, v[13:14], off
	v_lshlrev_b64 v[13:14], 2, v[6:7]
	v_add_nc_u32_e32 v6, -2, v4
	global_load_dword v49, v[19:20], off
	v_add_co_u32 v19, vcc_lo, s12, v21
	v_add_co_ci_u32_e64 v20, null, s13, v22, vcc_lo
	v_add_co_u32 v13, vcc_lo, s14, v13
	v_lshlrev_b64 v[21:22], 2, v[6:7]
	v_add_co_ci_u32_e64 v14, null, s15, v14, vcc_lo
	v_add_nc_u32_e32 v6, -14, v4
	global_load_dword v50, v[19:20], off
	global_load_dword v51, v[13:14], off
	v_add_co_u32 v13, vcc_lo, s12, v21
	v_add_co_ci_u32_e64 v14, null, s13, v22, vcc_lo
	global_load_dword v52, v[13:14], off
	v_lshlrev_b64 v[19:20], 2, v[6:7]
	v_add_nc_u32_e32 v6, 11, v8
	v_lshlrev_b64 v[21:22], 2, v[6:7]
	v_add_nc_u32_e32 v6, -1, v4
	v_add_co_u32 v19, vcc_lo, s12, v19
	v_add_co_ci_u32_e64 v20, null, s13, v20, vcc_lo
	v_lshlrev_b64 v[13:14], 2, v[6:7]
	v_add_nc_u32_e32 v6, -13, v4
	v_add_nc_u32_e32 v4, 0x680, v4
	global_load_dword v53, v[19:20], off
	v_add_co_u32 v19, vcc_lo, s14, v21
	v_add_co_ci_u32_e64 v20, null, s15, v22, vcc_lo
	v_lshlrev_b64 v[21:22], 2, v[6:7]
	v_add_nc_u32_e32 v6, 12, v8
	v_add_co_u32 v8, vcc_lo, s12, v13
	v_add_co_ci_u32_e64 v9, null, s13, v14, vcc_lo
	v_lshlrev_b64 v[5:6], 2, v[6:7]
	global_load_dword v13, v[19:20], off
	global_load_dword v14, v[8:9], off
	v_add_co_u32 v8, vcc_lo, s12, v21
	v_add_co_ci_u32_e64 v9, null, s13, v22, vcc_lo
	v_add_co_u32 v5, vcc_lo, s14, v5
	v_add_co_ci_u32_e64 v6, null, s15, v6, vcc_lo
	s_clause 0x1
	global_load_dword v17, v[17:18], off
	global_load_dword v8, v[8:9], off
	;; [unrolled: 1-line block ×3, first 2 shown]
	v_cmp_ge_i32_e32 vcc_lo, v2, v12
	s_or_b32 s0, vcc_lo, s0
	s_waitcnt vmcnt(35)
	v_fmac_f32_e32 v10, v15, v3
	v_fmac_f32_e32 v11, v23, v3
	s_waitcnt vmcnt(34)
	v_fmac_f32_e32 v10, v16, v24
	s_waitcnt vmcnt(33)
	;; [unrolled: 2-line block ×23, first 2 shown]
	v_fmac_f32_e32 v10, v8, v5
	v_fmac_f32_e32 v11, v17, v5
	s_andn2_b32 exec_lo, exec_lo, s0
	s_cbranch_execnz .LBB59_15
; %bb.16:
	s_or_b32 exec_lo, exec_lo, s0
.LBB59_17:
	s_or_b32 exec_lo, exec_lo, s1
.LBB59_18:
	v_mbcnt_lo_u32_b32 v2, -1, 0
	s_mov_b32 s3, -1
	v_or_b32_e32 v3, 32, v2
	v_xor_b32_e32 v5, 16, v2
	v_xor_b32_e32 v7, 8, v2
	v_cmp_gt_i32_e32 vcc_lo, 32, v3
	v_cndmask_b32_e32 v3, v2, v3, vcc_lo
	v_cmp_gt_i32_e32 vcc_lo, 32, v5
	v_lshlrev_b32_e32 v3, 2, v3
	v_cndmask_b32_e32 v5, v2, v5, vcc_lo
	v_cmp_gt_i32_e32 vcc_lo, 32, v7
	ds_bpermute_b32 v4, v3, v10
	ds_bpermute_b32 v3, v3, v11
	v_lshlrev_b32_e32 v5, 2, v5
	v_cndmask_b32_e32 v7, v2, v7, vcc_lo
	v_lshlrev_b32_e32 v7, 2, v7
	s_waitcnt lgkmcnt(1)
	v_add_f32_e32 v4, v10, v4
	s_waitcnt lgkmcnt(0)
	v_add_f32_e32 v3, v11, v3
	ds_bpermute_b32 v6, v5, v4
	ds_bpermute_b32 v5, v5, v3
	s_waitcnt lgkmcnt(1)
	v_add_f32_e32 v4, v4, v6
	s_waitcnt lgkmcnt(0)
	v_add_f32_e32 v3, v3, v5
	ds_bpermute_b32 v5, v7, v4
	ds_bpermute_b32 v6, v7, v3
	v_xor_b32_e32 v7, 4, v2
	v_cmp_gt_i32_e32 vcc_lo, 32, v7
	v_cndmask_b32_e32 v7, v2, v7, vcc_lo
	v_lshlrev_b32_e32 v7, 2, v7
	s_waitcnt lgkmcnt(1)
	v_add_f32_e32 v4, v4, v5
	s_waitcnt lgkmcnt(0)
	v_add_f32_e32 v3, v3, v6
	ds_bpermute_b32 v5, v7, v4
	ds_bpermute_b32 v6, v7, v3
	v_xor_b32_e32 v7, 2, v2
	v_cmp_gt_i32_e32 vcc_lo, 32, v7
	v_cndmask_b32_e32 v7, v2, v7, vcc_lo
	v_lshlrev_b32_e32 v7, 2, v7
	s_waitcnt lgkmcnt(1)
	v_add_f32_e32 v4, v4, v5
	s_waitcnt lgkmcnt(0)
	v_add_f32_e32 v3, v3, v6
	ds_bpermute_b32 v5, v7, v4
	ds_bpermute_b32 v6, v7, v3
	v_xor_b32_e32 v7, 1, v2
	v_cmp_gt_i32_e32 vcc_lo, 32, v7
	v_cndmask_b32_e32 v2, v2, v7, vcc_lo
	v_cmp_eq_u32_e32 vcc_lo, 63, v0
	v_lshlrev_b32_e32 v7, 2, v2
	s_waitcnt lgkmcnt(1)
	v_add_f32_e32 v2, v4, v5
	s_waitcnt lgkmcnt(0)
	v_add_f32_e32 v3, v3, v6
	ds_bpermute_b32 v4, v7, v2
	ds_bpermute_b32 v5, v7, v3
	s_and_b32 exec_lo, exec_lo, vcc_lo
	s_cbranch_execz .LBB59_23
; %bb.19:
	s_load_dwordx2 s[0:1], s[4:5], 0x38
	s_waitcnt lgkmcnt(0)
	v_add_f32_e32 v0, v2, v4
	v_add_f32_e32 v3, v3, v5
	v_cmp_eq_f32_e64 s4, s2, 0
	v_mul_f32_e32 v2, s16, v0
	v_mul_f32_e32 v3, s16, v3
	v_lshlrev_b32_e32 v0, 1, v1
	s_and_b32 vcc_lo, exec_lo, s4
	s_cbranch_vccz .LBB59_21
; %bb.20:
	v_ashrrev_i32_e32 v1, 31, v0
	s_mov_b32 s3, 0
	v_lshlrev_b64 v[4:5], 2, v[0:1]
	v_add_co_u32 v4, vcc_lo, s0, v4
	v_add_co_ci_u32_e64 v5, null, s1, v5, vcc_lo
	global_store_dwordx2 v[4:5], v[2:3], off
.LBB59_21:
	s_andn2_b32 vcc_lo, exec_lo, s3
	s_cbranch_vccnz .LBB59_23
; %bb.22:
	v_ashrrev_i32_e32 v1, 31, v0
	v_lshlrev_b64 v[0:1], 2, v[0:1]
	v_add_co_u32 v0, vcc_lo, s0, v0
	v_add_co_ci_u32_e64 v1, null, s1, v1, vcc_lo
	global_load_dwordx2 v[4:5], v[0:1], off
	s_waitcnt vmcnt(0)
	v_fmac_f32_e32 v2, s2, v4
	v_fmac_f32_e32 v3, s2, v5
	global_store_dwordx2 v[0:1], v[2:3], off
.LBB59_23:
	s_endpgm
	.section	.rodata,"a",@progbits
	.p2align	6, 0x0
	.amdhsa_kernel _ZN9rocsparseL19gebsrmvn_2xn_kernelILj128ELj13ELj64EfEEvi20rocsparse_direction_NS_24const_host_device_scalarIT2_EEPKiS6_PKS3_S8_S4_PS3_21rocsparse_index_base_b
		.amdhsa_group_segment_fixed_size 0
		.amdhsa_private_segment_fixed_size 0
		.amdhsa_kernarg_size 72
		.amdhsa_user_sgpr_count 6
		.amdhsa_user_sgpr_private_segment_buffer 1
		.amdhsa_user_sgpr_dispatch_ptr 0
		.amdhsa_user_sgpr_queue_ptr 0
		.amdhsa_user_sgpr_kernarg_segment_ptr 1
		.amdhsa_user_sgpr_dispatch_id 0
		.amdhsa_user_sgpr_flat_scratch_init 0
		.amdhsa_user_sgpr_private_segment_size 0
		.amdhsa_wavefront_size32 1
		.amdhsa_uses_dynamic_stack 0
		.amdhsa_system_sgpr_private_segment_wavefront_offset 0
		.amdhsa_system_sgpr_workgroup_id_x 1
		.amdhsa_system_sgpr_workgroup_id_y 0
		.amdhsa_system_sgpr_workgroup_id_z 0
		.amdhsa_system_sgpr_workgroup_info 0
		.amdhsa_system_vgpr_workitem_id 0
		.amdhsa_next_free_vgpr 54
		.amdhsa_next_free_sgpr 20
		.amdhsa_reserve_vcc 1
		.amdhsa_reserve_flat_scratch 0
		.amdhsa_float_round_mode_32 0
		.amdhsa_float_round_mode_16_64 0
		.amdhsa_float_denorm_mode_32 3
		.amdhsa_float_denorm_mode_16_64 3
		.amdhsa_dx10_clamp 1
		.amdhsa_ieee_mode 1
		.amdhsa_fp16_overflow 0
		.amdhsa_workgroup_processor_mode 1
		.amdhsa_memory_ordered 1
		.amdhsa_forward_progress 1
		.amdhsa_shared_vgpr_count 0
		.amdhsa_exception_fp_ieee_invalid_op 0
		.amdhsa_exception_fp_denorm_src 0
		.amdhsa_exception_fp_ieee_div_zero 0
		.amdhsa_exception_fp_ieee_overflow 0
		.amdhsa_exception_fp_ieee_underflow 0
		.amdhsa_exception_fp_ieee_inexact 0
		.amdhsa_exception_int_div_zero 0
	.end_amdhsa_kernel
	.section	.text._ZN9rocsparseL19gebsrmvn_2xn_kernelILj128ELj13ELj64EfEEvi20rocsparse_direction_NS_24const_host_device_scalarIT2_EEPKiS6_PKS3_S8_S4_PS3_21rocsparse_index_base_b,"axG",@progbits,_ZN9rocsparseL19gebsrmvn_2xn_kernelILj128ELj13ELj64EfEEvi20rocsparse_direction_NS_24const_host_device_scalarIT2_EEPKiS6_PKS3_S8_S4_PS3_21rocsparse_index_base_b,comdat
.Lfunc_end59:
	.size	_ZN9rocsparseL19gebsrmvn_2xn_kernelILj128ELj13ELj64EfEEvi20rocsparse_direction_NS_24const_host_device_scalarIT2_EEPKiS6_PKS3_S8_S4_PS3_21rocsparse_index_base_b, .Lfunc_end59-_ZN9rocsparseL19gebsrmvn_2xn_kernelILj128ELj13ELj64EfEEvi20rocsparse_direction_NS_24const_host_device_scalarIT2_EEPKiS6_PKS3_S8_S4_PS3_21rocsparse_index_base_b
                                        ; -- End function
	.set _ZN9rocsparseL19gebsrmvn_2xn_kernelILj128ELj13ELj64EfEEvi20rocsparse_direction_NS_24const_host_device_scalarIT2_EEPKiS6_PKS3_S8_S4_PS3_21rocsparse_index_base_b.num_vgpr, 54
	.set _ZN9rocsparseL19gebsrmvn_2xn_kernelILj128ELj13ELj64EfEEvi20rocsparse_direction_NS_24const_host_device_scalarIT2_EEPKiS6_PKS3_S8_S4_PS3_21rocsparse_index_base_b.num_agpr, 0
	.set _ZN9rocsparseL19gebsrmvn_2xn_kernelILj128ELj13ELj64EfEEvi20rocsparse_direction_NS_24const_host_device_scalarIT2_EEPKiS6_PKS3_S8_S4_PS3_21rocsparse_index_base_b.numbered_sgpr, 20
	.set _ZN9rocsparseL19gebsrmvn_2xn_kernelILj128ELj13ELj64EfEEvi20rocsparse_direction_NS_24const_host_device_scalarIT2_EEPKiS6_PKS3_S8_S4_PS3_21rocsparse_index_base_b.num_named_barrier, 0
	.set _ZN9rocsparseL19gebsrmvn_2xn_kernelILj128ELj13ELj64EfEEvi20rocsparse_direction_NS_24const_host_device_scalarIT2_EEPKiS6_PKS3_S8_S4_PS3_21rocsparse_index_base_b.private_seg_size, 0
	.set _ZN9rocsparseL19gebsrmvn_2xn_kernelILj128ELj13ELj64EfEEvi20rocsparse_direction_NS_24const_host_device_scalarIT2_EEPKiS6_PKS3_S8_S4_PS3_21rocsparse_index_base_b.uses_vcc, 1
	.set _ZN9rocsparseL19gebsrmvn_2xn_kernelILj128ELj13ELj64EfEEvi20rocsparse_direction_NS_24const_host_device_scalarIT2_EEPKiS6_PKS3_S8_S4_PS3_21rocsparse_index_base_b.uses_flat_scratch, 0
	.set _ZN9rocsparseL19gebsrmvn_2xn_kernelILj128ELj13ELj64EfEEvi20rocsparse_direction_NS_24const_host_device_scalarIT2_EEPKiS6_PKS3_S8_S4_PS3_21rocsparse_index_base_b.has_dyn_sized_stack, 0
	.set _ZN9rocsparseL19gebsrmvn_2xn_kernelILj128ELj13ELj64EfEEvi20rocsparse_direction_NS_24const_host_device_scalarIT2_EEPKiS6_PKS3_S8_S4_PS3_21rocsparse_index_base_b.has_recursion, 0
	.set _ZN9rocsparseL19gebsrmvn_2xn_kernelILj128ELj13ELj64EfEEvi20rocsparse_direction_NS_24const_host_device_scalarIT2_EEPKiS6_PKS3_S8_S4_PS3_21rocsparse_index_base_b.has_indirect_call, 0
	.section	.AMDGPU.csdata,"",@progbits
; Kernel info:
; codeLenInByte = 3656
; TotalNumSgprs: 22
; NumVgprs: 54
; ScratchSize: 0
; MemoryBound: 0
; FloatMode: 240
; IeeeMode: 1
; LDSByteSize: 0 bytes/workgroup (compile time only)
; SGPRBlocks: 0
; VGPRBlocks: 6
; NumSGPRsForWavesPerEU: 22
; NumVGPRsForWavesPerEU: 54
; Occupancy: 16
; WaveLimiterHint : 1
; COMPUTE_PGM_RSRC2:SCRATCH_EN: 0
; COMPUTE_PGM_RSRC2:USER_SGPR: 6
; COMPUTE_PGM_RSRC2:TRAP_HANDLER: 0
; COMPUTE_PGM_RSRC2:TGID_X_EN: 1
; COMPUTE_PGM_RSRC2:TGID_Y_EN: 0
; COMPUTE_PGM_RSRC2:TGID_Z_EN: 0
; COMPUTE_PGM_RSRC2:TIDIG_COMP_CNT: 0
	.section	.text._ZN9rocsparseL19gebsrmvn_2xn_kernelILj128ELj14ELj4EfEEvi20rocsparse_direction_NS_24const_host_device_scalarIT2_EEPKiS6_PKS3_S8_S4_PS3_21rocsparse_index_base_b,"axG",@progbits,_ZN9rocsparseL19gebsrmvn_2xn_kernelILj128ELj14ELj4EfEEvi20rocsparse_direction_NS_24const_host_device_scalarIT2_EEPKiS6_PKS3_S8_S4_PS3_21rocsparse_index_base_b,comdat
	.globl	_ZN9rocsparseL19gebsrmvn_2xn_kernelILj128ELj14ELj4EfEEvi20rocsparse_direction_NS_24const_host_device_scalarIT2_EEPKiS6_PKS3_S8_S4_PS3_21rocsparse_index_base_b ; -- Begin function _ZN9rocsparseL19gebsrmvn_2xn_kernelILj128ELj14ELj4EfEEvi20rocsparse_direction_NS_24const_host_device_scalarIT2_EEPKiS6_PKS3_S8_S4_PS3_21rocsparse_index_base_b
	.p2align	8
	.type	_ZN9rocsparseL19gebsrmvn_2xn_kernelILj128ELj14ELj4EfEEvi20rocsparse_direction_NS_24const_host_device_scalarIT2_EEPKiS6_PKS3_S8_S4_PS3_21rocsparse_index_base_b,@function
_ZN9rocsparseL19gebsrmvn_2xn_kernelILj128ELj14ELj4EfEEvi20rocsparse_direction_NS_24const_host_device_scalarIT2_EEPKiS6_PKS3_S8_S4_PS3_21rocsparse_index_base_b: ; @_ZN9rocsparseL19gebsrmvn_2xn_kernelILj128ELj14ELj4EfEEvi20rocsparse_direction_NS_24const_host_device_scalarIT2_EEPKiS6_PKS3_S8_S4_PS3_21rocsparse_index_base_b
; %bb.0:
	s_clause 0x2
	s_load_dwordx2 s[18:19], s[4:5], 0x40
	s_load_dwordx2 s[16:17], s[4:5], 0x8
	;; [unrolled: 1-line block ×3, first 2 shown]
	s_waitcnt lgkmcnt(0)
	s_bitcmp1_b32 s19, 0
	s_cselect_b32 s0, -1, 0
	s_and_b32 vcc_lo, exec_lo, s0
	s_xor_b32 s0, s0, -1
	s_cbranch_vccnz .LBB60_2
; %bb.1:
	s_load_dword s16, s[16:17], 0x0
.LBB60_2:
	s_andn2_b32 vcc_lo, exec_lo, s0
	s_cbranch_vccnz .LBB60_4
; %bb.3:
	s_load_dword s2, s[2:3], 0x0
.LBB60_4:
	s_waitcnt lgkmcnt(0)
	v_cmp_eq_f32_e64 s0, s16, 0
	v_cmp_eq_f32_e64 s1, s2, 1.0
	s_and_b32 s0, s0, s1
	s_and_b32 vcc_lo, exec_lo, s0
	s_cbranch_vccnz .LBB60_23
; %bb.5:
	s_load_dwordx2 s[0:1], s[4:5], 0x0
	v_lshrrev_b32_e32 v1, 2, v0
	v_lshl_or_b32 v1, s6, 5, v1
	s_waitcnt lgkmcnt(0)
	v_cmp_gt_i32_e32 vcc_lo, s0, v1
	s_and_saveexec_b32 s0, vcc_lo
	s_cbranch_execz .LBB60_23
; %bb.6:
	s_load_dwordx8 s[8:15], s[4:5], 0x10
	v_ashrrev_i32_e32 v2, 31, v1
	v_and_b32_e32 v0, 3, v0
	s_cmp_lg_u32 s1, 0
	v_lshlrev_b64 v[2:3], 2, v[1:2]
	s_waitcnt lgkmcnt(0)
	v_add_co_u32 v2, vcc_lo, s8, v2
	v_add_co_ci_u32_e64 v3, null, s9, v3, vcc_lo
	global_load_dwordx2 v[2:3], v[2:3], off
	s_waitcnt vmcnt(0)
	v_subrev_nc_u32_e32 v2, s18, v2
	v_subrev_nc_u32_e32 v11, s18, v3
	v_add_nc_u32_e32 v2, v2, v0
	v_cmp_lt_i32_e64 s0, v2, v11
	s_cbranch_scc0 .LBB60_12
; %bb.7:
	v_mov_b32_e32 v9, 0
	v_mov_b32_e32 v10, 0
	s_and_saveexec_b32 s3, s0
	s_cbranch_execz .LBB60_11
; %bb.8:
	v_mad_u64_u32 v[3:4], null, v2, 28, 26
	v_mov_b32_e32 v6, 0
	v_mov_b32_e32 v7, v2
	v_mov_b32_e32 v9, 0
	v_mov_b32_e32 v10, 0
	s_mov_b32 s6, 0
.LBB60_9:                               ; =>This Inner Loop Header: Depth=1
	v_ashrrev_i32_e32 v8, 31, v7
	v_mov_b32_e32 v17, v6
	v_lshlrev_b64 v[4:5], 2, v[7:8]
	v_add_nc_u32_e32 v7, 4, v7
	v_add_co_u32 v4, vcc_lo, s10, v4
	v_add_co_ci_u32_e64 v5, null, s11, v5, vcc_lo
	global_load_dword v8, v[4:5], off
	v_subrev_nc_u32_e32 v5, 26, v3
	v_mov_b32_e32 v4, v6
	v_lshlrev_b64 v[12:13], 2, v[5:6]
	v_subrev_nc_u32_e32 v5, 22, v3
	v_lshlrev_b64 v[18:19], 2, v[3:4]
	v_lshlrev_b64 v[4:5], 2, v[5:6]
	v_add_co_u32 v12, vcc_lo, s12, v12
	v_add_co_ci_u32_e64 v13, null, s13, v13, vcc_lo
	v_add_co_u32 v18, vcc_lo, s12, v18
	v_add_co_u32 v4, s1, s12, v4
	v_add_co_ci_u32_e64 v5, null, s13, v5, s1
	s_clause 0x1
	global_load_dwordx4 v[12:15], v[12:13], off
	global_load_dwordx2 v[20:21], v[4:5], off
	v_add_co_ci_u32_e64 v19, null, s13, v19, vcc_lo
	v_cmp_ge_i32_e32 vcc_lo, v7, v11
	s_or_b32 s6, vcc_lo, s6
	s_waitcnt vmcnt(2)
	v_subrev_nc_u32_e32 v4, s18, v8
	v_mul_lo_u32 v16, v4, 14
	v_add_nc_u32_e32 v5, 2, v16
	v_lshlrev_b64 v[22:23], 2, v[16:17]
	v_lshlrev_b64 v[24:25], 2, v[5:6]
	v_subrev_nc_u32_e32 v5, 20, v3
	v_add_co_u32 v22, s1, s14, v22
	v_add_co_ci_u32_e64 v23, null, s15, v23, s1
	v_lshlrev_b64 v[26:27], 2, v[5:6]
	v_subrev_nc_u32_e32 v5, 18, v3
	v_add_co_u32 v24, s1, s14, v24
	global_load_dwordx2 v[22:23], v[22:23], off
	v_add_co_ci_u32_e64 v25, null, s15, v25, s1
	v_lshlrev_b64 v[28:29], 2, v[5:6]
	v_add_nc_u32_e32 v5, 4, v16
	v_add_co_u32 v26, s1, s12, v26
	v_add_co_ci_u32_e64 v27, null, s13, v27, s1
	v_lshlrev_b64 v[30:31], 2, v[5:6]
	v_add_nc_u32_e32 v5, -16, v3
	global_load_dwordx2 v[24:25], v[24:25], off
	v_add_co_u32 v28, s1, s12, v28
	v_add_co_ci_u32_e64 v29, null, s13, v29, s1
	v_lshlrev_b64 v[32:33], 2, v[5:6]
	v_add_nc_u32_e32 v5, -14, v3
	v_add_co_u32 v30, s1, s14, v30
	s_clause 0x1
	global_load_dwordx2 v[26:27], v[26:27], off
	global_load_dwordx2 v[28:29], v[28:29], off
	v_lshlrev_b64 v[34:35], 2, v[5:6]
	v_add_nc_u32_e32 v5, 6, v16
	v_add_co_ci_u32_e64 v31, null, s15, v31, s1
	v_add_co_u32 v32, s1, s12, v32
	v_lshlrev_b64 v[36:37], 2, v[5:6]
	v_add_nc_u32_e32 v5, -12, v3
	global_load_dwordx2 v[30:31], v[30:31], off
	v_add_co_ci_u32_e64 v33, null, s13, v33, s1
	v_add_co_u32 v34, s1, s12, v34
	v_lshlrev_b64 v[38:39], 2, v[5:6]
	v_add_nc_u32_e32 v5, -10, v3
	v_add_co_ci_u32_e64 v35, null, s13, v35, s1
	v_add_co_u32 v36, s1, s14, v36
	v_lshlrev_b64 v[40:41], 2, v[5:6]
	v_add_nc_u32_e32 v5, 8, v16
	s_clause 0x1
	global_load_dwordx2 v[32:33], v[32:33], off
	global_load_dwordx2 v[34:35], v[34:35], off
	v_add_co_ci_u32_e64 v37, null, s15, v37, s1
	v_lshlrev_b64 v[42:43], 2, v[5:6]
	v_add_nc_u32_e32 v5, -8, v3
	v_add_co_u32 v38, s1, s12, v38
	v_add_co_ci_u32_e64 v39, null, s13, v39, s1
	v_lshlrev_b64 v[44:45], 2, v[5:6]
	v_add_nc_u32_e32 v5, -6, v3
	global_load_dwordx2 v[36:37], v[36:37], off
	v_add_co_u32 v40, s1, s12, v40
	v_add_co_ci_u32_e64 v41, null, s13, v41, s1
	v_lshlrev_b64 v[46:47], 2, v[5:6]
	v_add_nc_u32_e32 v5, 10, v16
	v_add_co_u32 v42, s1, s14, v42
	s_clause 0x1
	global_load_dwordx2 v[38:39], v[38:39], off
	global_load_dwordx2 v[40:41], v[40:41], off
	v_lshlrev_b64 v[48:49], 2, v[5:6]
	v_add_nc_u32_e32 v5, -4, v3
	v_add_co_ci_u32_e64 v43, null, s15, v43, s1
	v_add_co_u32 v44, s1, s12, v44
	v_lshlrev_b64 v[50:51], 2, v[5:6]
	v_add_nc_u32_e32 v5, -2, v3
	global_load_dwordx2 v[42:43], v[42:43], off
	v_add_co_ci_u32_e64 v45, null, s13, v45, s1
	v_add_co_u32 v46, s1, s12, v46
	v_add_co_ci_u32_e64 v47, null, s13, v47, s1
	v_add_co_u32 v48, s1, s14, v48
	v_lshlrev_b64 v[52:53], 2, v[5:6]
	v_add_nc_u32_e32 v5, 12, v16
	s_clause 0x1
	global_load_dwordx2 v[44:45], v[44:45], off
	global_load_dwordx2 v[46:47], v[46:47], off
	v_add_co_ci_u32_e64 v49, null, s15, v49, s1
	v_add_co_u32 v16, s1, s12, v50
	v_lshlrev_b64 v[4:5], 2, v[5:6]
	v_add_co_ci_u32_e64 v17, null, s13, v51, s1
	global_load_dwordx2 v[48:49], v[48:49], off
	v_add_co_u32 v50, s1, s12, v52
	global_load_dwordx2 v[16:17], v[16:17], off
	v_add_co_ci_u32_e64 v51, null, s13, v53, s1
	v_add_co_u32 v4, s1, s14, v4
	v_add_co_ci_u32_e64 v5, null, s15, v5, s1
	global_load_dwordx2 v[50:51], v[50:51], off
	global_load_dwordx2 v[4:5], v[4:5], off
	;; [unrolled: 1-line block ×3, first 2 shown]
	v_add_nc_u32_e32 v3, 0x70, v3
	s_waitcnt vmcnt(17)
	v_fmac_f32_e32 v9, v12, v22
	v_fmac_f32_e32 v10, v13, v22
	;; [unrolled: 1-line block ×4, first 2 shown]
	s_waitcnt vmcnt(16)
	v_fmac_f32_e32 v9, v20, v24
	v_fmac_f32_e32 v10, v21, v24
	s_waitcnt vmcnt(15)
	v_fmac_f32_e32 v9, v26, v25
	v_fmac_f32_e32 v10, v27, v25
	;; [unrolled: 3-line block ×12, first 2 shown]
	s_andn2_b32 exec_lo, exec_lo, s6
	s_cbranch_execnz .LBB60_9
; %bb.10:
	s_or_b32 exec_lo, exec_lo, s6
.LBB60_11:
	s_or_b32 exec_lo, exec_lo, s3
	s_cbranch_execz .LBB60_13
	s_branch .LBB60_18
.LBB60_12:
                                        ; implicit-def: $vgpr9
                                        ; implicit-def: $vgpr10
.LBB60_13:
	v_mov_b32_e32 v9, 0
	v_mov_b32_e32 v10, 0
	s_and_saveexec_b32 s1, s0
	s_cbranch_execz .LBB60_17
; %bb.14:
	v_mad_u64_u32 v[4:5], null, v2, 28, 27
	v_mov_b32_e32 v7, 0
	v_mov_b32_e32 v9, 0
	;; [unrolled: 1-line block ×3, first 2 shown]
	s_mov_b32 s0, 0
.LBB60_15:                              ; =>This Inner Loop Header: Depth=1
	v_ashrrev_i32_e32 v3, 31, v2
	v_add_nc_u32_e32 v12, -13, v4
	v_mov_b32_e32 v13, v7
	v_mov_b32_e32 v17, v7
	v_lshlrev_b64 v[5:6], 2, v[2:3]
	v_add_nc_u32_e32 v2, 4, v2
	v_lshlrev_b64 v[12:13], 2, v[12:13]
	v_add_co_u32 v5, vcc_lo, s10, v5
	v_add_co_ci_u32_e64 v6, null, s11, v6, vcc_lo
	global_load_dword v3, v[5:6], off
	v_subrev_nc_u32_e32 v6, 27, v4
	v_mov_b32_e32 v5, v7
	v_lshlrev_b64 v[14:15], 2, v[6:7]
	v_add_nc_u32_e32 v6, -12, v4
	v_lshlrev_b64 v[18:19], 2, v[4:5]
	v_lshlrev_b64 v[5:6], 2, v[6:7]
	v_add_co_u32 v14, vcc_lo, s12, v14
	v_add_co_ci_u32_e64 v15, null, s13, v15, vcc_lo
	v_add_co_u32 v20, vcc_lo, s12, v12
	v_add_co_ci_u32_e64 v21, null, s13, v13, vcc_lo
	;; [unrolled: 2-line block ×4, first 2 shown]
	s_clause 0x2
	global_load_dwordx4 v[12:15], v[14:15], off
	global_load_dword v8, v[20:21], off
	global_load_dword v38, v[5:6], off
	s_waitcnt vmcnt(3)
	v_subrev_nc_u32_e32 v3, s18, v3
	v_mul_lo_u32 v16, v3, 14
	v_add_nc_u32_e32 v6, 2, v16
	v_lshlrev_b64 v[20:21], 2, v[16:17]
	v_lshlrev_b64 v[22:23], 2, v[6:7]
	v_add_nc_u32_e32 v6, -11, v4
	v_add_co_u32 v20, vcc_lo, s14, v20
	v_add_co_ci_u32_e64 v21, null, s15, v21, vcc_lo
	v_lshlrev_b64 v[24:25], 2, v[6:7]
	v_add_nc_u32_e32 v6, -10, v4
	v_add_co_u32 v22, vcc_lo, s14, v22
	v_add_co_ci_u32_e64 v23, null, s15, v23, vcc_lo
	v_lshlrev_b64 v[26:27], 2, v[6:7]
	v_subrev_nc_u32_e32 v6, 23, v4
	v_add_co_u32 v24, vcc_lo, s12, v24
	v_add_co_ci_u32_e64 v25, null, s13, v25, vcc_lo
	v_add_co_u32 v26, vcc_lo, s12, v26
	v_lshlrev_b64 v[28:29], 2, v[6:7]
	v_add_nc_u32_e32 v6, 4, v16
	v_add_co_ci_u32_e64 v27, null, s13, v27, vcc_lo
	global_load_dword v3, v[24:25], off
	s_clause 0x1
	global_load_dwordx2 v[20:21], v[20:21], off
	global_load_dwordx2 v[22:23], v[22:23], off
	global_load_dword v39, v[26:27], off
	v_lshlrev_b64 v[24:25], 2, v[6:7]
	v_add_nc_u32_e32 v6, -9, v4
	v_add_co_u32 v26, vcc_lo, s12, v28
	v_add_co_ci_u32_e64 v27, null, s13, v29, vcc_lo
	v_lshlrev_b64 v[28:29], 2, v[6:7]
	v_add_co_u32 v24, vcc_lo, s14, v24
	v_add_co_ci_u32_e64 v25, null, s15, v25, vcc_lo
	v_subrev_nc_u32_e32 v6, 22, v4
	v_add_co_u32 v28, vcc_lo, s12, v28
	v_add_co_ci_u32_e64 v29, null, s13, v29, vcc_lo
	global_load_dword v40, v[26:27], off
	global_load_dwordx2 v[24:25], v[24:25], off
	global_load_dword v41, v[28:29], off
	v_lshlrev_b64 v[26:27], 2, v[6:7]
	v_add_nc_u32_e32 v6, -8, v4
	v_lshlrev_b64 v[30:31], 2, v[6:7]
	v_subrev_nc_u32_e32 v6, 21, v4
	v_add_co_u32 v26, vcc_lo, s12, v26
	v_add_co_ci_u32_e64 v27, null, s13, v27, vcc_lo
	v_lshlrev_b64 v[28:29], 2, v[6:7]
	v_add_nc_u32_e32 v6, 6, v16
	global_load_dword v42, v[26:27], off
	v_add_co_u32 v26, vcc_lo, s12, v30
	v_add_co_ci_u32_e64 v27, null, s13, v31, vcc_lo
	v_add_co_u32 v28, vcc_lo, s12, v28
	v_lshlrev_b64 v[30:31], 2, v[6:7]
	v_add_nc_u32_e32 v6, -7, v4
	v_add_co_ci_u32_e64 v29, null, s13, v29, vcc_lo
	s_clause 0x1
	global_load_dword v43, v[26:27], off
	global_load_dword v44, v[28:29], off
	v_lshlrev_b64 v[26:27], 2, v[6:7]
	v_subrev_nc_u32_e32 v6, 20, v4
	v_add_co_u32 v28, vcc_lo, s14, v30
	v_add_co_ci_u32_e64 v29, null, s15, v31, vcc_lo
	v_lshlrev_b64 v[30:31], 2, v[6:7]
	v_add_nc_u32_e32 v6, -6, v4
	v_add_co_u32 v26, vcc_lo, s12, v26
	v_add_co_ci_u32_e64 v27, null, s13, v27, vcc_lo
	v_lshlrev_b64 v[32:33], 2, v[6:7]
	v_subrev_nc_u32_e32 v6, 19, v4
	global_load_dwordx2 v[28:29], v[28:29], off
	global_load_dword v45, v[26:27], off
	v_add_co_u32 v26, vcc_lo, s12, v30
	v_add_co_ci_u32_e64 v27, null, s13, v31, vcc_lo
	v_lshlrev_b64 v[30:31], 2, v[6:7]
	v_add_nc_u32_e32 v6, 8, v16
	v_add_co_u32 v32, vcc_lo, s12, v32
	v_add_co_ci_u32_e64 v33, null, s13, v33, vcc_lo
	v_add_co_u32 v30, vcc_lo, s12, v30
	global_load_dword v46, v[26:27], off
	v_lshlrev_b64 v[26:27], 2, v[6:7]
	v_add_nc_u32_e32 v6, -5, v4
	v_add_co_ci_u32_e64 v31, null, s13, v31, vcc_lo
	global_load_dword v47, v[32:33], off
	v_add_co_u32 v26, vcc_lo, s14, v26
	global_load_dword v48, v[30:31], off
	v_lshlrev_b64 v[32:33], 2, v[6:7]
	v_subrev_nc_u32_e32 v6, 18, v4
	v_add_co_ci_u32_e64 v27, null, s15, v27, vcc_lo
	v_lshlrev_b64 v[30:31], 2, v[6:7]
	v_add_nc_u32_e32 v6, -4, v4
	v_add_co_u32 v32, vcc_lo, s12, v32
	v_add_co_ci_u32_e64 v33, null, s13, v33, vcc_lo
	v_add_co_u32 v30, vcc_lo, s12, v30
	v_lshlrev_b64 v[34:35], 2, v[6:7]
	v_subrev_nc_u32_e32 v6, 17, v4
	v_add_co_ci_u32_e64 v31, null, s13, v31, vcc_lo
	global_load_dword v49, v[32:33], off
	global_load_dwordx2 v[26:27], v[26:27], off
	global_load_dword v50, v[30:31], off
	v_lshlrev_b64 v[32:33], 2, v[6:7]
	v_add_nc_u32_e32 v6, 10, v16
	v_add_co_u32 v30, vcc_lo, s12, v34
	v_add_co_ci_u32_e64 v31, null, s13, v35, vcc_lo
	v_add_co_u32 v32, vcc_lo, s12, v32
	v_lshlrev_b64 v[34:35], 2, v[6:7]
	v_add_nc_u32_e32 v6, -3, v4
	v_add_co_ci_u32_e64 v33, null, s13, v33, vcc_lo
	s_clause 0x1
	global_load_dword v51, v[30:31], off
	global_load_dword v52, v[32:33], off
	v_lshlrev_b64 v[30:31], 2, v[6:7]
	v_add_nc_u32_e32 v6, -16, v4
	v_add_co_u32 v32, vcc_lo, s14, v34
	v_add_co_ci_u32_e64 v33, null, s15, v35, vcc_lo
	v_lshlrev_b64 v[34:35], 2, v[6:7]
	v_add_nc_u32_e32 v6, -2, v4
	v_add_co_u32 v30, vcc_lo, s12, v30
	v_add_co_ci_u32_e64 v31, null, s13, v31, vcc_lo
	v_lshlrev_b64 v[36:37], 2, v[6:7]
	v_add_nc_u32_e32 v6, -15, v4
	global_load_dwordx2 v[32:33], v[32:33], off
	global_load_dword v53, v[30:31], off
	v_add_co_u32 v30, vcc_lo, s12, v34
	v_add_co_ci_u32_e64 v31, null, s13, v35, vcc_lo
	v_lshlrev_b64 v[34:35], 2, v[6:7]
	v_add_nc_u32_e32 v6, 12, v16
	v_add_co_u32 v16, vcc_lo, s12, v36
	v_add_co_ci_u32_e64 v17, null, s13, v37, vcc_lo
	global_load_dword v36, v[30:31], off
	v_lshlrev_b64 v[30:31], 2, v[6:7]
	v_add_nc_u32_e32 v6, -1, v4
	global_load_dword v37, v[16:17], off
	v_add_co_u32 v16, vcc_lo, s12, v34
	v_add_co_ci_u32_e64 v17, null, s13, v35, vcc_lo
	v_lshlrev_b64 v[34:35], 2, v[6:7]
	v_add_nc_u32_e32 v6, -14, v4
	v_add_co_u32 v30, vcc_lo, s14, v30
	v_add_co_ci_u32_e64 v31, null, s15, v31, vcc_lo
	v_lshlrev_b64 v[5:6], 2, v[6:7]
	global_load_dword v54, v[16:17], off
	v_add_nc_u32_e32 v4, 0x70, v4
	global_load_dwordx2 v[16:17], v[30:31], off
	v_add_co_u32 v30, vcc_lo, s12, v34
	v_add_co_ci_u32_e64 v31, null, s13, v35, vcc_lo
	v_add_co_u32 v5, vcc_lo, s12, v5
	v_add_co_ci_u32_e64 v6, null, s13, v6, vcc_lo
	s_clause 0x2
	global_load_dword v30, v[30:31], off
	global_load_dword v5, v[5:6], off
	;; [unrolled: 1-line block ×3, first 2 shown]
	v_cmp_ge_i32_e32 vcc_lo, v2, v11
	s_or_b32 s0, vcc_lo, s0
	s_waitcnt vmcnt(27)
	v_fmac_f32_e32 v9, v12, v20
	v_fmac_f32_e32 v10, v8, v20
	;; [unrolled: 1-line block ×4, first 2 shown]
	s_waitcnt vmcnt(26)
	v_fmac_f32_e32 v9, v14, v22
	v_fmac_f32_e32 v10, v3, v22
	;; [unrolled: 1-line block ×3, first 2 shown]
	s_waitcnt vmcnt(25)
	v_fmac_f32_e32 v10, v39, v23
	s_waitcnt vmcnt(23)
	v_fmac_f32_e32 v9, v40, v24
	;; [unrolled: 2-line block ×10, first 2 shown]
	v_fmac_f32_e32 v10, v49, v26
	s_waitcnt vmcnt(11)
	v_fmac_f32_e32 v9, v50, v27
	s_waitcnt vmcnt(10)
	;; [unrolled: 2-line block ×10, first 2 shown]
	v_fmac_f32_e32 v10, v6, v17
	s_andn2_b32 exec_lo, exec_lo, s0
	s_cbranch_execnz .LBB60_15
; %bb.16:
	s_or_b32 exec_lo, exec_lo, s0
.LBB60_17:
	s_or_b32 exec_lo, exec_lo, s1
.LBB60_18:
	v_mbcnt_lo_u32_b32 v2, -1, 0
	s_mov_b32 s3, -1
	v_xor_b32_e32 v3, 2, v2
	v_xor_b32_e32 v5, 1, v2
	v_cmp_gt_i32_e32 vcc_lo, 32, v3
	v_cndmask_b32_e32 v3, v2, v3, vcc_lo
	v_cmp_gt_i32_e32 vcc_lo, 32, v5
	v_lshlrev_b32_e32 v3, 2, v3
	v_cndmask_b32_e32 v2, v2, v5, vcc_lo
	v_cmp_eq_u32_e32 vcc_lo, 3, v0
	ds_bpermute_b32 v4, v3, v9
	ds_bpermute_b32 v3, v3, v10
	v_lshlrev_b32_e32 v5, 2, v2
	s_waitcnt lgkmcnt(1)
	v_add_f32_e32 v2, v9, v4
	s_waitcnt lgkmcnt(0)
	v_add_f32_e32 v3, v10, v3
	ds_bpermute_b32 v4, v5, v2
	ds_bpermute_b32 v5, v5, v3
	s_and_b32 exec_lo, exec_lo, vcc_lo
	s_cbranch_execz .LBB60_23
; %bb.19:
	s_load_dwordx2 s[0:1], s[4:5], 0x38
	s_waitcnt lgkmcnt(0)
	v_add_f32_e32 v0, v2, v4
	v_add_f32_e32 v3, v3, v5
	v_cmp_eq_f32_e64 s4, s2, 0
	v_mul_f32_e32 v2, s16, v0
	v_mul_f32_e32 v3, s16, v3
	v_lshlrev_b32_e32 v0, 1, v1
	s_and_b32 vcc_lo, exec_lo, s4
	s_cbranch_vccz .LBB60_21
; %bb.20:
	v_ashrrev_i32_e32 v1, 31, v0
	s_mov_b32 s3, 0
	v_lshlrev_b64 v[4:5], 2, v[0:1]
	v_add_co_u32 v4, vcc_lo, s0, v4
	v_add_co_ci_u32_e64 v5, null, s1, v5, vcc_lo
	global_store_dwordx2 v[4:5], v[2:3], off
.LBB60_21:
	s_andn2_b32 vcc_lo, exec_lo, s3
	s_cbranch_vccnz .LBB60_23
; %bb.22:
	v_ashrrev_i32_e32 v1, 31, v0
	v_lshlrev_b64 v[0:1], 2, v[0:1]
	v_add_co_u32 v0, vcc_lo, s0, v0
	v_add_co_ci_u32_e64 v1, null, s1, v1, vcc_lo
	global_load_dwordx2 v[4:5], v[0:1], off
	s_waitcnt vmcnt(0)
	v_fmac_f32_e32 v2, s2, v4
	v_fmac_f32_e32 v3, s2, v5
	global_store_dwordx2 v[0:1], v[2:3], off
.LBB60_23:
	s_endpgm
	.section	.rodata,"a",@progbits
	.p2align	6, 0x0
	.amdhsa_kernel _ZN9rocsparseL19gebsrmvn_2xn_kernelILj128ELj14ELj4EfEEvi20rocsparse_direction_NS_24const_host_device_scalarIT2_EEPKiS6_PKS3_S8_S4_PS3_21rocsparse_index_base_b
		.amdhsa_group_segment_fixed_size 0
		.amdhsa_private_segment_fixed_size 0
		.amdhsa_kernarg_size 72
		.amdhsa_user_sgpr_count 6
		.amdhsa_user_sgpr_private_segment_buffer 1
		.amdhsa_user_sgpr_dispatch_ptr 0
		.amdhsa_user_sgpr_queue_ptr 0
		.amdhsa_user_sgpr_kernarg_segment_ptr 1
		.amdhsa_user_sgpr_dispatch_id 0
		.amdhsa_user_sgpr_flat_scratch_init 0
		.amdhsa_user_sgpr_private_segment_size 0
		.amdhsa_wavefront_size32 1
		.amdhsa_uses_dynamic_stack 0
		.amdhsa_system_sgpr_private_segment_wavefront_offset 0
		.amdhsa_system_sgpr_workgroup_id_x 1
		.amdhsa_system_sgpr_workgroup_id_y 0
		.amdhsa_system_sgpr_workgroup_id_z 0
		.amdhsa_system_sgpr_workgroup_info 0
		.amdhsa_system_vgpr_workitem_id 0
		.amdhsa_next_free_vgpr 55
		.amdhsa_next_free_sgpr 20
		.amdhsa_reserve_vcc 1
		.amdhsa_reserve_flat_scratch 0
		.amdhsa_float_round_mode_32 0
		.amdhsa_float_round_mode_16_64 0
		.amdhsa_float_denorm_mode_32 3
		.amdhsa_float_denorm_mode_16_64 3
		.amdhsa_dx10_clamp 1
		.amdhsa_ieee_mode 1
		.amdhsa_fp16_overflow 0
		.amdhsa_workgroup_processor_mode 1
		.amdhsa_memory_ordered 1
		.amdhsa_forward_progress 1
		.amdhsa_shared_vgpr_count 0
		.amdhsa_exception_fp_ieee_invalid_op 0
		.amdhsa_exception_fp_denorm_src 0
		.amdhsa_exception_fp_ieee_div_zero 0
		.amdhsa_exception_fp_ieee_overflow 0
		.amdhsa_exception_fp_ieee_underflow 0
		.amdhsa_exception_fp_ieee_inexact 0
		.amdhsa_exception_int_div_zero 0
	.end_amdhsa_kernel
	.section	.text._ZN9rocsparseL19gebsrmvn_2xn_kernelILj128ELj14ELj4EfEEvi20rocsparse_direction_NS_24const_host_device_scalarIT2_EEPKiS6_PKS3_S8_S4_PS3_21rocsparse_index_base_b,"axG",@progbits,_ZN9rocsparseL19gebsrmvn_2xn_kernelILj128ELj14ELj4EfEEvi20rocsparse_direction_NS_24const_host_device_scalarIT2_EEPKiS6_PKS3_S8_S4_PS3_21rocsparse_index_base_b,comdat
.Lfunc_end60:
	.size	_ZN9rocsparseL19gebsrmvn_2xn_kernelILj128ELj14ELj4EfEEvi20rocsparse_direction_NS_24const_host_device_scalarIT2_EEPKiS6_PKS3_S8_S4_PS3_21rocsparse_index_base_b, .Lfunc_end60-_ZN9rocsparseL19gebsrmvn_2xn_kernelILj128ELj14ELj4EfEEvi20rocsparse_direction_NS_24const_host_device_scalarIT2_EEPKiS6_PKS3_S8_S4_PS3_21rocsparse_index_base_b
                                        ; -- End function
	.set _ZN9rocsparseL19gebsrmvn_2xn_kernelILj128ELj14ELj4EfEEvi20rocsparse_direction_NS_24const_host_device_scalarIT2_EEPKiS6_PKS3_S8_S4_PS3_21rocsparse_index_base_b.num_vgpr, 55
	.set _ZN9rocsparseL19gebsrmvn_2xn_kernelILj128ELj14ELj4EfEEvi20rocsparse_direction_NS_24const_host_device_scalarIT2_EEPKiS6_PKS3_S8_S4_PS3_21rocsparse_index_base_b.num_agpr, 0
	.set _ZN9rocsparseL19gebsrmvn_2xn_kernelILj128ELj14ELj4EfEEvi20rocsparse_direction_NS_24const_host_device_scalarIT2_EEPKiS6_PKS3_S8_S4_PS3_21rocsparse_index_base_b.numbered_sgpr, 20
	.set _ZN9rocsparseL19gebsrmvn_2xn_kernelILj128ELj14ELj4EfEEvi20rocsparse_direction_NS_24const_host_device_scalarIT2_EEPKiS6_PKS3_S8_S4_PS3_21rocsparse_index_base_b.num_named_barrier, 0
	.set _ZN9rocsparseL19gebsrmvn_2xn_kernelILj128ELj14ELj4EfEEvi20rocsparse_direction_NS_24const_host_device_scalarIT2_EEPKiS6_PKS3_S8_S4_PS3_21rocsparse_index_base_b.private_seg_size, 0
	.set _ZN9rocsparseL19gebsrmvn_2xn_kernelILj128ELj14ELj4EfEEvi20rocsparse_direction_NS_24const_host_device_scalarIT2_EEPKiS6_PKS3_S8_S4_PS3_21rocsparse_index_base_b.uses_vcc, 1
	.set _ZN9rocsparseL19gebsrmvn_2xn_kernelILj128ELj14ELj4EfEEvi20rocsparse_direction_NS_24const_host_device_scalarIT2_EEPKiS6_PKS3_S8_S4_PS3_21rocsparse_index_base_b.uses_flat_scratch, 0
	.set _ZN9rocsparseL19gebsrmvn_2xn_kernelILj128ELj14ELj4EfEEvi20rocsparse_direction_NS_24const_host_device_scalarIT2_EEPKiS6_PKS3_S8_S4_PS3_21rocsparse_index_base_b.has_dyn_sized_stack, 0
	.set _ZN9rocsparseL19gebsrmvn_2xn_kernelILj128ELj14ELj4EfEEvi20rocsparse_direction_NS_24const_host_device_scalarIT2_EEPKiS6_PKS3_S8_S4_PS3_21rocsparse_index_base_b.has_recursion, 0
	.set _ZN9rocsparseL19gebsrmvn_2xn_kernelILj128ELj14ELj4EfEEvi20rocsparse_direction_NS_24const_host_device_scalarIT2_EEPKiS6_PKS3_S8_S4_PS3_21rocsparse_index_base_b.has_indirect_call, 0
	.section	.AMDGPU.csdata,"",@progbits
; Kernel info:
; codeLenInByte = 3036
; TotalNumSgprs: 22
; NumVgprs: 55
; ScratchSize: 0
; MemoryBound: 0
; FloatMode: 240
; IeeeMode: 1
; LDSByteSize: 0 bytes/workgroup (compile time only)
; SGPRBlocks: 0
; VGPRBlocks: 6
; NumSGPRsForWavesPerEU: 22
; NumVGPRsForWavesPerEU: 55
; Occupancy: 16
; WaveLimiterHint : 1
; COMPUTE_PGM_RSRC2:SCRATCH_EN: 0
; COMPUTE_PGM_RSRC2:USER_SGPR: 6
; COMPUTE_PGM_RSRC2:TRAP_HANDLER: 0
; COMPUTE_PGM_RSRC2:TGID_X_EN: 1
; COMPUTE_PGM_RSRC2:TGID_Y_EN: 0
; COMPUTE_PGM_RSRC2:TGID_Z_EN: 0
; COMPUTE_PGM_RSRC2:TIDIG_COMP_CNT: 0
	.section	.text._ZN9rocsparseL19gebsrmvn_2xn_kernelILj128ELj14ELj8EfEEvi20rocsparse_direction_NS_24const_host_device_scalarIT2_EEPKiS6_PKS3_S8_S4_PS3_21rocsparse_index_base_b,"axG",@progbits,_ZN9rocsparseL19gebsrmvn_2xn_kernelILj128ELj14ELj8EfEEvi20rocsparse_direction_NS_24const_host_device_scalarIT2_EEPKiS6_PKS3_S8_S4_PS3_21rocsparse_index_base_b,comdat
	.globl	_ZN9rocsparseL19gebsrmvn_2xn_kernelILj128ELj14ELj8EfEEvi20rocsparse_direction_NS_24const_host_device_scalarIT2_EEPKiS6_PKS3_S8_S4_PS3_21rocsparse_index_base_b ; -- Begin function _ZN9rocsparseL19gebsrmvn_2xn_kernelILj128ELj14ELj8EfEEvi20rocsparse_direction_NS_24const_host_device_scalarIT2_EEPKiS6_PKS3_S8_S4_PS3_21rocsparse_index_base_b
	.p2align	8
	.type	_ZN9rocsparseL19gebsrmvn_2xn_kernelILj128ELj14ELj8EfEEvi20rocsparse_direction_NS_24const_host_device_scalarIT2_EEPKiS6_PKS3_S8_S4_PS3_21rocsparse_index_base_b,@function
_ZN9rocsparseL19gebsrmvn_2xn_kernelILj128ELj14ELj8EfEEvi20rocsparse_direction_NS_24const_host_device_scalarIT2_EEPKiS6_PKS3_S8_S4_PS3_21rocsparse_index_base_b: ; @_ZN9rocsparseL19gebsrmvn_2xn_kernelILj128ELj14ELj8EfEEvi20rocsparse_direction_NS_24const_host_device_scalarIT2_EEPKiS6_PKS3_S8_S4_PS3_21rocsparse_index_base_b
; %bb.0:
	s_clause 0x2
	s_load_dwordx2 s[18:19], s[4:5], 0x40
	s_load_dwordx2 s[16:17], s[4:5], 0x8
	;; [unrolled: 1-line block ×3, first 2 shown]
	s_waitcnt lgkmcnt(0)
	s_bitcmp1_b32 s19, 0
	s_cselect_b32 s0, -1, 0
	s_and_b32 vcc_lo, exec_lo, s0
	s_xor_b32 s0, s0, -1
	s_cbranch_vccnz .LBB61_2
; %bb.1:
	s_load_dword s16, s[16:17], 0x0
.LBB61_2:
	s_andn2_b32 vcc_lo, exec_lo, s0
	s_cbranch_vccnz .LBB61_4
; %bb.3:
	s_load_dword s2, s[2:3], 0x0
.LBB61_4:
	s_waitcnt lgkmcnt(0)
	v_cmp_eq_f32_e64 s0, s16, 0
	v_cmp_eq_f32_e64 s1, s2, 1.0
	s_and_b32 s0, s0, s1
	s_and_b32 vcc_lo, exec_lo, s0
	s_cbranch_vccnz .LBB61_23
; %bb.5:
	s_load_dwordx2 s[0:1], s[4:5], 0x0
	v_lshrrev_b32_e32 v1, 3, v0
	v_lshl_or_b32 v1, s6, 4, v1
	s_waitcnt lgkmcnt(0)
	v_cmp_gt_i32_e32 vcc_lo, s0, v1
	s_and_saveexec_b32 s0, vcc_lo
	s_cbranch_execz .LBB61_23
; %bb.6:
	s_load_dwordx8 s[8:15], s[4:5], 0x10
	v_ashrrev_i32_e32 v2, 31, v1
	v_and_b32_e32 v0, 7, v0
	s_cmp_lg_u32 s1, 0
	v_lshlrev_b64 v[2:3], 2, v[1:2]
	s_waitcnt lgkmcnt(0)
	v_add_co_u32 v2, vcc_lo, s8, v2
	v_add_co_ci_u32_e64 v3, null, s9, v3, vcc_lo
	global_load_dwordx2 v[2:3], v[2:3], off
	s_waitcnt vmcnt(0)
	v_subrev_nc_u32_e32 v2, s18, v2
	v_subrev_nc_u32_e32 v11, s18, v3
	v_add_nc_u32_e32 v2, v2, v0
	v_cmp_lt_i32_e64 s0, v2, v11
	s_cbranch_scc0 .LBB61_12
; %bb.7:
	v_mov_b32_e32 v9, 0
	v_mov_b32_e32 v10, 0
	s_and_saveexec_b32 s3, s0
	s_cbranch_execz .LBB61_11
; %bb.8:
	v_mad_u64_u32 v[3:4], null, v2, 28, 26
	v_mov_b32_e32 v6, 0
	v_mov_b32_e32 v7, v2
	;; [unrolled: 1-line block ×4, first 2 shown]
	s_mov_b32 s6, 0
.LBB61_9:                               ; =>This Inner Loop Header: Depth=1
	v_ashrrev_i32_e32 v8, 31, v7
	v_mov_b32_e32 v17, v6
	v_lshlrev_b64 v[4:5], 2, v[7:8]
	v_add_nc_u32_e32 v7, 8, v7
	v_add_co_u32 v4, vcc_lo, s10, v4
	v_add_co_ci_u32_e64 v5, null, s11, v5, vcc_lo
	global_load_dword v8, v[4:5], off
	v_subrev_nc_u32_e32 v5, 26, v3
	v_mov_b32_e32 v4, v6
	v_lshlrev_b64 v[12:13], 2, v[5:6]
	v_subrev_nc_u32_e32 v5, 22, v3
	v_lshlrev_b64 v[18:19], 2, v[3:4]
	v_lshlrev_b64 v[4:5], 2, v[5:6]
	v_add_co_u32 v12, vcc_lo, s12, v12
	v_add_co_ci_u32_e64 v13, null, s13, v13, vcc_lo
	v_add_co_u32 v18, vcc_lo, s12, v18
	v_add_co_u32 v4, s1, s12, v4
	v_add_co_ci_u32_e64 v5, null, s13, v5, s1
	s_clause 0x1
	global_load_dwordx4 v[12:15], v[12:13], off
	global_load_dwordx2 v[20:21], v[4:5], off
	v_add_co_ci_u32_e64 v19, null, s13, v19, vcc_lo
	v_cmp_ge_i32_e32 vcc_lo, v7, v11
	s_or_b32 s6, vcc_lo, s6
	s_waitcnt vmcnt(2)
	v_subrev_nc_u32_e32 v4, s18, v8
	v_mul_lo_u32 v16, v4, 14
	v_add_nc_u32_e32 v5, 2, v16
	v_lshlrev_b64 v[22:23], 2, v[16:17]
	v_lshlrev_b64 v[24:25], 2, v[5:6]
	v_subrev_nc_u32_e32 v5, 20, v3
	v_add_co_u32 v22, s1, s14, v22
	v_add_co_ci_u32_e64 v23, null, s15, v23, s1
	v_lshlrev_b64 v[26:27], 2, v[5:6]
	v_subrev_nc_u32_e32 v5, 18, v3
	v_add_co_u32 v24, s1, s14, v24
	global_load_dwordx2 v[22:23], v[22:23], off
	v_add_co_ci_u32_e64 v25, null, s15, v25, s1
	v_lshlrev_b64 v[28:29], 2, v[5:6]
	v_add_nc_u32_e32 v5, 4, v16
	v_add_co_u32 v26, s1, s12, v26
	v_add_co_ci_u32_e64 v27, null, s13, v27, s1
	v_lshlrev_b64 v[30:31], 2, v[5:6]
	v_add_nc_u32_e32 v5, -16, v3
	global_load_dwordx2 v[24:25], v[24:25], off
	v_add_co_u32 v28, s1, s12, v28
	v_add_co_ci_u32_e64 v29, null, s13, v29, s1
	v_lshlrev_b64 v[32:33], 2, v[5:6]
	v_add_nc_u32_e32 v5, -14, v3
	v_add_co_u32 v30, s1, s14, v30
	s_clause 0x1
	global_load_dwordx2 v[26:27], v[26:27], off
	global_load_dwordx2 v[28:29], v[28:29], off
	v_lshlrev_b64 v[34:35], 2, v[5:6]
	v_add_nc_u32_e32 v5, 6, v16
	v_add_co_ci_u32_e64 v31, null, s15, v31, s1
	v_add_co_u32 v32, s1, s12, v32
	v_lshlrev_b64 v[36:37], 2, v[5:6]
	v_add_nc_u32_e32 v5, -12, v3
	global_load_dwordx2 v[30:31], v[30:31], off
	v_add_co_ci_u32_e64 v33, null, s13, v33, s1
	v_add_co_u32 v34, s1, s12, v34
	v_lshlrev_b64 v[38:39], 2, v[5:6]
	v_add_nc_u32_e32 v5, -10, v3
	v_add_co_ci_u32_e64 v35, null, s13, v35, s1
	v_add_co_u32 v36, s1, s14, v36
	v_lshlrev_b64 v[40:41], 2, v[5:6]
	v_add_nc_u32_e32 v5, 8, v16
	s_clause 0x1
	global_load_dwordx2 v[32:33], v[32:33], off
	global_load_dwordx2 v[34:35], v[34:35], off
	v_add_co_ci_u32_e64 v37, null, s15, v37, s1
	v_lshlrev_b64 v[42:43], 2, v[5:6]
	v_add_nc_u32_e32 v5, -8, v3
	v_add_co_u32 v38, s1, s12, v38
	v_add_co_ci_u32_e64 v39, null, s13, v39, s1
	v_lshlrev_b64 v[44:45], 2, v[5:6]
	v_add_nc_u32_e32 v5, -6, v3
	global_load_dwordx2 v[36:37], v[36:37], off
	v_add_co_u32 v40, s1, s12, v40
	v_add_co_ci_u32_e64 v41, null, s13, v41, s1
	v_lshlrev_b64 v[46:47], 2, v[5:6]
	v_add_nc_u32_e32 v5, 10, v16
	v_add_co_u32 v42, s1, s14, v42
	s_clause 0x1
	global_load_dwordx2 v[38:39], v[38:39], off
	global_load_dwordx2 v[40:41], v[40:41], off
	v_lshlrev_b64 v[48:49], 2, v[5:6]
	v_add_nc_u32_e32 v5, -4, v3
	v_add_co_ci_u32_e64 v43, null, s15, v43, s1
	v_add_co_u32 v44, s1, s12, v44
	v_lshlrev_b64 v[50:51], 2, v[5:6]
	v_add_nc_u32_e32 v5, -2, v3
	global_load_dwordx2 v[42:43], v[42:43], off
	v_add_co_ci_u32_e64 v45, null, s13, v45, s1
	v_add_co_u32 v46, s1, s12, v46
	v_add_co_ci_u32_e64 v47, null, s13, v47, s1
	v_add_co_u32 v48, s1, s14, v48
	v_lshlrev_b64 v[52:53], 2, v[5:6]
	v_add_nc_u32_e32 v5, 12, v16
	s_clause 0x1
	global_load_dwordx2 v[44:45], v[44:45], off
	global_load_dwordx2 v[46:47], v[46:47], off
	v_add_co_ci_u32_e64 v49, null, s15, v49, s1
	v_add_co_u32 v16, s1, s12, v50
	v_lshlrev_b64 v[4:5], 2, v[5:6]
	v_add_co_ci_u32_e64 v17, null, s13, v51, s1
	global_load_dwordx2 v[48:49], v[48:49], off
	v_add_co_u32 v50, s1, s12, v52
	global_load_dwordx2 v[16:17], v[16:17], off
	v_add_co_ci_u32_e64 v51, null, s13, v53, s1
	v_add_co_u32 v4, s1, s14, v4
	v_add_co_ci_u32_e64 v5, null, s15, v5, s1
	global_load_dwordx2 v[50:51], v[50:51], off
	global_load_dwordx2 v[4:5], v[4:5], off
	global_load_dwordx2 v[18:19], v[18:19], off
	v_add_nc_u32_e32 v3, 0xe0, v3
	s_waitcnt vmcnt(17)
	v_fmac_f32_e32 v9, v12, v22
	v_fmac_f32_e32 v10, v13, v22
	;; [unrolled: 1-line block ×4, first 2 shown]
	s_waitcnt vmcnt(16)
	v_fmac_f32_e32 v9, v20, v24
	v_fmac_f32_e32 v10, v21, v24
	s_waitcnt vmcnt(15)
	v_fmac_f32_e32 v9, v26, v25
	v_fmac_f32_e32 v10, v27, v25
	;; [unrolled: 3-line block ×12, first 2 shown]
	s_andn2_b32 exec_lo, exec_lo, s6
	s_cbranch_execnz .LBB61_9
; %bb.10:
	s_or_b32 exec_lo, exec_lo, s6
.LBB61_11:
	s_or_b32 exec_lo, exec_lo, s3
	s_cbranch_execz .LBB61_13
	s_branch .LBB61_18
.LBB61_12:
                                        ; implicit-def: $vgpr9
                                        ; implicit-def: $vgpr10
.LBB61_13:
	v_mov_b32_e32 v9, 0
	v_mov_b32_e32 v10, 0
	s_and_saveexec_b32 s1, s0
	s_cbranch_execz .LBB61_17
; %bb.14:
	v_mad_u64_u32 v[4:5], null, v2, 28, 27
	v_mov_b32_e32 v7, 0
	v_mov_b32_e32 v9, 0
	v_mov_b32_e32 v10, 0
	s_mov_b32 s0, 0
.LBB61_15:                              ; =>This Inner Loop Header: Depth=1
	v_ashrrev_i32_e32 v3, 31, v2
	v_add_nc_u32_e32 v12, -13, v4
	v_mov_b32_e32 v13, v7
	v_mov_b32_e32 v17, v7
	v_lshlrev_b64 v[5:6], 2, v[2:3]
	v_add_nc_u32_e32 v2, 8, v2
	v_lshlrev_b64 v[12:13], 2, v[12:13]
	v_add_co_u32 v5, vcc_lo, s10, v5
	v_add_co_ci_u32_e64 v6, null, s11, v6, vcc_lo
	global_load_dword v3, v[5:6], off
	v_subrev_nc_u32_e32 v6, 27, v4
	v_mov_b32_e32 v5, v7
	v_lshlrev_b64 v[14:15], 2, v[6:7]
	v_add_nc_u32_e32 v6, -12, v4
	v_lshlrev_b64 v[18:19], 2, v[4:5]
	v_lshlrev_b64 v[5:6], 2, v[6:7]
	v_add_co_u32 v14, vcc_lo, s12, v14
	v_add_co_ci_u32_e64 v15, null, s13, v15, vcc_lo
	v_add_co_u32 v20, vcc_lo, s12, v12
	v_add_co_ci_u32_e64 v21, null, s13, v13, vcc_lo
	;; [unrolled: 2-line block ×4, first 2 shown]
	s_clause 0x2
	global_load_dwordx4 v[12:15], v[14:15], off
	global_load_dword v8, v[20:21], off
	global_load_dword v38, v[5:6], off
	s_waitcnt vmcnt(3)
	v_subrev_nc_u32_e32 v3, s18, v3
	v_mul_lo_u32 v16, v3, 14
	v_add_nc_u32_e32 v6, 2, v16
	v_lshlrev_b64 v[20:21], 2, v[16:17]
	v_lshlrev_b64 v[22:23], 2, v[6:7]
	v_add_nc_u32_e32 v6, -11, v4
	v_add_co_u32 v20, vcc_lo, s14, v20
	v_add_co_ci_u32_e64 v21, null, s15, v21, vcc_lo
	v_lshlrev_b64 v[24:25], 2, v[6:7]
	v_add_nc_u32_e32 v6, -10, v4
	v_add_co_u32 v22, vcc_lo, s14, v22
	v_add_co_ci_u32_e64 v23, null, s15, v23, vcc_lo
	v_lshlrev_b64 v[26:27], 2, v[6:7]
	v_subrev_nc_u32_e32 v6, 23, v4
	v_add_co_u32 v24, vcc_lo, s12, v24
	v_add_co_ci_u32_e64 v25, null, s13, v25, vcc_lo
	v_add_co_u32 v26, vcc_lo, s12, v26
	v_lshlrev_b64 v[28:29], 2, v[6:7]
	v_add_nc_u32_e32 v6, 4, v16
	v_add_co_ci_u32_e64 v27, null, s13, v27, vcc_lo
	global_load_dword v3, v[24:25], off
	s_clause 0x1
	global_load_dwordx2 v[20:21], v[20:21], off
	global_load_dwordx2 v[22:23], v[22:23], off
	global_load_dword v39, v[26:27], off
	v_lshlrev_b64 v[24:25], 2, v[6:7]
	v_add_nc_u32_e32 v6, -9, v4
	v_add_co_u32 v26, vcc_lo, s12, v28
	v_add_co_ci_u32_e64 v27, null, s13, v29, vcc_lo
	v_lshlrev_b64 v[28:29], 2, v[6:7]
	v_add_co_u32 v24, vcc_lo, s14, v24
	v_add_co_ci_u32_e64 v25, null, s15, v25, vcc_lo
	v_subrev_nc_u32_e32 v6, 22, v4
	v_add_co_u32 v28, vcc_lo, s12, v28
	v_add_co_ci_u32_e64 v29, null, s13, v29, vcc_lo
	global_load_dword v40, v[26:27], off
	global_load_dwordx2 v[24:25], v[24:25], off
	global_load_dword v41, v[28:29], off
	v_lshlrev_b64 v[26:27], 2, v[6:7]
	v_add_nc_u32_e32 v6, -8, v4
	v_lshlrev_b64 v[30:31], 2, v[6:7]
	v_subrev_nc_u32_e32 v6, 21, v4
	v_add_co_u32 v26, vcc_lo, s12, v26
	v_add_co_ci_u32_e64 v27, null, s13, v27, vcc_lo
	v_lshlrev_b64 v[28:29], 2, v[6:7]
	v_add_nc_u32_e32 v6, 6, v16
	global_load_dword v42, v[26:27], off
	v_add_co_u32 v26, vcc_lo, s12, v30
	v_add_co_ci_u32_e64 v27, null, s13, v31, vcc_lo
	v_add_co_u32 v28, vcc_lo, s12, v28
	v_lshlrev_b64 v[30:31], 2, v[6:7]
	v_add_nc_u32_e32 v6, -7, v4
	v_add_co_ci_u32_e64 v29, null, s13, v29, vcc_lo
	s_clause 0x1
	global_load_dword v43, v[26:27], off
	global_load_dword v44, v[28:29], off
	v_lshlrev_b64 v[26:27], 2, v[6:7]
	v_subrev_nc_u32_e32 v6, 20, v4
	v_add_co_u32 v28, vcc_lo, s14, v30
	v_add_co_ci_u32_e64 v29, null, s15, v31, vcc_lo
	v_lshlrev_b64 v[30:31], 2, v[6:7]
	v_add_nc_u32_e32 v6, -6, v4
	v_add_co_u32 v26, vcc_lo, s12, v26
	v_add_co_ci_u32_e64 v27, null, s13, v27, vcc_lo
	v_lshlrev_b64 v[32:33], 2, v[6:7]
	v_subrev_nc_u32_e32 v6, 19, v4
	global_load_dwordx2 v[28:29], v[28:29], off
	global_load_dword v45, v[26:27], off
	v_add_co_u32 v26, vcc_lo, s12, v30
	v_add_co_ci_u32_e64 v27, null, s13, v31, vcc_lo
	v_lshlrev_b64 v[30:31], 2, v[6:7]
	v_add_nc_u32_e32 v6, 8, v16
	v_add_co_u32 v32, vcc_lo, s12, v32
	v_add_co_ci_u32_e64 v33, null, s13, v33, vcc_lo
	v_add_co_u32 v30, vcc_lo, s12, v30
	global_load_dword v46, v[26:27], off
	v_lshlrev_b64 v[26:27], 2, v[6:7]
	v_add_nc_u32_e32 v6, -5, v4
	v_add_co_ci_u32_e64 v31, null, s13, v31, vcc_lo
	global_load_dword v47, v[32:33], off
	v_add_co_u32 v26, vcc_lo, s14, v26
	global_load_dword v48, v[30:31], off
	v_lshlrev_b64 v[32:33], 2, v[6:7]
	v_subrev_nc_u32_e32 v6, 18, v4
	v_add_co_ci_u32_e64 v27, null, s15, v27, vcc_lo
	v_lshlrev_b64 v[30:31], 2, v[6:7]
	v_add_nc_u32_e32 v6, -4, v4
	v_add_co_u32 v32, vcc_lo, s12, v32
	v_add_co_ci_u32_e64 v33, null, s13, v33, vcc_lo
	v_add_co_u32 v30, vcc_lo, s12, v30
	v_lshlrev_b64 v[34:35], 2, v[6:7]
	v_subrev_nc_u32_e32 v6, 17, v4
	v_add_co_ci_u32_e64 v31, null, s13, v31, vcc_lo
	global_load_dword v49, v[32:33], off
	global_load_dwordx2 v[26:27], v[26:27], off
	global_load_dword v50, v[30:31], off
	v_lshlrev_b64 v[32:33], 2, v[6:7]
	v_add_nc_u32_e32 v6, 10, v16
	v_add_co_u32 v30, vcc_lo, s12, v34
	v_add_co_ci_u32_e64 v31, null, s13, v35, vcc_lo
	v_add_co_u32 v32, vcc_lo, s12, v32
	v_lshlrev_b64 v[34:35], 2, v[6:7]
	v_add_nc_u32_e32 v6, -3, v4
	v_add_co_ci_u32_e64 v33, null, s13, v33, vcc_lo
	s_clause 0x1
	global_load_dword v51, v[30:31], off
	global_load_dword v52, v[32:33], off
	v_lshlrev_b64 v[30:31], 2, v[6:7]
	v_add_nc_u32_e32 v6, -16, v4
	v_add_co_u32 v32, vcc_lo, s14, v34
	v_add_co_ci_u32_e64 v33, null, s15, v35, vcc_lo
	v_lshlrev_b64 v[34:35], 2, v[6:7]
	v_add_nc_u32_e32 v6, -2, v4
	v_add_co_u32 v30, vcc_lo, s12, v30
	v_add_co_ci_u32_e64 v31, null, s13, v31, vcc_lo
	v_lshlrev_b64 v[36:37], 2, v[6:7]
	v_add_nc_u32_e32 v6, -15, v4
	global_load_dwordx2 v[32:33], v[32:33], off
	global_load_dword v53, v[30:31], off
	v_add_co_u32 v30, vcc_lo, s12, v34
	v_add_co_ci_u32_e64 v31, null, s13, v35, vcc_lo
	v_lshlrev_b64 v[34:35], 2, v[6:7]
	v_add_nc_u32_e32 v6, 12, v16
	v_add_co_u32 v16, vcc_lo, s12, v36
	v_add_co_ci_u32_e64 v17, null, s13, v37, vcc_lo
	global_load_dword v36, v[30:31], off
	v_lshlrev_b64 v[30:31], 2, v[6:7]
	v_add_nc_u32_e32 v6, -1, v4
	global_load_dword v37, v[16:17], off
	v_add_co_u32 v16, vcc_lo, s12, v34
	v_add_co_ci_u32_e64 v17, null, s13, v35, vcc_lo
	v_lshlrev_b64 v[34:35], 2, v[6:7]
	v_add_nc_u32_e32 v6, -14, v4
	v_add_co_u32 v30, vcc_lo, s14, v30
	v_add_co_ci_u32_e64 v31, null, s15, v31, vcc_lo
	v_lshlrev_b64 v[5:6], 2, v[6:7]
	global_load_dword v54, v[16:17], off
	v_add_nc_u32_e32 v4, 0xe0, v4
	global_load_dwordx2 v[16:17], v[30:31], off
	v_add_co_u32 v30, vcc_lo, s12, v34
	v_add_co_ci_u32_e64 v31, null, s13, v35, vcc_lo
	v_add_co_u32 v5, vcc_lo, s12, v5
	v_add_co_ci_u32_e64 v6, null, s13, v6, vcc_lo
	s_clause 0x2
	global_load_dword v30, v[30:31], off
	global_load_dword v5, v[5:6], off
	;; [unrolled: 1-line block ×3, first 2 shown]
	v_cmp_ge_i32_e32 vcc_lo, v2, v11
	s_or_b32 s0, vcc_lo, s0
	s_waitcnt vmcnt(27)
	v_fmac_f32_e32 v9, v12, v20
	v_fmac_f32_e32 v10, v8, v20
	;; [unrolled: 1-line block ×4, first 2 shown]
	s_waitcnt vmcnt(26)
	v_fmac_f32_e32 v9, v14, v22
	v_fmac_f32_e32 v10, v3, v22
	;; [unrolled: 1-line block ×3, first 2 shown]
	s_waitcnt vmcnt(25)
	v_fmac_f32_e32 v10, v39, v23
	s_waitcnt vmcnt(23)
	v_fmac_f32_e32 v9, v40, v24
	;; [unrolled: 2-line block ×10, first 2 shown]
	v_fmac_f32_e32 v10, v49, v26
	s_waitcnt vmcnt(11)
	v_fmac_f32_e32 v9, v50, v27
	s_waitcnt vmcnt(10)
	;; [unrolled: 2-line block ×10, first 2 shown]
	v_fmac_f32_e32 v10, v6, v17
	s_andn2_b32 exec_lo, exec_lo, s0
	s_cbranch_execnz .LBB61_15
; %bb.16:
	s_or_b32 exec_lo, exec_lo, s0
.LBB61_17:
	s_or_b32 exec_lo, exec_lo, s1
.LBB61_18:
	v_mbcnt_lo_u32_b32 v2, -1, 0
	s_mov_b32 s3, -1
	v_xor_b32_e32 v3, 4, v2
	v_xor_b32_e32 v5, 2, v2
	;; [unrolled: 1-line block ×3, first 2 shown]
	v_cmp_gt_i32_e32 vcc_lo, 32, v3
	v_cndmask_b32_e32 v3, v2, v3, vcc_lo
	v_cmp_gt_i32_e32 vcc_lo, 32, v5
	v_lshlrev_b32_e32 v3, 2, v3
	v_cndmask_b32_e32 v5, v2, v5, vcc_lo
	v_cmp_gt_i32_e32 vcc_lo, 32, v7
	ds_bpermute_b32 v4, v3, v9
	ds_bpermute_b32 v3, v3, v10
	v_lshlrev_b32_e32 v5, 2, v5
	v_cndmask_b32_e32 v2, v2, v7, vcc_lo
	v_cmp_eq_u32_e32 vcc_lo, 7, v0
	v_lshlrev_b32_e32 v7, 2, v2
	s_waitcnt lgkmcnt(1)
	v_add_f32_e32 v4, v9, v4
	s_waitcnt lgkmcnt(0)
	v_add_f32_e32 v3, v10, v3
	ds_bpermute_b32 v6, v5, v4
	ds_bpermute_b32 v5, v5, v3
	s_waitcnt lgkmcnt(1)
	v_add_f32_e32 v2, v4, v6
	s_waitcnt lgkmcnt(0)
	v_add_f32_e32 v3, v3, v5
	ds_bpermute_b32 v4, v7, v2
	ds_bpermute_b32 v5, v7, v3
	s_and_b32 exec_lo, exec_lo, vcc_lo
	s_cbranch_execz .LBB61_23
; %bb.19:
	s_load_dwordx2 s[0:1], s[4:5], 0x38
	s_waitcnt lgkmcnt(0)
	v_add_f32_e32 v0, v2, v4
	v_add_f32_e32 v3, v3, v5
	v_cmp_eq_f32_e64 s4, s2, 0
	v_mul_f32_e32 v2, s16, v0
	v_mul_f32_e32 v3, s16, v3
	v_lshlrev_b32_e32 v0, 1, v1
	s_and_b32 vcc_lo, exec_lo, s4
	s_cbranch_vccz .LBB61_21
; %bb.20:
	v_ashrrev_i32_e32 v1, 31, v0
	s_mov_b32 s3, 0
	v_lshlrev_b64 v[4:5], 2, v[0:1]
	v_add_co_u32 v4, vcc_lo, s0, v4
	v_add_co_ci_u32_e64 v5, null, s1, v5, vcc_lo
	global_store_dwordx2 v[4:5], v[2:3], off
.LBB61_21:
	s_andn2_b32 vcc_lo, exec_lo, s3
	s_cbranch_vccnz .LBB61_23
; %bb.22:
	v_ashrrev_i32_e32 v1, 31, v0
	v_lshlrev_b64 v[0:1], 2, v[0:1]
	v_add_co_u32 v0, vcc_lo, s0, v0
	v_add_co_ci_u32_e64 v1, null, s1, v1, vcc_lo
	global_load_dwordx2 v[4:5], v[0:1], off
	s_waitcnt vmcnt(0)
	v_fmac_f32_e32 v2, s2, v4
	v_fmac_f32_e32 v3, s2, v5
	global_store_dwordx2 v[0:1], v[2:3], off
.LBB61_23:
	s_endpgm
	.section	.rodata,"a",@progbits
	.p2align	6, 0x0
	.amdhsa_kernel _ZN9rocsparseL19gebsrmvn_2xn_kernelILj128ELj14ELj8EfEEvi20rocsparse_direction_NS_24const_host_device_scalarIT2_EEPKiS6_PKS3_S8_S4_PS3_21rocsparse_index_base_b
		.amdhsa_group_segment_fixed_size 0
		.amdhsa_private_segment_fixed_size 0
		.amdhsa_kernarg_size 72
		.amdhsa_user_sgpr_count 6
		.amdhsa_user_sgpr_private_segment_buffer 1
		.amdhsa_user_sgpr_dispatch_ptr 0
		.amdhsa_user_sgpr_queue_ptr 0
		.amdhsa_user_sgpr_kernarg_segment_ptr 1
		.amdhsa_user_sgpr_dispatch_id 0
		.amdhsa_user_sgpr_flat_scratch_init 0
		.amdhsa_user_sgpr_private_segment_size 0
		.amdhsa_wavefront_size32 1
		.amdhsa_uses_dynamic_stack 0
		.amdhsa_system_sgpr_private_segment_wavefront_offset 0
		.amdhsa_system_sgpr_workgroup_id_x 1
		.amdhsa_system_sgpr_workgroup_id_y 0
		.amdhsa_system_sgpr_workgroup_id_z 0
		.amdhsa_system_sgpr_workgroup_info 0
		.amdhsa_system_vgpr_workitem_id 0
		.amdhsa_next_free_vgpr 55
		.amdhsa_next_free_sgpr 20
		.amdhsa_reserve_vcc 1
		.amdhsa_reserve_flat_scratch 0
		.amdhsa_float_round_mode_32 0
		.amdhsa_float_round_mode_16_64 0
		.amdhsa_float_denorm_mode_32 3
		.amdhsa_float_denorm_mode_16_64 3
		.amdhsa_dx10_clamp 1
		.amdhsa_ieee_mode 1
		.amdhsa_fp16_overflow 0
		.amdhsa_workgroup_processor_mode 1
		.amdhsa_memory_ordered 1
		.amdhsa_forward_progress 1
		.amdhsa_shared_vgpr_count 0
		.amdhsa_exception_fp_ieee_invalid_op 0
		.amdhsa_exception_fp_denorm_src 0
		.amdhsa_exception_fp_ieee_div_zero 0
		.amdhsa_exception_fp_ieee_overflow 0
		.amdhsa_exception_fp_ieee_underflow 0
		.amdhsa_exception_fp_ieee_inexact 0
		.amdhsa_exception_int_div_zero 0
	.end_amdhsa_kernel
	.section	.text._ZN9rocsparseL19gebsrmvn_2xn_kernelILj128ELj14ELj8EfEEvi20rocsparse_direction_NS_24const_host_device_scalarIT2_EEPKiS6_PKS3_S8_S4_PS3_21rocsparse_index_base_b,"axG",@progbits,_ZN9rocsparseL19gebsrmvn_2xn_kernelILj128ELj14ELj8EfEEvi20rocsparse_direction_NS_24const_host_device_scalarIT2_EEPKiS6_PKS3_S8_S4_PS3_21rocsparse_index_base_b,comdat
.Lfunc_end61:
	.size	_ZN9rocsparseL19gebsrmvn_2xn_kernelILj128ELj14ELj8EfEEvi20rocsparse_direction_NS_24const_host_device_scalarIT2_EEPKiS6_PKS3_S8_S4_PS3_21rocsparse_index_base_b, .Lfunc_end61-_ZN9rocsparseL19gebsrmvn_2xn_kernelILj128ELj14ELj8EfEEvi20rocsparse_direction_NS_24const_host_device_scalarIT2_EEPKiS6_PKS3_S8_S4_PS3_21rocsparse_index_base_b
                                        ; -- End function
	.set _ZN9rocsparseL19gebsrmvn_2xn_kernelILj128ELj14ELj8EfEEvi20rocsparse_direction_NS_24const_host_device_scalarIT2_EEPKiS6_PKS3_S8_S4_PS3_21rocsparse_index_base_b.num_vgpr, 55
	.set _ZN9rocsparseL19gebsrmvn_2xn_kernelILj128ELj14ELj8EfEEvi20rocsparse_direction_NS_24const_host_device_scalarIT2_EEPKiS6_PKS3_S8_S4_PS3_21rocsparse_index_base_b.num_agpr, 0
	.set _ZN9rocsparseL19gebsrmvn_2xn_kernelILj128ELj14ELj8EfEEvi20rocsparse_direction_NS_24const_host_device_scalarIT2_EEPKiS6_PKS3_S8_S4_PS3_21rocsparse_index_base_b.numbered_sgpr, 20
	.set _ZN9rocsparseL19gebsrmvn_2xn_kernelILj128ELj14ELj8EfEEvi20rocsparse_direction_NS_24const_host_device_scalarIT2_EEPKiS6_PKS3_S8_S4_PS3_21rocsparse_index_base_b.num_named_barrier, 0
	.set _ZN9rocsparseL19gebsrmvn_2xn_kernelILj128ELj14ELj8EfEEvi20rocsparse_direction_NS_24const_host_device_scalarIT2_EEPKiS6_PKS3_S8_S4_PS3_21rocsparse_index_base_b.private_seg_size, 0
	.set _ZN9rocsparseL19gebsrmvn_2xn_kernelILj128ELj14ELj8EfEEvi20rocsparse_direction_NS_24const_host_device_scalarIT2_EEPKiS6_PKS3_S8_S4_PS3_21rocsparse_index_base_b.uses_vcc, 1
	.set _ZN9rocsparseL19gebsrmvn_2xn_kernelILj128ELj14ELj8EfEEvi20rocsparse_direction_NS_24const_host_device_scalarIT2_EEPKiS6_PKS3_S8_S4_PS3_21rocsparse_index_base_b.uses_flat_scratch, 0
	.set _ZN9rocsparseL19gebsrmvn_2xn_kernelILj128ELj14ELj8EfEEvi20rocsparse_direction_NS_24const_host_device_scalarIT2_EEPKiS6_PKS3_S8_S4_PS3_21rocsparse_index_base_b.has_dyn_sized_stack, 0
	.set _ZN9rocsparseL19gebsrmvn_2xn_kernelILj128ELj14ELj8EfEEvi20rocsparse_direction_NS_24const_host_device_scalarIT2_EEPKiS6_PKS3_S8_S4_PS3_21rocsparse_index_base_b.has_recursion, 0
	.set _ZN9rocsparseL19gebsrmvn_2xn_kernelILj128ELj14ELj8EfEEvi20rocsparse_direction_NS_24const_host_device_scalarIT2_EEPKiS6_PKS3_S8_S4_PS3_21rocsparse_index_base_b.has_indirect_call, 0
	.section	.AMDGPU.csdata,"",@progbits
; Kernel info:
; codeLenInByte = 3084
; TotalNumSgprs: 22
; NumVgprs: 55
; ScratchSize: 0
; MemoryBound: 0
; FloatMode: 240
; IeeeMode: 1
; LDSByteSize: 0 bytes/workgroup (compile time only)
; SGPRBlocks: 0
; VGPRBlocks: 6
; NumSGPRsForWavesPerEU: 22
; NumVGPRsForWavesPerEU: 55
; Occupancy: 16
; WaveLimiterHint : 1
; COMPUTE_PGM_RSRC2:SCRATCH_EN: 0
; COMPUTE_PGM_RSRC2:USER_SGPR: 6
; COMPUTE_PGM_RSRC2:TRAP_HANDLER: 0
; COMPUTE_PGM_RSRC2:TGID_X_EN: 1
; COMPUTE_PGM_RSRC2:TGID_Y_EN: 0
; COMPUTE_PGM_RSRC2:TGID_Z_EN: 0
; COMPUTE_PGM_RSRC2:TIDIG_COMP_CNT: 0
	.section	.text._ZN9rocsparseL19gebsrmvn_2xn_kernelILj128ELj14ELj16EfEEvi20rocsparse_direction_NS_24const_host_device_scalarIT2_EEPKiS6_PKS3_S8_S4_PS3_21rocsparse_index_base_b,"axG",@progbits,_ZN9rocsparseL19gebsrmvn_2xn_kernelILj128ELj14ELj16EfEEvi20rocsparse_direction_NS_24const_host_device_scalarIT2_EEPKiS6_PKS3_S8_S4_PS3_21rocsparse_index_base_b,comdat
	.globl	_ZN9rocsparseL19gebsrmvn_2xn_kernelILj128ELj14ELj16EfEEvi20rocsparse_direction_NS_24const_host_device_scalarIT2_EEPKiS6_PKS3_S8_S4_PS3_21rocsparse_index_base_b ; -- Begin function _ZN9rocsparseL19gebsrmvn_2xn_kernelILj128ELj14ELj16EfEEvi20rocsparse_direction_NS_24const_host_device_scalarIT2_EEPKiS6_PKS3_S8_S4_PS3_21rocsparse_index_base_b
	.p2align	8
	.type	_ZN9rocsparseL19gebsrmvn_2xn_kernelILj128ELj14ELj16EfEEvi20rocsparse_direction_NS_24const_host_device_scalarIT2_EEPKiS6_PKS3_S8_S4_PS3_21rocsparse_index_base_b,@function
_ZN9rocsparseL19gebsrmvn_2xn_kernelILj128ELj14ELj16EfEEvi20rocsparse_direction_NS_24const_host_device_scalarIT2_EEPKiS6_PKS3_S8_S4_PS3_21rocsparse_index_base_b: ; @_ZN9rocsparseL19gebsrmvn_2xn_kernelILj128ELj14ELj16EfEEvi20rocsparse_direction_NS_24const_host_device_scalarIT2_EEPKiS6_PKS3_S8_S4_PS3_21rocsparse_index_base_b
; %bb.0:
	s_clause 0x2
	s_load_dwordx2 s[18:19], s[4:5], 0x40
	s_load_dwordx2 s[16:17], s[4:5], 0x8
	;; [unrolled: 1-line block ×3, first 2 shown]
	s_waitcnt lgkmcnt(0)
	s_bitcmp1_b32 s19, 0
	s_cselect_b32 s0, -1, 0
	s_and_b32 vcc_lo, exec_lo, s0
	s_xor_b32 s0, s0, -1
	s_cbranch_vccnz .LBB62_2
; %bb.1:
	s_load_dword s16, s[16:17], 0x0
.LBB62_2:
	s_andn2_b32 vcc_lo, exec_lo, s0
	s_cbranch_vccnz .LBB62_4
; %bb.3:
	s_load_dword s2, s[2:3], 0x0
.LBB62_4:
	s_waitcnt lgkmcnt(0)
	v_cmp_eq_f32_e64 s0, s16, 0
	v_cmp_eq_f32_e64 s1, s2, 1.0
	s_and_b32 s0, s0, s1
	s_and_b32 vcc_lo, exec_lo, s0
	s_cbranch_vccnz .LBB62_23
; %bb.5:
	s_load_dwordx2 s[0:1], s[4:5], 0x0
	v_lshrrev_b32_e32 v1, 4, v0
	v_lshl_or_b32 v1, s6, 3, v1
	s_waitcnt lgkmcnt(0)
	v_cmp_gt_i32_e32 vcc_lo, s0, v1
	s_and_saveexec_b32 s0, vcc_lo
	s_cbranch_execz .LBB62_23
; %bb.6:
	s_load_dwordx8 s[8:15], s[4:5], 0x10
	v_ashrrev_i32_e32 v2, 31, v1
	v_and_b32_e32 v0, 15, v0
	s_cmp_lg_u32 s1, 0
	v_lshlrev_b64 v[2:3], 2, v[1:2]
	s_waitcnt lgkmcnt(0)
	v_add_co_u32 v2, vcc_lo, s8, v2
	v_add_co_ci_u32_e64 v3, null, s9, v3, vcc_lo
	global_load_dwordx2 v[2:3], v[2:3], off
	s_waitcnt vmcnt(0)
	v_subrev_nc_u32_e32 v2, s18, v2
	v_subrev_nc_u32_e32 v11, s18, v3
	v_add_nc_u32_e32 v2, v2, v0
	v_cmp_lt_i32_e64 s0, v2, v11
	s_cbranch_scc0 .LBB62_12
; %bb.7:
	v_mov_b32_e32 v9, 0
	v_mov_b32_e32 v10, 0
	s_and_saveexec_b32 s3, s0
	s_cbranch_execz .LBB62_11
; %bb.8:
	v_mad_u64_u32 v[3:4], null, v2, 28, 26
	v_mov_b32_e32 v6, 0
	v_mov_b32_e32 v7, v2
	;; [unrolled: 1-line block ×4, first 2 shown]
	s_mov_b32 s6, 0
.LBB62_9:                               ; =>This Inner Loop Header: Depth=1
	v_ashrrev_i32_e32 v8, 31, v7
	v_mov_b32_e32 v17, v6
	v_lshlrev_b64 v[4:5], 2, v[7:8]
	v_add_nc_u32_e32 v7, 16, v7
	v_add_co_u32 v4, vcc_lo, s10, v4
	v_add_co_ci_u32_e64 v5, null, s11, v5, vcc_lo
	global_load_dword v8, v[4:5], off
	v_subrev_nc_u32_e32 v5, 26, v3
	v_mov_b32_e32 v4, v6
	v_lshlrev_b64 v[12:13], 2, v[5:6]
	v_subrev_nc_u32_e32 v5, 22, v3
	v_lshlrev_b64 v[18:19], 2, v[3:4]
	v_lshlrev_b64 v[4:5], 2, v[5:6]
	v_add_co_u32 v12, vcc_lo, s12, v12
	v_add_co_ci_u32_e64 v13, null, s13, v13, vcc_lo
	v_add_co_u32 v18, vcc_lo, s12, v18
	v_add_co_u32 v4, s1, s12, v4
	v_add_co_ci_u32_e64 v5, null, s13, v5, s1
	s_clause 0x1
	global_load_dwordx4 v[12:15], v[12:13], off
	global_load_dwordx2 v[20:21], v[4:5], off
	v_add_co_ci_u32_e64 v19, null, s13, v19, vcc_lo
	v_cmp_ge_i32_e32 vcc_lo, v7, v11
	s_or_b32 s6, vcc_lo, s6
	s_waitcnt vmcnt(2)
	v_subrev_nc_u32_e32 v4, s18, v8
	v_mul_lo_u32 v16, v4, 14
	v_add_nc_u32_e32 v5, 2, v16
	v_lshlrev_b64 v[22:23], 2, v[16:17]
	v_lshlrev_b64 v[24:25], 2, v[5:6]
	v_subrev_nc_u32_e32 v5, 20, v3
	v_add_co_u32 v22, s1, s14, v22
	v_add_co_ci_u32_e64 v23, null, s15, v23, s1
	v_lshlrev_b64 v[26:27], 2, v[5:6]
	v_subrev_nc_u32_e32 v5, 18, v3
	v_add_co_u32 v24, s1, s14, v24
	global_load_dwordx2 v[22:23], v[22:23], off
	v_add_co_ci_u32_e64 v25, null, s15, v25, s1
	v_lshlrev_b64 v[28:29], 2, v[5:6]
	v_add_nc_u32_e32 v5, 4, v16
	v_add_co_u32 v26, s1, s12, v26
	v_add_co_ci_u32_e64 v27, null, s13, v27, s1
	v_lshlrev_b64 v[30:31], 2, v[5:6]
	v_add_nc_u32_e32 v5, -16, v3
	global_load_dwordx2 v[24:25], v[24:25], off
	v_add_co_u32 v28, s1, s12, v28
	v_add_co_ci_u32_e64 v29, null, s13, v29, s1
	v_lshlrev_b64 v[32:33], 2, v[5:6]
	v_add_nc_u32_e32 v5, -14, v3
	v_add_co_u32 v30, s1, s14, v30
	s_clause 0x1
	global_load_dwordx2 v[26:27], v[26:27], off
	global_load_dwordx2 v[28:29], v[28:29], off
	v_lshlrev_b64 v[34:35], 2, v[5:6]
	v_add_nc_u32_e32 v5, 6, v16
	v_add_co_ci_u32_e64 v31, null, s15, v31, s1
	v_add_co_u32 v32, s1, s12, v32
	v_lshlrev_b64 v[36:37], 2, v[5:6]
	v_add_nc_u32_e32 v5, -12, v3
	global_load_dwordx2 v[30:31], v[30:31], off
	v_add_co_ci_u32_e64 v33, null, s13, v33, s1
	v_add_co_u32 v34, s1, s12, v34
	v_lshlrev_b64 v[38:39], 2, v[5:6]
	v_add_nc_u32_e32 v5, -10, v3
	v_add_co_ci_u32_e64 v35, null, s13, v35, s1
	v_add_co_u32 v36, s1, s14, v36
	v_lshlrev_b64 v[40:41], 2, v[5:6]
	v_add_nc_u32_e32 v5, 8, v16
	s_clause 0x1
	global_load_dwordx2 v[32:33], v[32:33], off
	global_load_dwordx2 v[34:35], v[34:35], off
	v_add_co_ci_u32_e64 v37, null, s15, v37, s1
	v_lshlrev_b64 v[42:43], 2, v[5:6]
	v_add_nc_u32_e32 v5, -8, v3
	v_add_co_u32 v38, s1, s12, v38
	v_add_co_ci_u32_e64 v39, null, s13, v39, s1
	v_lshlrev_b64 v[44:45], 2, v[5:6]
	v_add_nc_u32_e32 v5, -6, v3
	global_load_dwordx2 v[36:37], v[36:37], off
	v_add_co_u32 v40, s1, s12, v40
	v_add_co_ci_u32_e64 v41, null, s13, v41, s1
	v_lshlrev_b64 v[46:47], 2, v[5:6]
	v_add_nc_u32_e32 v5, 10, v16
	v_add_co_u32 v42, s1, s14, v42
	s_clause 0x1
	global_load_dwordx2 v[38:39], v[38:39], off
	global_load_dwordx2 v[40:41], v[40:41], off
	v_lshlrev_b64 v[48:49], 2, v[5:6]
	v_add_nc_u32_e32 v5, -4, v3
	v_add_co_ci_u32_e64 v43, null, s15, v43, s1
	v_add_co_u32 v44, s1, s12, v44
	v_lshlrev_b64 v[50:51], 2, v[5:6]
	v_add_nc_u32_e32 v5, -2, v3
	global_load_dwordx2 v[42:43], v[42:43], off
	v_add_co_ci_u32_e64 v45, null, s13, v45, s1
	v_add_co_u32 v46, s1, s12, v46
	v_add_co_ci_u32_e64 v47, null, s13, v47, s1
	v_add_co_u32 v48, s1, s14, v48
	v_lshlrev_b64 v[52:53], 2, v[5:6]
	v_add_nc_u32_e32 v5, 12, v16
	s_clause 0x1
	global_load_dwordx2 v[44:45], v[44:45], off
	global_load_dwordx2 v[46:47], v[46:47], off
	v_add_co_ci_u32_e64 v49, null, s15, v49, s1
	v_add_co_u32 v16, s1, s12, v50
	v_lshlrev_b64 v[4:5], 2, v[5:6]
	v_add_co_ci_u32_e64 v17, null, s13, v51, s1
	global_load_dwordx2 v[48:49], v[48:49], off
	v_add_co_u32 v50, s1, s12, v52
	global_load_dwordx2 v[16:17], v[16:17], off
	v_add_co_ci_u32_e64 v51, null, s13, v53, s1
	v_add_co_u32 v4, s1, s14, v4
	v_add_co_ci_u32_e64 v5, null, s15, v5, s1
	global_load_dwordx2 v[50:51], v[50:51], off
	global_load_dwordx2 v[4:5], v[4:5], off
	;; [unrolled: 1-line block ×3, first 2 shown]
	v_add_nc_u32_e32 v3, 0x1c0, v3
	s_waitcnt vmcnt(17)
	v_fmac_f32_e32 v9, v12, v22
	v_fmac_f32_e32 v10, v13, v22
	;; [unrolled: 1-line block ×4, first 2 shown]
	s_waitcnt vmcnt(16)
	v_fmac_f32_e32 v9, v20, v24
	v_fmac_f32_e32 v10, v21, v24
	s_waitcnt vmcnt(15)
	v_fmac_f32_e32 v9, v26, v25
	v_fmac_f32_e32 v10, v27, v25
	s_waitcnt vmcnt(13)
	v_fmac_f32_e32 v9, v28, v30
	v_fmac_f32_e32 v10, v29, v30
	s_waitcnt vmcnt(12)
	v_fmac_f32_e32 v9, v32, v31
	v_fmac_f32_e32 v10, v33, v31
	s_waitcnt vmcnt(10)
	v_fmac_f32_e32 v9, v34, v36
	v_fmac_f32_e32 v10, v35, v36
	s_waitcnt vmcnt(9)
	v_fmac_f32_e32 v9, v38, v37
	v_fmac_f32_e32 v10, v39, v37
	s_waitcnt vmcnt(7)
	v_fmac_f32_e32 v9, v40, v42
	v_fmac_f32_e32 v10, v41, v42
	s_waitcnt vmcnt(6)
	v_fmac_f32_e32 v9, v44, v43
	v_fmac_f32_e32 v10, v45, v43
	s_waitcnt vmcnt(4)
	v_fmac_f32_e32 v9, v46, v48
	v_fmac_f32_e32 v10, v47, v48
	s_waitcnt vmcnt(3)
	v_fmac_f32_e32 v9, v16, v49
	v_fmac_f32_e32 v10, v17, v49
	s_waitcnt vmcnt(1)
	v_fmac_f32_e32 v9, v50, v4
	v_fmac_f32_e32 v10, v51, v4
	s_waitcnt vmcnt(0)
	v_fmac_f32_e32 v9, v18, v5
	v_fmac_f32_e32 v10, v19, v5
	s_andn2_b32 exec_lo, exec_lo, s6
	s_cbranch_execnz .LBB62_9
; %bb.10:
	s_or_b32 exec_lo, exec_lo, s6
.LBB62_11:
	s_or_b32 exec_lo, exec_lo, s3
	s_cbranch_execz .LBB62_13
	s_branch .LBB62_18
.LBB62_12:
                                        ; implicit-def: $vgpr9
                                        ; implicit-def: $vgpr10
.LBB62_13:
	v_mov_b32_e32 v9, 0
	v_mov_b32_e32 v10, 0
	s_and_saveexec_b32 s1, s0
	s_cbranch_execz .LBB62_17
; %bb.14:
	v_mad_u64_u32 v[4:5], null, v2, 28, 27
	v_mov_b32_e32 v7, 0
	v_mov_b32_e32 v9, 0
	;; [unrolled: 1-line block ×3, first 2 shown]
	s_mov_b32 s0, 0
.LBB62_15:                              ; =>This Inner Loop Header: Depth=1
	v_ashrrev_i32_e32 v3, 31, v2
	v_add_nc_u32_e32 v12, -13, v4
	v_mov_b32_e32 v13, v7
	v_mov_b32_e32 v17, v7
	v_lshlrev_b64 v[5:6], 2, v[2:3]
	v_add_nc_u32_e32 v2, 16, v2
	v_lshlrev_b64 v[12:13], 2, v[12:13]
	v_add_co_u32 v5, vcc_lo, s10, v5
	v_add_co_ci_u32_e64 v6, null, s11, v6, vcc_lo
	global_load_dword v3, v[5:6], off
	v_subrev_nc_u32_e32 v6, 27, v4
	v_mov_b32_e32 v5, v7
	v_lshlrev_b64 v[14:15], 2, v[6:7]
	v_add_nc_u32_e32 v6, -12, v4
	v_lshlrev_b64 v[18:19], 2, v[4:5]
	v_lshlrev_b64 v[5:6], 2, v[6:7]
	v_add_co_u32 v14, vcc_lo, s12, v14
	v_add_co_ci_u32_e64 v15, null, s13, v15, vcc_lo
	v_add_co_u32 v20, vcc_lo, s12, v12
	v_add_co_ci_u32_e64 v21, null, s13, v13, vcc_lo
	;; [unrolled: 2-line block ×4, first 2 shown]
	s_clause 0x2
	global_load_dwordx4 v[12:15], v[14:15], off
	global_load_dword v8, v[20:21], off
	global_load_dword v38, v[5:6], off
	s_waitcnt vmcnt(3)
	v_subrev_nc_u32_e32 v3, s18, v3
	v_mul_lo_u32 v16, v3, 14
	v_add_nc_u32_e32 v6, 2, v16
	v_lshlrev_b64 v[20:21], 2, v[16:17]
	v_lshlrev_b64 v[22:23], 2, v[6:7]
	v_add_nc_u32_e32 v6, -11, v4
	v_add_co_u32 v20, vcc_lo, s14, v20
	v_add_co_ci_u32_e64 v21, null, s15, v21, vcc_lo
	v_lshlrev_b64 v[24:25], 2, v[6:7]
	v_add_nc_u32_e32 v6, -10, v4
	v_add_co_u32 v22, vcc_lo, s14, v22
	v_add_co_ci_u32_e64 v23, null, s15, v23, vcc_lo
	v_lshlrev_b64 v[26:27], 2, v[6:7]
	v_subrev_nc_u32_e32 v6, 23, v4
	v_add_co_u32 v24, vcc_lo, s12, v24
	v_add_co_ci_u32_e64 v25, null, s13, v25, vcc_lo
	v_add_co_u32 v26, vcc_lo, s12, v26
	v_lshlrev_b64 v[28:29], 2, v[6:7]
	v_add_nc_u32_e32 v6, 4, v16
	v_add_co_ci_u32_e64 v27, null, s13, v27, vcc_lo
	global_load_dword v3, v[24:25], off
	s_clause 0x1
	global_load_dwordx2 v[20:21], v[20:21], off
	global_load_dwordx2 v[22:23], v[22:23], off
	global_load_dword v39, v[26:27], off
	v_lshlrev_b64 v[24:25], 2, v[6:7]
	v_add_nc_u32_e32 v6, -9, v4
	v_add_co_u32 v26, vcc_lo, s12, v28
	v_add_co_ci_u32_e64 v27, null, s13, v29, vcc_lo
	v_lshlrev_b64 v[28:29], 2, v[6:7]
	v_add_co_u32 v24, vcc_lo, s14, v24
	v_add_co_ci_u32_e64 v25, null, s15, v25, vcc_lo
	v_subrev_nc_u32_e32 v6, 22, v4
	v_add_co_u32 v28, vcc_lo, s12, v28
	v_add_co_ci_u32_e64 v29, null, s13, v29, vcc_lo
	global_load_dword v40, v[26:27], off
	global_load_dwordx2 v[24:25], v[24:25], off
	global_load_dword v41, v[28:29], off
	v_lshlrev_b64 v[26:27], 2, v[6:7]
	v_add_nc_u32_e32 v6, -8, v4
	v_lshlrev_b64 v[30:31], 2, v[6:7]
	v_subrev_nc_u32_e32 v6, 21, v4
	v_add_co_u32 v26, vcc_lo, s12, v26
	v_add_co_ci_u32_e64 v27, null, s13, v27, vcc_lo
	v_lshlrev_b64 v[28:29], 2, v[6:7]
	v_add_nc_u32_e32 v6, 6, v16
	global_load_dword v42, v[26:27], off
	v_add_co_u32 v26, vcc_lo, s12, v30
	v_add_co_ci_u32_e64 v27, null, s13, v31, vcc_lo
	v_add_co_u32 v28, vcc_lo, s12, v28
	v_lshlrev_b64 v[30:31], 2, v[6:7]
	v_add_nc_u32_e32 v6, -7, v4
	v_add_co_ci_u32_e64 v29, null, s13, v29, vcc_lo
	s_clause 0x1
	global_load_dword v43, v[26:27], off
	global_load_dword v44, v[28:29], off
	v_lshlrev_b64 v[26:27], 2, v[6:7]
	v_subrev_nc_u32_e32 v6, 20, v4
	v_add_co_u32 v28, vcc_lo, s14, v30
	v_add_co_ci_u32_e64 v29, null, s15, v31, vcc_lo
	v_lshlrev_b64 v[30:31], 2, v[6:7]
	v_add_nc_u32_e32 v6, -6, v4
	v_add_co_u32 v26, vcc_lo, s12, v26
	v_add_co_ci_u32_e64 v27, null, s13, v27, vcc_lo
	v_lshlrev_b64 v[32:33], 2, v[6:7]
	v_subrev_nc_u32_e32 v6, 19, v4
	global_load_dwordx2 v[28:29], v[28:29], off
	global_load_dword v45, v[26:27], off
	v_add_co_u32 v26, vcc_lo, s12, v30
	v_add_co_ci_u32_e64 v27, null, s13, v31, vcc_lo
	v_lshlrev_b64 v[30:31], 2, v[6:7]
	v_add_nc_u32_e32 v6, 8, v16
	v_add_co_u32 v32, vcc_lo, s12, v32
	v_add_co_ci_u32_e64 v33, null, s13, v33, vcc_lo
	v_add_co_u32 v30, vcc_lo, s12, v30
	global_load_dword v46, v[26:27], off
	v_lshlrev_b64 v[26:27], 2, v[6:7]
	v_add_nc_u32_e32 v6, -5, v4
	v_add_co_ci_u32_e64 v31, null, s13, v31, vcc_lo
	global_load_dword v47, v[32:33], off
	v_add_co_u32 v26, vcc_lo, s14, v26
	global_load_dword v48, v[30:31], off
	v_lshlrev_b64 v[32:33], 2, v[6:7]
	v_subrev_nc_u32_e32 v6, 18, v4
	v_add_co_ci_u32_e64 v27, null, s15, v27, vcc_lo
	v_lshlrev_b64 v[30:31], 2, v[6:7]
	v_add_nc_u32_e32 v6, -4, v4
	v_add_co_u32 v32, vcc_lo, s12, v32
	v_add_co_ci_u32_e64 v33, null, s13, v33, vcc_lo
	v_add_co_u32 v30, vcc_lo, s12, v30
	v_lshlrev_b64 v[34:35], 2, v[6:7]
	v_subrev_nc_u32_e32 v6, 17, v4
	v_add_co_ci_u32_e64 v31, null, s13, v31, vcc_lo
	global_load_dword v49, v[32:33], off
	global_load_dwordx2 v[26:27], v[26:27], off
	global_load_dword v50, v[30:31], off
	v_lshlrev_b64 v[32:33], 2, v[6:7]
	v_add_nc_u32_e32 v6, 10, v16
	v_add_co_u32 v30, vcc_lo, s12, v34
	v_add_co_ci_u32_e64 v31, null, s13, v35, vcc_lo
	v_add_co_u32 v32, vcc_lo, s12, v32
	v_lshlrev_b64 v[34:35], 2, v[6:7]
	v_add_nc_u32_e32 v6, -3, v4
	v_add_co_ci_u32_e64 v33, null, s13, v33, vcc_lo
	s_clause 0x1
	global_load_dword v51, v[30:31], off
	global_load_dword v52, v[32:33], off
	v_lshlrev_b64 v[30:31], 2, v[6:7]
	v_add_nc_u32_e32 v6, -16, v4
	v_add_co_u32 v32, vcc_lo, s14, v34
	v_add_co_ci_u32_e64 v33, null, s15, v35, vcc_lo
	v_lshlrev_b64 v[34:35], 2, v[6:7]
	v_add_nc_u32_e32 v6, -2, v4
	v_add_co_u32 v30, vcc_lo, s12, v30
	v_add_co_ci_u32_e64 v31, null, s13, v31, vcc_lo
	v_lshlrev_b64 v[36:37], 2, v[6:7]
	v_add_nc_u32_e32 v6, -15, v4
	global_load_dwordx2 v[32:33], v[32:33], off
	global_load_dword v53, v[30:31], off
	v_add_co_u32 v30, vcc_lo, s12, v34
	v_add_co_ci_u32_e64 v31, null, s13, v35, vcc_lo
	v_lshlrev_b64 v[34:35], 2, v[6:7]
	v_add_nc_u32_e32 v6, 12, v16
	v_add_co_u32 v16, vcc_lo, s12, v36
	v_add_co_ci_u32_e64 v17, null, s13, v37, vcc_lo
	global_load_dword v36, v[30:31], off
	v_lshlrev_b64 v[30:31], 2, v[6:7]
	v_add_nc_u32_e32 v6, -1, v4
	global_load_dword v37, v[16:17], off
	v_add_co_u32 v16, vcc_lo, s12, v34
	v_add_co_ci_u32_e64 v17, null, s13, v35, vcc_lo
	v_lshlrev_b64 v[34:35], 2, v[6:7]
	v_add_nc_u32_e32 v6, -14, v4
	v_add_co_u32 v30, vcc_lo, s14, v30
	v_add_co_ci_u32_e64 v31, null, s15, v31, vcc_lo
	v_lshlrev_b64 v[5:6], 2, v[6:7]
	global_load_dword v54, v[16:17], off
	v_add_nc_u32_e32 v4, 0x1c0, v4
	global_load_dwordx2 v[16:17], v[30:31], off
	v_add_co_u32 v30, vcc_lo, s12, v34
	v_add_co_ci_u32_e64 v31, null, s13, v35, vcc_lo
	v_add_co_u32 v5, vcc_lo, s12, v5
	v_add_co_ci_u32_e64 v6, null, s13, v6, vcc_lo
	s_clause 0x2
	global_load_dword v30, v[30:31], off
	global_load_dword v5, v[5:6], off
	;; [unrolled: 1-line block ×3, first 2 shown]
	v_cmp_ge_i32_e32 vcc_lo, v2, v11
	s_or_b32 s0, vcc_lo, s0
	s_waitcnt vmcnt(27)
	v_fmac_f32_e32 v9, v12, v20
	v_fmac_f32_e32 v10, v8, v20
	;; [unrolled: 1-line block ×4, first 2 shown]
	s_waitcnt vmcnt(26)
	v_fmac_f32_e32 v9, v14, v22
	v_fmac_f32_e32 v10, v3, v22
	v_fmac_f32_e32 v9, v15, v23
	s_waitcnt vmcnt(25)
	v_fmac_f32_e32 v10, v39, v23
	s_waitcnt vmcnt(23)
	v_fmac_f32_e32 v9, v40, v24
	;; [unrolled: 2-line block ×10, first 2 shown]
	v_fmac_f32_e32 v10, v49, v26
	s_waitcnt vmcnt(11)
	v_fmac_f32_e32 v9, v50, v27
	s_waitcnt vmcnt(10)
	v_fmac_f32_e32 v10, v51, v27
	s_waitcnt vmcnt(8)
	v_fmac_f32_e32 v9, v52, v32
	s_waitcnt vmcnt(7)
	v_fmac_f32_e32 v10, v53, v32
	s_waitcnt vmcnt(6)
	v_fmac_f32_e32 v9, v36, v33
	s_waitcnt vmcnt(5)
	v_fmac_f32_e32 v10, v37, v33
	s_waitcnt vmcnt(3)
	v_fmac_f32_e32 v9, v54, v16
	s_waitcnt vmcnt(2)
	v_fmac_f32_e32 v10, v30, v16
	s_waitcnt vmcnt(1)
	v_fmac_f32_e32 v9, v5, v17
	s_waitcnt vmcnt(0)
	v_fmac_f32_e32 v10, v6, v17
	s_andn2_b32 exec_lo, exec_lo, s0
	s_cbranch_execnz .LBB62_15
; %bb.16:
	s_or_b32 exec_lo, exec_lo, s0
.LBB62_17:
	s_or_b32 exec_lo, exec_lo, s1
.LBB62_18:
	v_mbcnt_lo_u32_b32 v2, -1, 0
	s_mov_b32 s3, -1
	v_xor_b32_e32 v3, 8, v2
	v_xor_b32_e32 v5, 4, v2
	;; [unrolled: 1-line block ×3, first 2 shown]
	v_cmp_gt_i32_e32 vcc_lo, 32, v3
	v_cndmask_b32_e32 v3, v2, v3, vcc_lo
	v_cmp_gt_i32_e32 vcc_lo, 32, v5
	v_lshlrev_b32_e32 v3, 2, v3
	v_cndmask_b32_e32 v5, v2, v5, vcc_lo
	v_cmp_gt_i32_e32 vcc_lo, 32, v7
	ds_bpermute_b32 v4, v3, v9
	ds_bpermute_b32 v3, v3, v10
	v_lshlrev_b32_e32 v5, 2, v5
	v_cndmask_b32_e32 v7, v2, v7, vcc_lo
	v_lshlrev_b32_e32 v7, 2, v7
	s_waitcnt lgkmcnt(1)
	v_add_f32_e32 v4, v9, v4
	s_waitcnt lgkmcnt(0)
	v_add_f32_e32 v3, v10, v3
	ds_bpermute_b32 v6, v5, v4
	ds_bpermute_b32 v5, v5, v3
	s_waitcnt lgkmcnt(1)
	v_add_f32_e32 v4, v4, v6
	s_waitcnt lgkmcnt(0)
	v_add_f32_e32 v3, v3, v5
	ds_bpermute_b32 v5, v7, v4
	ds_bpermute_b32 v6, v7, v3
	v_xor_b32_e32 v7, 1, v2
	v_cmp_gt_i32_e32 vcc_lo, 32, v7
	v_cndmask_b32_e32 v2, v2, v7, vcc_lo
	v_cmp_eq_u32_e32 vcc_lo, 15, v0
	v_lshlrev_b32_e32 v7, 2, v2
	s_waitcnt lgkmcnt(1)
	v_add_f32_e32 v2, v4, v5
	s_waitcnt lgkmcnt(0)
	v_add_f32_e32 v3, v3, v6
	ds_bpermute_b32 v4, v7, v2
	ds_bpermute_b32 v5, v7, v3
	s_and_b32 exec_lo, exec_lo, vcc_lo
	s_cbranch_execz .LBB62_23
; %bb.19:
	s_load_dwordx2 s[0:1], s[4:5], 0x38
	s_waitcnt lgkmcnt(0)
	v_add_f32_e32 v0, v2, v4
	v_add_f32_e32 v3, v3, v5
	v_cmp_eq_f32_e64 s4, s2, 0
	v_mul_f32_e32 v2, s16, v0
	v_mul_f32_e32 v3, s16, v3
	v_lshlrev_b32_e32 v0, 1, v1
	s_and_b32 vcc_lo, exec_lo, s4
	s_cbranch_vccz .LBB62_21
; %bb.20:
	v_ashrrev_i32_e32 v1, 31, v0
	s_mov_b32 s3, 0
	v_lshlrev_b64 v[4:5], 2, v[0:1]
	v_add_co_u32 v4, vcc_lo, s0, v4
	v_add_co_ci_u32_e64 v5, null, s1, v5, vcc_lo
	global_store_dwordx2 v[4:5], v[2:3], off
.LBB62_21:
	s_andn2_b32 vcc_lo, exec_lo, s3
	s_cbranch_vccnz .LBB62_23
; %bb.22:
	v_ashrrev_i32_e32 v1, 31, v0
	v_lshlrev_b64 v[0:1], 2, v[0:1]
	v_add_co_u32 v0, vcc_lo, s0, v0
	v_add_co_ci_u32_e64 v1, null, s1, v1, vcc_lo
	global_load_dwordx2 v[4:5], v[0:1], off
	s_waitcnt vmcnt(0)
	v_fmac_f32_e32 v2, s2, v4
	v_fmac_f32_e32 v3, s2, v5
	global_store_dwordx2 v[0:1], v[2:3], off
.LBB62_23:
	s_endpgm
	.section	.rodata,"a",@progbits
	.p2align	6, 0x0
	.amdhsa_kernel _ZN9rocsparseL19gebsrmvn_2xn_kernelILj128ELj14ELj16EfEEvi20rocsparse_direction_NS_24const_host_device_scalarIT2_EEPKiS6_PKS3_S8_S4_PS3_21rocsparse_index_base_b
		.amdhsa_group_segment_fixed_size 0
		.amdhsa_private_segment_fixed_size 0
		.amdhsa_kernarg_size 72
		.amdhsa_user_sgpr_count 6
		.amdhsa_user_sgpr_private_segment_buffer 1
		.amdhsa_user_sgpr_dispatch_ptr 0
		.amdhsa_user_sgpr_queue_ptr 0
		.amdhsa_user_sgpr_kernarg_segment_ptr 1
		.amdhsa_user_sgpr_dispatch_id 0
		.amdhsa_user_sgpr_flat_scratch_init 0
		.amdhsa_user_sgpr_private_segment_size 0
		.amdhsa_wavefront_size32 1
		.amdhsa_uses_dynamic_stack 0
		.amdhsa_system_sgpr_private_segment_wavefront_offset 0
		.amdhsa_system_sgpr_workgroup_id_x 1
		.amdhsa_system_sgpr_workgroup_id_y 0
		.amdhsa_system_sgpr_workgroup_id_z 0
		.amdhsa_system_sgpr_workgroup_info 0
		.amdhsa_system_vgpr_workitem_id 0
		.amdhsa_next_free_vgpr 55
		.amdhsa_next_free_sgpr 20
		.amdhsa_reserve_vcc 1
		.amdhsa_reserve_flat_scratch 0
		.amdhsa_float_round_mode_32 0
		.amdhsa_float_round_mode_16_64 0
		.amdhsa_float_denorm_mode_32 3
		.amdhsa_float_denorm_mode_16_64 3
		.amdhsa_dx10_clamp 1
		.amdhsa_ieee_mode 1
		.amdhsa_fp16_overflow 0
		.amdhsa_workgroup_processor_mode 1
		.amdhsa_memory_ordered 1
		.amdhsa_forward_progress 1
		.amdhsa_shared_vgpr_count 0
		.amdhsa_exception_fp_ieee_invalid_op 0
		.amdhsa_exception_fp_denorm_src 0
		.amdhsa_exception_fp_ieee_div_zero 0
		.amdhsa_exception_fp_ieee_overflow 0
		.amdhsa_exception_fp_ieee_underflow 0
		.amdhsa_exception_fp_ieee_inexact 0
		.amdhsa_exception_int_div_zero 0
	.end_amdhsa_kernel
	.section	.text._ZN9rocsparseL19gebsrmvn_2xn_kernelILj128ELj14ELj16EfEEvi20rocsparse_direction_NS_24const_host_device_scalarIT2_EEPKiS6_PKS3_S8_S4_PS3_21rocsparse_index_base_b,"axG",@progbits,_ZN9rocsparseL19gebsrmvn_2xn_kernelILj128ELj14ELj16EfEEvi20rocsparse_direction_NS_24const_host_device_scalarIT2_EEPKiS6_PKS3_S8_S4_PS3_21rocsparse_index_base_b,comdat
.Lfunc_end62:
	.size	_ZN9rocsparseL19gebsrmvn_2xn_kernelILj128ELj14ELj16EfEEvi20rocsparse_direction_NS_24const_host_device_scalarIT2_EEPKiS6_PKS3_S8_S4_PS3_21rocsparse_index_base_b, .Lfunc_end62-_ZN9rocsparseL19gebsrmvn_2xn_kernelILj128ELj14ELj16EfEEvi20rocsparse_direction_NS_24const_host_device_scalarIT2_EEPKiS6_PKS3_S8_S4_PS3_21rocsparse_index_base_b
                                        ; -- End function
	.set _ZN9rocsparseL19gebsrmvn_2xn_kernelILj128ELj14ELj16EfEEvi20rocsparse_direction_NS_24const_host_device_scalarIT2_EEPKiS6_PKS3_S8_S4_PS3_21rocsparse_index_base_b.num_vgpr, 55
	.set _ZN9rocsparseL19gebsrmvn_2xn_kernelILj128ELj14ELj16EfEEvi20rocsparse_direction_NS_24const_host_device_scalarIT2_EEPKiS6_PKS3_S8_S4_PS3_21rocsparse_index_base_b.num_agpr, 0
	.set _ZN9rocsparseL19gebsrmvn_2xn_kernelILj128ELj14ELj16EfEEvi20rocsparse_direction_NS_24const_host_device_scalarIT2_EEPKiS6_PKS3_S8_S4_PS3_21rocsparse_index_base_b.numbered_sgpr, 20
	.set _ZN9rocsparseL19gebsrmvn_2xn_kernelILj128ELj14ELj16EfEEvi20rocsparse_direction_NS_24const_host_device_scalarIT2_EEPKiS6_PKS3_S8_S4_PS3_21rocsparse_index_base_b.num_named_barrier, 0
	.set _ZN9rocsparseL19gebsrmvn_2xn_kernelILj128ELj14ELj16EfEEvi20rocsparse_direction_NS_24const_host_device_scalarIT2_EEPKiS6_PKS3_S8_S4_PS3_21rocsparse_index_base_b.private_seg_size, 0
	.set _ZN9rocsparseL19gebsrmvn_2xn_kernelILj128ELj14ELj16EfEEvi20rocsparse_direction_NS_24const_host_device_scalarIT2_EEPKiS6_PKS3_S8_S4_PS3_21rocsparse_index_base_b.uses_vcc, 1
	.set _ZN9rocsparseL19gebsrmvn_2xn_kernelILj128ELj14ELj16EfEEvi20rocsparse_direction_NS_24const_host_device_scalarIT2_EEPKiS6_PKS3_S8_S4_PS3_21rocsparse_index_base_b.uses_flat_scratch, 0
	.set _ZN9rocsparseL19gebsrmvn_2xn_kernelILj128ELj14ELj16EfEEvi20rocsparse_direction_NS_24const_host_device_scalarIT2_EEPKiS6_PKS3_S8_S4_PS3_21rocsparse_index_base_b.has_dyn_sized_stack, 0
	.set _ZN9rocsparseL19gebsrmvn_2xn_kernelILj128ELj14ELj16EfEEvi20rocsparse_direction_NS_24const_host_device_scalarIT2_EEPKiS6_PKS3_S8_S4_PS3_21rocsparse_index_base_b.has_recursion, 0
	.set _ZN9rocsparseL19gebsrmvn_2xn_kernelILj128ELj14ELj16EfEEvi20rocsparse_direction_NS_24const_host_device_scalarIT2_EEPKiS6_PKS3_S8_S4_PS3_21rocsparse_index_base_b.has_indirect_call, 0
	.section	.AMDGPU.csdata,"",@progbits
; Kernel info:
; codeLenInByte = 3132
; TotalNumSgprs: 22
; NumVgprs: 55
; ScratchSize: 0
; MemoryBound: 0
; FloatMode: 240
; IeeeMode: 1
; LDSByteSize: 0 bytes/workgroup (compile time only)
; SGPRBlocks: 0
; VGPRBlocks: 6
; NumSGPRsForWavesPerEU: 22
; NumVGPRsForWavesPerEU: 55
; Occupancy: 16
; WaveLimiterHint : 1
; COMPUTE_PGM_RSRC2:SCRATCH_EN: 0
; COMPUTE_PGM_RSRC2:USER_SGPR: 6
; COMPUTE_PGM_RSRC2:TRAP_HANDLER: 0
; COMPUTE_PGM_RSRC2:TGID_X_EN: 1
; COMPUTE_PGM_RSRC2:TGID_Y_EN: 0
; COMPUTE_PGM_RSRC2:TGID_Z_EN: 0
; COMPUTE_PGM_RSRC2:TIDIG_COMP_CNT: 0
	.section	.text._ZN9rocsparseL19gebsrmvn_2xn_kernelILj128ELj14ELj32EfEEvi20rocsparse_direction_NS_24const_host_device_scalarIT2_EEPKiS6_PKS3_S8_S4_PS3_21rocsparse_index_base_b,"axG",@progbits,_ZN9rocsparseL19gebsrmvn_2xn_kernelILj128ELj14ELj32EfEEvi20rocsparse_direction_NS_24const_host_device_scalarIT2_EEPKiS6_PKS3_S8_S4_PS3_21rocsparse_index_base_b,comdat
	.globl	_ZN9rocsparseL19gebsrmvn_2xn_kernelILj128ELj14ELj32EfEEvi20rocsparse_direction_NS_24const_host_device_scalarIT2_EEPKiS6_PKS3_S8_S4_PS3_21rocsparse_index_base_b ; -- Begin function _ZN9rocsparseL19gebsrmvn_2xn_kernelILj128ELj14ELj32EfEEvi20rocsparse_direction_NS_24const_host_device_scalarIT2_EEPKiS6_PKS3_S8_S4_PS3_21rocsparse_index_base_b
	.p2align	8
	.type	_ZN9rocsparseL19gebsrmvn_2xn_kernelILj128ELj14ELj32EfEEvi20rocsparse_direction_NS_24const_host_device_scalarIT2_EEPKiS6_PKS3_S8_S4_PS3_21rocsparse_index_base_b,@function
_ZN9rocsparseL19gebsrmvn_2xn_kernelILj128ELj14ELj32EfEEvi20rocsparse_direction_NS_24const_host_device_scalarIT2_EEPKiS6_PKS3_S8_S4_PS3_21rocsparse_index_base_b: ; @_ZN9rocsparseL19gebsrmvn_2xn_kernelILj128ELj14ELj32EfEEvi20rocsparse_direction_NS_24const_host_device_scalarIT2_EEPKiS6_PKS3_S8_S4_PS3_21rocsparse_index_base_b
; %bb.0:
	s_clause 0x2
	s_load_dwordx2 s[18:19], s[4:5], 0x40
	s_load_dwordx2 s[16:17], s[4:5], 0x8
	;; [unrolled: 1-line block ×3, first 2 shown]
	s_waitcnt lgkmcnt(0)
	s_bitcmp1_b32 s19, 0
	s_cselect_b32 s0, -1, 0
	s_and_b32 vcc_lo, exec_lo, s0
	s_xor_b32 s0, s0, -1
	s_cbranch_vccnz .LBB63_2
; %bb.1:
	s_load_dword s16, s[16:17], 0x0
.LBB63_2:
	s_andn2_b32 vcc_lo, exec_lo, s0
	s_cbranch_vccnz .LBB63_4
; %bb.3:
	s_load_dword s2, s[2:3], 0x0
.LBB63_4:
	s_waitcnt lgkmcnt(0)
	v_cmp_eq_f32_e64 s0, s16, 0
	v_cmp_eq_f32_e64 s1, s2, 1.0
	s_and_b32 s0, s0, s1
	s_and_b32 vcc_lo, exec_lo, s0
	s_cbranch_vccnz .LBB63_23
; %bb.5:
	s_load_dwordx2 s[0:1], s[4:5], 0x0
	v_lshrrev_b32_e32 v1, 5, v0
	v_lshl_or_b32 v1, s6, 2, v1
	s_waitcnt lgkmcnt(0)
	v_cmp_gt_i32_e32 vcc_lo, s0, v1
	s_and_saveexec_b32 s0, vcc_lo
	s_cbranch_execz .LBB63_23
; %bb.6:
	s_load_dwordx8 s[8:15], s[4:5], 0x10
	v_ashrrev_i32_e32 v2, 31, v1
	v_and_b32_e32 v0, 31, v0
	s_cmp_lg_u32 s1, 0
	v_lshlrev_b64 v[2:3], 2, v[1:2]
	s_waitcnt lgkmcnt(0)
	v_add_co_u32 v2, vcc_lo, s8, v2
	v_add_co_ci_u32_e64 v3, null, s9, v3, vcc_lo
	global_load_dwordx2 v[2:3], v[2:3], off
	s_waitcnt vmcnt(0)
	v_subrev_nc_u32_e32 v2, s18, v2
	v_subrev_nc_u32_e32 v11, s18, v3
	v_add_nc_u32_e32 v2, v2, v0
	v_cmp_lt_i32_e64 s0, v2, v11
	s_cbranch_scc0 .LBB63_12
; %bb.7:
	v_mov_b32_e32 v9, 0
	v_mov_b32_e32 v10, 0
	s_and_saveexec_b32 s3, s0
	s_cbranch_execz .LBB63_11
; %bb.8:
	v_mad_u64_u32 v[3:4], null, v2, 28, 26
	v_mov_b32_e32 v6, 0
	v_mov_b32_e32 v7, v2
	;; [unrolled: 1-line block ×4, first 2 shown]
	s_mov_b32 s6, 0
.LBB63_9:                               ; =>This Inner Loop Header: Depth=1
	v_ashrrev_i32_e32 v8, 31, v7
	v_mov_b32_e32 v17, v6
	v_lshlrev_b64 v[4:5], 2, v[7:8]
	v_add_nc_u32_e32 v7, 32, v7
	v_add_co_u32 v4, vcc_lo, s10, v4
	v_add_co_ci_u32_e64 v5, null, s11, v5, vcc_lo
	global_load_dword v8, v[4:5], off
	v_subrev_nc_u32_e32 v5, 26, v3
	v_mov_b32_e32 v4, v6
	v_lshlrev_b64 v[12:13], 2, v[5:6]
	v_subrev_nc_u32_e32 v5, 22, v3
	v_lshlrev_b64 v[18:19], 2, v[3:4]
	v_lshlrev_b64 v[4:5], 2, v[5:6]
	v_add_co_u32 v12, vcc_lo, s12, v12
	v_add_co_ci_u32_e64 v13, null, s13, v13, vcc_lo
	v_add_co_u32 v18, vcc_lo, s12, v18
	v_add_co_u32 v4, s1, s12, v4
	v_add_co_ci_u32_e64 v5, null, s13, v5, s1
	s_clause 0x1
	global_load_dwordx4 v[12:15], v[12:13], off
	global_load_dwordx2 v[20:21], v[4:5], off
	v_add_co_ci_u32_e64 v19, null, s13, v19, vcc_lo
	v_cmp_ge_i32_e32 vcc_lo, v7, v11
	s_or_b32 s6, vcc_lo, s6
	s_waitcnt vmcnt(2)
	v_subrev_nc_u32_e32 v4, s18, v8
	v_mul_lo_u32 v16, v4, 14
	v_add_nc_u32_e32 v5, 2, v16
	v_lshlrev_b64 v[22:23], 2, v[16:17]
	v_lshlrev_b64 v[24:25], 2, v[5:6]
	v_subrev_nc_u32_e32 v5, 20, v3
	v_add_co_u32 v22, s1, s14, v22
	v_add_co_ci_u32_e64 v23, null, s15, v23, s1
	v_lshlrev_b64 v[26:27], 2, v[5:6]
	v_subrev_nc_u32_e32 v5, 18, v3
	v_add_co_u32 v24, s1, s14, v24
	global_load_dwordx2 v[22:23], v[22:23], off
	v_add_co_ci_u32_e64 v25, null, s15, v25, s1
	v_lshlrev_b64 v[28:29], 2, v[5:6]
	v_add_nc_u32_e32 v5, 4, v16
	v_add_co_u32 v26, s1, s12, v26
	v_add_co_ci_u32_e64 v27, null, s13, v27, s1
	v_lshlrev_b64 v[30:31], 2, v[5:6]
	v_add_nc_u32_e32 v5, -16, v3
	global_load_dwordx2 v[24:25], v[24:25], off
	v_add_co_u32 v28, s1, s12, v28
	v_add_co_ci_u32_e64 v29, null, s13, v29, s1
	v_lshlrev_b64 v[32:33], 2, v[5:6]
	v_add_nc_u32_e32 v5, -14, v3
	v_add_co_u32 v30, s1, s14, v30
	s_clause 0x1
	global_load_dwordx2 v[26:27], v[26:27], off
	global_load_dwordx2 v[28:29], v[28:29], off
	v_lshlrev_b64 v[34:35], 2, v[5:6]
	v_add_nc_u32_e32 v5, 6, v16
	v_add_co_ci_u32_e64 v31, null, s15, v31, s1
	v_add_co_u32 v32, s1, s12, v32
	v_lshlrev_b64 v[36:37], 2, v[5:6]
	v_add_nc_u32_e32 v5, -12, v3
	global_load_dwordx2 v[30:31], v[30:31], off
	v_add_co_ci_u32_e64 v33, null, s13, v33, s1
	v_add_co_u32 v34, s1, s12, v34
	v_lshlrev_b64 v[38:39], 2, v[5:6]
	v_add_nc_u32_e32 v5, -10, v3
	v_add_co_ci_u32_e64 v35, null, s13, v35, s1
	v_add_co_u32 v36, s1, s14, v36
	v_lshlrev_b64 v[40:41], 2, v[5:6]
	v_add_nc_u32_e32 v5, 8, v16
	s_clause 0x1
	global_load_dwordx2 v[32:33], v[32:33], off
	global_load_dwordx2 v[34:35], v[34:35], off
	v_add_co_ci_u32_e64 v37, null, s15, v37, s1
	v_lshlrev_b64 v[42:43], 2, v[5:6]
	v_add_nc_u32_e32 v5, -8, v3
	v_add_co_u32 v38, s1, s12, v38
	v_add_co_ci_u32_e64 v39, null, s13, v39, s1
	v_lshlrev_b64 v[44:45], 2, v[5:6]
	v_add_nc_u32_e32 v5, -6, v3
	global_load_dwordx2 v[36:37], v[36:37], off
	v_add_co_u32 v40, s1, s12, v40
	v_add_co_ci_u32_e64 v41, null, s13, v41, s1
	v_lshlrev_b64 v[46:47], 2, v[5:6]
	v_add_nc_u32_e32 v5, 10, v16
	v_add_co_u32 v42, s1, s14, v42
	s_clause 0x1
	global_load_dwordx2 v[38:39], v[38:39], off
	global_load_dwordx2 v[40:41], v[40:41], off
	v_lshlrev_b64 v[48:49], 2, v[5:6]
	v_add_nc_u32_e32 v5, -4, v3
	v_add_co_ci_u32_e64 v43, null, s15, v43, s1
	v_add_co_u32 v44, s1, s12, v44
	v_lshlrev_b64 v[50:51], 2, v[5:6]
	v_add_nc_u32_e32 v5, -2, v3
	global_load_dwordx2 v[42:43], v[42:43], off
	v_add_co_ci_u32_e64 v45, null, s13, v45, s1
	v_add_co_u32 v46, s1, s12, v46
	v_add_co_ci_u32_e64 v47, null, s13, v47, s1
	v_add_co_u32 v48, s1, s14, v48
	v_lshlrev_b64 v[52:53], 2, v[5:6]
	v_add_nc_u32_e32 v5, 12, v16
	s_clause 0x1
	global_load_dwordx2 v[44:45], v[44:45], off
	global_load_dwordx2 v[46:47], v[46:47], off
	v_add_co_ci_u32_e64 v49, null, s15, v49, s1
	v_add_co_u32 v16, s1, s12, v50
	v_lshlrev_b64 v[4:5], 2, v[5:6]
	v_add_co_ci_u32_e64 v17, null, s13, v51, s1
	global_load_dwordx2 v[48:49], v[48:49], off
	v_add_co_u32 v50, s1, s12, v52
	global_load_dwordx2 v[16:17], v[16:17], off
	v_add_co_ci_u32_e64 v51, null, s13, v53, s1
	v_add_co_u32 v4, s1, s14, v4
	v_add_co_ci_u32_e64 v5, null, s15, v5, s1
	global_load_dwordx2 v[50:51], v[50:51], off
	global_load_dwordx2 v[4:5], v[4:5], off
	;; [unrolled: 1-line block ×3, first 2 shown]
	v_add_nc_u32_e32 v3, 0x380, v3
	s_waitcnt vmcnt(17)
	v_fmac_f32_e32 v9, v12, v22
	v_fmac_f32_e32 v10, v13, v22
	;; [unrolled: 1-line block ×4, first 2 shown]
	s_waitcnt vmcnt(16)
	v_fmac_f32_e32 v9, v20, v24
	v_fmac_f32_e32 v10, v21, v24
	s_waitcnt vmcnt(15)
	v_fmac_f32_e32 v9, v26, v25
	v_fmac_f32_e32 v10, v27, v25
	;; [unrolled: 3-line block ×12, first 2 shown]
	s_andn2_b32 exec_lo, exec_lo, s6
	s_cbranch_execnz .LBB63_9
; %bb.10:
	s_or_b32 exec_lo, exec_lo, s6
.LBB63_11:
	s_or_b32 exec_lo, exec_lo, s3
	s_cbranch_execz .LBB63_13
	s_branch .LBB63_18
.LBB63_12:
                                        ; implicit-def: $vgpr9
                                        ; implicit-def: $vgpr10
.LBB63_13:
	v_mov_b32_e32 v9, 0
	v_mov_b32_e32 v10, 0
	s_and_saveexec_b32 s1, s0
	s_cbranch_execz .LBB63_17
; %bb.14:
	v_mad_u64_u32 v[4:5], null, v2, 28, 27
	v_mov_b32_e32 v7, 0
	v_mov_b32_e32 v9, 0
	;; [unrolled: 1-line block ×3, first 2 shown]
	s_mov_b32 s0, 0
.LBB63_15:                              ; =>This Inner Loop Header: Depth=1
	v_ashrrev_i32_e32 v3, 31, v2
	v_add_nc_u32_e32 v12, -13, v4
	v_mov_b32_e32 v13, v7
	v_mov_b32_e32 v17, v7
	v_lshlrev_b64 v[5:6], 2, v[2:3]
	v_add_nc_u32_e32 v2, 32, v2
	v_lshlrev_b64 v[12:13], 2, v[12:13]
	v_add_co_u32 v5, vcc_lo, s10, v5
	v_add_co_ci_u32_e64 v6, null, s11, v6, vcc_lo
	global_load_dword v3, v[5:6], off
	v_subrev_nc_u32_e32 v6, 27, v4
	v_mov_b32_e32 v5, v7
	v_lshlrev_b64 v[14:15], 2, v[6:7]
	v_add_nc_u32_e32 v6, -12, v4
	v_lshlrev_b64 v[18:19], 2, v[4:5]
	v_lshlrev_b64 v[5:6], 2, v[6:7]
	v_add_co_u32 v14, vcc_lo, s12, v14
	v_add_co_ci_u32_e64 v15, null, s13, v15, vcc_lo
	v_add_co_u32 v20, vcc_lo, s12, v12
	v_add_co_ci_u32_e64 v21, null, s13, v13, vcc_lo
	;; [unrolled: 2-line block ×4, first 2 shown]
	s_clause 0x2
	global_load_dwordx4 v[12:15], v[14:15], off
	global_load_dword v8, v[20:21], off
	global_load_dword v38, v[5:6], off
	s_waitcnt vmcnt(3)
	v_subrev_nc_u32_e32 v3, s18, v3
	v_mul_lo_u32 v16, v3, 14
	v_add_nc_u32_e32 v6, 2, v16
	v_lshlrev_b64 v[20:21], 2, v[16:17]
	v_lshlrev_b64 v[22:23], 2, v[6:7]
	v_add_nc_u32_e32 v6, -11, v4
	v_add_co_u32 v20, vcc_lo, s14, v20
	v_add_co_ci_u32_e64 v21, null, s15, v21, vcc_lo
	v_lshlrev_b64 v[24:25], 2, v[6:7]
	v_add_nc_u32_e32 v6, -10, v4
	v_add_co_u32 v22, vcc_lo, s14, v22
	v_add_co_ci_u32_e64 v23, null, s15, v23, vcc_lo
	v_lshlrev_b64 v[26:27], 2, v[6:7]
	v_subrev_nc_u32_e32 v6, 23, v4
	v_add_co_u32 v24, vcc_lo, s12, v24
	v_add_co_ci_u32_e64 v25, null, s13, v25, vcc_lo
	v_add_co_u32 v26, vcc_lo, s12, v26
	v_lshlrev_b64 v[28:29], 2, v[6:7]
	v_add_nc_u32_e32 v6, 4, v16
	v_add_co_ci_u32_e64 v27, null, s13, v27, vcc_lo
	global_load_dword v3, v[24:25], off
	s_clause 0x1
	global_load_dwordx2 v[20:21], v[20:21], off
	global_load_dwordx2 v[22:23], v[22:23], off
	global_load_dword v39, v[26:27], off
	v_lshlrev_b64 v[24:25], 2, v[6:7]
	v_add_nc_u32_e32 v6, -9, v4
	v_add_co_u32 v26, vcc_lo, s12, v28
	v_add_co_ci_u32_e64 v27, null, s13, v29, vcc_lo
	v_lshlrev_b64 v[28:29], 2, v[6:7]
	v_add_co_u32 v24, vcc_lo, s14, v24
	v_add_co_ci_u32_e64 v25, null, s15, v25, vcc_lo
	v_subrev_nc_u32_e32 v6, 22, v4
	v_add_co_u32 v28, vcc_lo, s12, v28
	v_add_co_ci_u32_e64 v29, null, s13, v29, vcc_lo
	global_load_dword v40, v[26:27], off
	global_load_dwordx2 v[24:25], v[24:25], off
	global_load_dword v41, v[28:29], off
	v_lshlrev_b64 v[26:27], 2, v[6:7]
	v_add_nc_u32_e32 v6, -8, v4
	v_lshlrev_b64 v[30:31], 2, v[6:7]
	v_subrev_nc_u32_e32 v6, 21, v4
	v_add_co_u32 v26, vcc_lo, s12, v26
	v_add_co_ci_u32_e64 v27, null, s13, v27, vcc_lo
	v_lshlrev_b64 v[28:29], 2, v[6:7]
	v_add_nc_u32_e32 v6, 6, v16
	global_load_dword v42, v[26:27], off
	v_add_co_u32 v26, vcc_lo, s12, v30
	v_add_co_ci_u32_e64 v27, null, s13, v31, vcc_lo
	v_add_co_u32 v28, vcc_lo, s12, v28
	v_lshlrev_b64 v[30:31], 2, v[6:7]
	v_add_nc_u32_e32 v6, -7, v4
	v_add_co_ci_u32_e64 v29, null, s13, v29, vcc_lo
	s_clause 0x1
	global_load_dword v43, v[26:27], off
	global_load_dword v44, v[28:29], off
	v_lshlrev_b64 v[26:27], 2, v[6:7]
	v_subrev_nc_u32_e32 v6, 20, v4
	v_add_co_u32 v28, vcc_lo, s14, v30
	v_add_co_ci_u32_e64 v29, null, s15, v31, vcc_lo
	v_lshlrev_b64 v[30:31], 2, v[6:7]
	v_add_nc_u32_e32 v6, -6, v4
	v_add_co_u32 v26, vcc_lo, s12, v26
	v_add_co_ci_u32_e64 v27, null, s13, v27, vcc_lo
	v_lshlrev_b64 v[32:33], 2, v[6:7]
	v_subrev_nc_u32_e32 v6, 19, v4
	global_load_dwordx2 v[28:29], v[28:29], off
	global_load_dword v45, v[26:27], off
	v_add_co_u32 v26, vcc_lo, s12, v30
	v_add_co_ci_u32_e64 v27, null, s13, v31, vcc_lo
	v_lshlrev_b64 v[30:31], 2, v[6:7]
	v_add_nc_u32_e32 v6, 8, v16
	v_add_co_u32 v32, vcc_lo, s12, v32
	v_add_co_ci_u32_e64 v33, null, s13, v33, vcc_lo
	v_add_co_u32 v30, vcc_lo, s12, v30
	global_load_dword v46, v[26:27], off
	v_lshlrev_b64 v[26:27], 2, v[6:7]
	v_add_nc_u32_e32 v6, -5, v4
	v_add_co_ci_u32_e64 v31, null, s13, v31, vcc_lo
	global_load_dword v47, v[32:33], off
	v_add_co_u32 v26, vcc_lo, s14, v26
	global_load_dword v48, v[30:31], off
	v_lshlrev_b64 v[32:33], 2, v[6:7]
	v_subrev_nc_u32_e32 v6, 18, v4
	v_add_co_ci_u32_e64 v27, null, s15, v27, vcc_lo
	v_lshlrev_b64 v[30:31], 2, v[6:7]
	v_add_nc_u32_e32 v6, -4, v4
	v_add_co_u32 v32, vcc_lo, s12, v32
	v_add_co_ci_u32_e64 v33, null, s13, v33, vcc_lo
	v_add_co_u32 v30, vcc_lo, s12, v30
	v_lshlrev_b64 v[34:35], 2, v[6:7]
	v_subrev_nc_u32_e32 v6, 17, v4
	v_add_co_ci_u32_e64 v31, null, s13, v31, vcc_lo
	global_load_dword v49, v[32:33], off
	global_load_dwordx2 v[26:27], v[26:27], off
	global_load_dword v50, v[30:31], off
	v_lshlrev_b64 v[32:33], 2, v[6:7]
	v_add_nc_u32_e32 v6, 10, v16
	v_add_co_u32 v30, vcc_lo, s12, v34
	v_add_co_ci_u32_e64 v31, null, s13, v35, vcc_lo
	v_add_co_u32 v32, vcc_lo, s12, v32
	v_lshlrev_b64 v[34:35], 2, v[6:7]
	v_add_nc_u32_e32 v6, -3, v4
	v_add_co_ci_u32_e64 v33, null, s13, v33, vcc_lo
	s_clause 0x1
	global_load_dword v51, v[30:31], off
	global_load_dword v52, v[32:33], off
	v_lshlrev_b64 v[30:31], 2, v[6:7]
	v_add_nc_u32_e32 v6, -16, v4
	v_add_co_u32 v32, vcc_lo, s14, v34
	v_add_co_ci_u32_e64 v33, null, s15, v35, vcc_lo
	v_lshlrev_b64 v[34:35], 2, v[6:7]
	v_add_nc_u32_e32 v6, -2, v4
	v_add_co_u32 v30, vcc_lo, s12, v30
	v_add_co_ci_u32_e64 v31, null, s13, v31, vcc_lo
	v_lshlrev_b64 v[36:37], 2, v[6:7]
	v_add_nc_u32_e32 v6, -15, v4
	global_load_dwordx2 v[32:33], v[32:33], off
	global_load_dword v53, v[30:31], off
	v_add_co_u32 v30, vcc_lo, s12, v34
	v_add_co_ci_u32_e64 v31, null, s13, v35, vcc_lo
	v_lshlrev_b64 v[34:35], 2, v[6:7]
	v_add_nc_u32_e32 v6, 12, v16
	v_add_co_u32 v16, vcc_lo, s12, v36
	v_add_co_ci_u32_e64 v17, null, s13, v37, vcc_lo
	global_load_dword v36, v[30:31], off
	v_lshlrev_b64 v[30:31], 2, v[6:7]
	v_add_nc_u32_e32 v6, -1, v4
	global_load_dword v37, v[16:17], off
	v_add_co_u32 v16, vcc_lo, s12, v34
	v_add_co_ci_u32_e64 v17, null, s13, v35, vcc_lo
	v_lshlrev_b64 v[34:35], 2, v[6:7]
	v_add_nc_u32_e32 v6, -14, v4
	v_add_co_u32 v30, vcc_lo, s14, v30
	v_add_co_ci_u32_e64 v31, null, s15, v31, vcc_lo
	v_lshlrev_b64 v[5:6], 2, v[6:7]
	global_load_dword v54, v[16:17], off
	v_add_nc_u32_e32 v4, 0x380, v4
	global_load_dwordx2 v[16:17], v[30:31], off
	v_add_co_u32 v30, vcc_lo, s12, v34
	v_add_co_ci_u32_e64 v31, null, s13, v35, vcc_lo
	v_add_co_u32 v5, vcc_lo, s12, v5
	v_add_co_ci_u32_e64 v6, null, s13, v6, vcc_lo
	s_clause 0x2
	global_load_dword v30, v[30:31], off
	global_load_dword v5, v[5:6], off
	;; [unrolled: 1-line block ×3, first 2 shown]
	v_cmp_ge_i32_e32 vcc_lo, v2, v11
	s_or_b32 s0, vcc_lo, s0
	s_waitcnt vmcnt(27)
	v_fmac_f32_e32 v9, v12, v20
	v_fmac_f32_e32 v10, v8, v20
	;; [unrolled: 1-line block ×4, first 2 shown]
	s_waitcnt vmcnt(26)
	v_fmac_f32_e32 v9, v14, v22
	v_fmac_f32_e32 v10, v3, v22
	;; [unrolled: 1-line block ×3, first 2 shown]
	s_waitcnt vmcnt(25)
	v_fmac_f32_e32 v10, v39, v23
	s_waitcnt vmcnt(23)
	v_fmac_f32_e32 v9, v40, v24
	s_waitcnt vmcnt(22)
	v_fmac_f32_e32 v10, v41, v24
	s_waitcnt vmcnt(21)
	v_fmac_f32_e32 v9, v42, v25
	s_waitcnt vmcnt(20)
	v_fmac_f32_e32 v10, v43, v25
	s_waitcnt vmcnt(18)
	v_fmac_f32_e32 v9, v44, v28
	s_waitcnt vmcnt(17)
	v_fmac_f32_e32 v10, v45, v28
	s_waitcnt vmcnt(16)
	v_fmac_f32_e32 v9, v46, v29
	s_waitcnt vmcnt(15)
	v_fmac_f32_e32 v10, v47, v29
	s_waitcnt vmcnt(12)
	v_fmac_f32_e32 v9, v48, v26
	v_fmac_f32_e32 v10, v49, v26
	s_waitcnt vmcnt(11)
	v_fmac_f32_e32 v9, v50, v27
	s_waitcnt vmcnt(10)
	;; [unrolled: 2-line block ×10, first 2 shown]
	v_fmac_f32_e32 v10, v6, v17
	s_andn2_b32 exec_lo, exec_lo, s0
	s_cbranch_execnz .LBB63_15
; %bb.16:
	s_or_b32 exec_lo, exec_lo, s0
.LBB63_17:
	s_or_b32 exec_lo, exec_lo, s1
.LBB63_18:
	v_mbcnt_lo_u32_b32 v2, -1, 0
	s_mov_b32 s3, -1
	v_xor_b32_e32 v3, 16, v2
	v_xor_b32_e32 v5, 8, v2
	;; [unrolled: 1-line block ×3, first 2 shown]
	v_cmp_gt_i32_e32 vcc_lo, 32, v3
	v_cndmask_b32_e32 v3, v2, v3, vcc_lo
	v_cmp_gt_i32_e32 vcc_lo, 32, v5
	v_lshlrev_b32_e32 v3, 2, v3
	v_cndmask_b32_e32 v5, v2, v5, vcc_lo
	v_cmp_gt_i32_e32 vcc_lo, 32, v7
	ds_bpermute_b32 v4, v3, v9
	ds_bpermute_b32 v3, v3, v10
	v_lshlrev_b32_e32 v5, 2, v5
	v_cndmask_b32_e32 v7, v2, v7, vcc_lo
	v_lshlrev_b32_e32 v7, 2, v7
	s_waitcnt lgkmcnt(1)
	v_add_f32_e32 v4, v9, v4
	s_waitcnt lgkmcnt(0)
	v_add_f32_e32 v3, v10, v3
	ds_bpermute_b32 v6, v5, v4
	ds_bpermute_b32 v5, v5, v3
	s_waitcnt lgkmcnt(1)
	v_add_f32_e32 v4, v4, v6
	s_waitcnt lgkmcnt(0)
	v_add_f32_e32 v3, v3, v5
	ds_bpermute_b32 v5, v7, v4
	ds_bpermute_b32 v6, v7, v3
	v_xor_b32_e32 v7, 2, v2
	v_cmp_gt_i32_e32 vcc_lo, 32, v7
	v_cndmask_b32_e32 v7, v2, v7, vcc_lo
	v_lshlrev_b32_e32 v7, 2, v7
	s_waitcnt lgkmcnt(1)
	v_add_f32_e32 v4, v4, v5
	s_waitcnt lgkmcnt(0)
	v_add_f32_e32 v3, v3, v6
	ds_bpermute_b32 v5, v7, v4
	ds_bpermute_b32 v6, v7, v3
	v_xor_b32_e32 v7, 1, v2
	v_cmp_gt_i32_e32 vcc_lo, 32, v7
	v_cndmask_b32_e32 v2, v2, v7, vcc_lo
	v_cmp_eq_u32_e32 vcc_lo, 31, v0
	v_lshlrev_b32_e32 v7, 2, v2
	s_waitcnt lgkmcnt(1)
	v_add_f32_e32 v2, v4, v5
	s_waitcnt lgkmcnt(0)
	v_add_f32_e32 v3, v3, v6
	ds_bpermute_b32 v4, v7, v2
	ds_bpermute_b32 v5, v7, v3
	s_and_b32 exec_lo, exec_lo, vcc_lo
	s_cbranch_execz .LBB63_23
; %bb.19:
	s_load_dwordx2 s[0:1], s[4:5], 0x38
	s_waitcnt lgkmcnt(0)
	v_add_f32_e32 v0, v2, v4
	v_add_f32_e32 v3, v3, v5
	v_cmp_eq_f32_e64 s4, s2, 0
	v_mul_f32_e32 v2, s16, v0
	v_mul_f32_e32 v3, s16, v3
	v_lshlrev_b32_e32 v0, 1, v1
	s_and_b32 vcc_lo, exec_lo, s4
	s_cbranch_vccz .LBB63_21
; %bb.20:
	v_ashrrev_i32_e32 v1, 31, v0
	s_mov_b32 s3, 0
	v_lshlrev_b64 v[4:5], 2, v[0:1]
	v_add_co_u32 v4, vcc_lo, s0, v4
	v_add_co_ci_u32_e64 v5, null, s1, v5, vcc_lo
	global_store_dwordx2 v[4:5], v[2:3], off
.LBB63_21:
	s_andn2_b32 vcc_lo, exec_lo, s3
	s_cbranch_vccnz .LBB63_23
; %bb.22:
	v_ashrrev_i32_e32 v1, 31, v0
	v_lshlrev_b64 v[0:1], 2, v[0:1]
	v_add_co_u32 v0, vcc_lo, s0, v0
	v_add_co_ci_u32_e64 v1, null, s1, v1, vcc_lo
	global_load_dwordx2 v[4:5], v[0:1], off
	s_waitcnt vmcnt(0)
	v_fmac_f32_e32 v2, s2, v4
	v_fmac_f32_e32 v3, s2, v5
	global_store_dwordx2 v[0:1], v[2:3], off
.LBB63_23:
	s_endpgm
	.section	.rodata,"a",@progbits
	.p2align	6, 0x0
	.amdhsa_kernel _ZN9rocsparseL19gebsrmvn_2xn_kernelILj128ELj14ELj32EfEEvi20rocsparse_direction_NS_24const_host_device_scalarIT2_EEPKiS6_PKS3_S8_S4_PS3_21rocsparse_index_base_b
		.amdhsa_group_segment_fixed_size 0
		.amdhsa_private_segment_fixed_size 0
		.amdhsa_kernarg_size 72
		.amdhsa_user_sgpr_count 6
		.amdhsa_user_sgpr_private_segment_buffer 1
		.amdhsa_user_sgpr_dispatch_ptr 0
		.amdhsa_user_sgpr_queue_ptr 0
		.amdhsa_user_sgpr_kernarg_segment_ptr 1
		.amdhsa_user_sgpr_dispatch_id 0
		.amdhsa_user_sgpr_flat_scratch_init 0
		.amdhsa_user_sgpr_private_segment_size 0
		.amdhsa_wavefront_size32 1
		.amdhsa_uses_dynamic_stack 0
		.amdhsa_system_sgpr_private_segment_wavefront_offset 0
		.amdhsa_system_sgpr_workgroup_id_x 1
		.amdhsa_system_sgpr_workgroup_id_y 0
		.amdhsa_system_sgpr_workgroup_id_z 0
		.amdhsa_system_sgpr_workgroup_info 0
		.amdhsa_system_vgpr_workitem_id 0
		.amdhsa_next_free_vgpr 55
		.amdhsa_next_free_sgpr 20
		.amdhsa_reserve_vcc 1
		.amdhsa_reserve_flat_scratch 0
		.amdhsa_float_round_mode_32 0
		.amdhsa_float_round_mode_16_64 0
		.amdhsa_float_denorm_mode_32 3
		.amdhsa_float_denorm_mode_16_64 3
		.amdhsa_dx10_clamp 1
		.amdhsa_ieee_mode 1
		.amdhsa_fp16_overflow 0
		.amdhsa_workgroup_processor_mode 1
		.amdhsa_memory_ordered 1
		.amdhsa_forward_progress 1
		.amdhsa_shared_vgpr_count 0
		.amdhsa_exception_fp_ieee_invalid_op 0
		.amdhsa_exception_fp_denorm_src 0
		.amdhsa_exception_fp_ieee_div_zero 0
		.amdhsa_exception_fp_ieee_overflow 0
		.amdhsa_exception_fp_ieee_underflow 0
		.amdhsa_exception_fp_ieee_inexact 0
		.amdhsa_exception_int_div_zero 0
	.end_amdhsa_kernel
	.section	.text._ZN9rocsparseL19gebsrmvn_2xn_kernelILj128ELj14ELj32EfEEvi20rocsparse_direction_NS_24const_host_device_scalarIT2_EEPKiS6_PKS3_S8_S4_PS3_21rocsparse_index_base_b,"axG",@progbits,_ZN9rocsparseL19gebsrmvn_2xn_kernelILj128ELj14ELj32EfEEvi20rocsparse_direction_NS_24const_host_device_scalarIT2_EEPKiS6_PKS3_S8_S4_PS3_21rocsparse_index_base_b,comdat
.Lfunc_end63:
	.size	_ZN9rocsparseL19gebsrmvn_2xn_kernelILj128ELj14ELj32EfEEvi20rocsparse_direction_NS_24const_host_device_scalarIT2_EEPKiS6_PKS3_S8_S4_PS3_21rocsparse_index_base_b, .Lfunc_end63-_ZN9rocsparseL19gebsrmvn_2xn_kernelILj128ELj14ELj32EfEEvi20rocsparse_direction_NS_24const_host_device_scalarIT2_EEPKiS6_PKS3_S8_S4_PS3_21rocsparse_index_base_b
                                        ; -- End function
	.set _ZN9rocsparseL19gebsrmvn_2xn_kernelILj128ELj14ELj32EfEEvi20rocsparse_direction_NS_24const_host_device_scalarIT2_EEPKiS6_PKS3_S8_S4_PS3_21rocsparse_index_base_b.num_vgpr, 55
	.set _ZN9rocsparseL19gebsrmvn_2xn_kernelILj128ELj14ELj32EfEEvi20rocsparse_direction_NS_24const_host_device_scalarIT2_EEPKiS6_PKS3_S8_S4_PS3_21rocsparse_index_base_b.num_agpr, 0
	.set _ZN9rocsparseL19gebsrmvn_2xn_kernelILj128ELj14ELj32EfEEvi20rocsparse_direction_NS_24const_host_device_scalarIT2_EEPKiS6_PKS3_S8_S4_PS3_21rocsparse_index_base_b.numbered_sgpr, 20
	.set _ZN9rocsparseL19gebsrmvn_2xn_kernelILj128ELj14ELj32EfEEvi20rocsparse_direction_NS_24const_host_device_scalarIT2_EEPKiS6_PKS3_S8_S4_PS3_21rocsparse_index_base_b.num_named_barrier, 0
	.set _ZN9rocsparseL19gebsrmvn_2xn_kernelILj128ELj14ELj32EfEEvi20rocsparse_direction_NS_24const_host_device_scalarIT2_EEPKiS6_PKS3_S8_S4_PS3_21rocsparse_index_base_b.private_seg_size, 0
	.set _ZN9rocsparseL19gebsrmvn_2xn_kernelILj128ELj14ELj32EfEEvi20rocsparse_direction_NS_24const_host_device_scalarIT2_EEPKiS6_PKS3_S8_S4_PS3_21rocsparse_index_base_b.uses_vcc, 1
	.set _ZN9rocsparseL19gebsrmvn_2xn_kernelILj128ELj14ELj32EfEEvi20rocsparse_direction_NS_24const_host_device_scalarIT2_EEPKiS6_PKS3_S8_S4_PS3_21rocsparse_index_base_b.uses_flat_scratch, 0
	.set _ZN9rocsparseL19gebsrmvn_2xn_kernelILj128ELj14ELj32EfEEvi20rocsparse_direction_NS_24const_host_device_scalarIT2_EEPKiS6_PKS3_S8_S4_PS3_21rocsparse_index_base_b.has_dyn_sized_stack, 0
	.set _ZN9rocsparseL19gebsrmvn_2xn_kernelILj128ELj14ELj32EfEEvi20rocsparse_direction_NS_24const_host_device_scalarIT2_EEPKiS6_PKS3_S8_S4_PS3_21rocsparse_index_base_b.has_recursion, 0
	.set _ZN9rocsparseL19gebsrmvn_2xn_kernelILj128ELj14ELj32EfEEvi20rocsparse_direction_NS_24const_host_device_scalarIT2_EEPKiS6_PKS3_S8_S4_PS3_21rocsparse_index_base_b.has_indirect_call, 0
	.section	.AMDGPU.csdata,"",@progbits
; Kernel info:
; codeLenInByte = 3180
; TotalNumSgprs: 22
; NumVgprs: 55
; ScratchSize: 0
; MemoryBound: 0
; FloatMode: 240
; IeeeMode: 1
; LDSByteSize: 0 bytes/workgroup (compile time only)
; SGPRBlocks: 0
; VGPRBlocks: 6
; NumSGPRsForWavesPerEU: 22
; NumVGPRsForWavesPerEU: 55
; Occupancy: 16
; WaveLimiterHint : 1
; COMPUTE_PGM_RSRC2:SCRATCH_EN: 0
; COMPUTE_PGM_RSRC2:USER_SGPR: 6
; COMPUTE_PGM_RSRC2:TRAP_HANDLER: 0
; COMPUTE_PGM_RSRC2:TGID_X_EN: 1
; COMPUTE_PGM_RSRC2:TGID_Y_EN: 0
; COMPUTE_PGM_RSRC2:TGID_Z_EN: 0
; COMPUTE_PGM_RSRC2:TIDIG_COMP_CNT: 0
	.section	.text._ZN9rocsparseL19gebsrmvn_2xn_kernelILj128ELj14ELj64EfEEvi20rocsparse_direction_NS_24const_host_device_scalarIT2_EEPKiS6_PKS3_S8_S4_PS3_21rocsparse_index_base_b,"axG",@progbits,_ZN9rocsparseL19gebsrmvn_2xn_kernelILj128ELj14ELj64EfEEvi20rocsparse_direction_NS_24const_host_device_scalarIT2_EEPKiS6_PKS3_S8_S4_PS3_21rocsparse_index_base_b,comdat
	.globl	_ZN9rocsparseL19gebsrmvn_2xn_kernelILj128ELj14ELj64EfEEvi20rocsparse_direction_NS_24const_host_device_scalarIT2_EEPKiS6_PKS3_S8_S4_PS3_21rocsparse_index_base_b ; -- Begin function _ZN9rocsparseL19gebsrmvn_2xn_kernelILj128ELj14ELj64EfEEvi20rocsparse_direction_NS_24const_host_device_scalarIT2_EEPKiS6_PKS3_S8_S4_PS3_21rocsparse_index_base_b
	.p2align	8
	.type	_ZN9rocsparseL19gebsrmvn_2xn_kernelILj128ELj14ELj64EfEEvi20rocsparse_direction_NS_24const_host_device_scalarIT2_EEPKiS6_PKS3_S8_S4_PS3_21rocsparse_index_base_b,@function
_ZN9rocsparseL19gebsrmvn_2xn_kernelILj128ELj14ELj64EfEEvi20rocsparse_direction_NS_24const_host_device_scalarIT2_EEPKiS6_PKS3_S8_S4_PS3_21rocsparse_index_base_b: ; @_ZN9rocsparseL19gebsrmvn_2xn_kernelILj128ELj14ELj64EfEEvi20rocsparse_direction_NS_24const_host_device_scalarIT2_EEPKiS6_PKS3_S8_S4_PS3_21rocsparse_index_base_b
; %bb.0:
	s_clause 0x2
	s_load_dwordx2 s[18:19], s[4:5], 0x40
	s_load_dwordx2 s[16:17], s[4:5], 0x8
	;; [unrolled: 1-line block ×3, first 2 shown]
	s_waitcnt lgkmcnt(0)
	s_bitcmp1_b32 s19, 0
	s_cselect_b32 s0, -1, 0
	s_and_b32 vcc_lo, exec_lo, s0
	s_xor_b32 s0, s0, -1
	s_cbranch_vccnz .LBB64_2
; %bb.1:
	s_load_dword s16, s[16:17], 0x0
.LBB64_2:
	s_andn2_b32 vcc_lo, exec_lo, s0
	s_cbranch_vccnz .LBB64_4
; %bb.3:
	s_load_dword s2, s[2:3], 0x0
.LBB64_4:
	s_waitcnt lgkmcnt(0)
	v_cmp_eq_f32_e64 s0, s16, 0
	v_cmp_eq_f32_e64 s1, s2, 1.0
	s_and_b32 s0, s0, s1
	s_and_b32 vcc_lo, exec_lo, s0
	s_cbranch_vccnz .LBB64_23
; %bb.5:
	s_load_dwordx2 s[0:1], s[4:5], 0x0
	v_lshrrev_b32_e32 v1, 6, v0
	v_lshl_or_b32 v1, s6, 1, v1
	s_waitcnt lgkmcnt(0)
	v_cmp_gt_i32_e32 vcc_lo, s0, v1
	s_and_saveexec_b32 s0, vcc_lo
	s_cbranch_execz .LBB64_23
; %bb.6:
	s_load_dwordx8 s[8:15], s[4:5], 0x10
	v_ashrrev_i32_e32 v2, 31, v1
	v_and_b32_e32 v0, 63, v0
	s_cmp_lg_u32 s1, 0
	v_lshlrev_b64 v[2:3], 2, v[1:2]
	s_waitcnt lgkmcnt(0)
	v_add_co_u32 v2, vcc_lo, s8, v2
	v_add_co_ci_u32_e64 v3, null, s9, v3, vcc_lo
	global_load_dwordx2 v[2:3], v[2:3], off
	s_waitcnt vmcnt(0)
	v_subrev_nc_u32_e32 v2, s18, v2
	v_subrev_nc_u32_e32 v11, s18, v3
	v_add_nc_u32_e32 v2, v2, v0
	v_cmp_lt_i32_e64 s0, v2, v11
	s_cbranch_scc0 .LBB64_12
; %bb.7:
	v_mov_b32_e32 v9, 0
	v_mov_b32_e32 v10, 0
	s_and_saveexec_b32 s3, s0
	s_cbranch_execz .LBB64_11
; %bb.8:
	v_mad_u64_u32 v[3:4], null, v2, 28, 26
	v_mov_b32_e32 v6, 0
	v_mov_b32_e32 v7, v2
	;; [unrolled: 1-line block ×4, first 2 shown]
	s_mov_b32 s6, 0
.LBB64_9:                               ; =>This Inner Loop Header: Depth=1
	v_ashrrev_i32_e32 v8, 31, v7
	v_mov_b32_e32 v17, v6
	v_lshlrev_b64 v[4:5], 2, v[7:8]
	v_add_nc_u32_e32 v7, 64, v7
	v_add_co_u32 v4, vcc_lo, s10, v4
	v_add_co_ci_u32_e64 v5, null, s11, v5, vcc_lo
	global_load_dword v8, v[4:5], off
	v_subrev_nc_u32_e32 v5, 26, v3
	v_mov_b32_e32 v4, v6
	v_lshlrev_b64 v[12:13], 2, v[5:6]
	v_subrev_nc_u32_e32 v5, 22, v3
	v_lshlrev_b64 v[18:19], 2, v[3:4]
	v_lshlrev_b64 v[4:5], 2, v[5:6]
	v_add_co_u32 v12, vcc_lo, s12, v12
	v_add_co_ci_u32_e64 v13, null, s13, v13, vcc_lo
	v_add_co_u32 v18, vcc_lo, s12, v18
	v_add_co_u32 v4, s1, s12, v4
	v_add_co_ci_u32_e64 v5, null, s13, v5, s1
	s_clause 0x1
	global_load_dwordx4 v[12:15], v[12:13], off
	global_load_dwordx2 v[20:21], v[4:5], off
	v_add_co_ci_u32_e64 v19, null, s13, v19, vcc_lo
	v_cmp_ge_i32_e32 vcc_lo, v7, v11
	s_or_b32 s6, vcc_lo, s6
	s_waitcnt vmcnt(2)
	v_subrev_nc_u32_e32 v4, s18, v8
	v_mul_lo_u32 v16, v4, 14
	v_add_nc_u32_e32 v5, 2, v16
	v_lshlrev_b64 v[22:23], 2, v[16:17]
	v_lshlrev_b64 v[24:25], 2, v[5:6]
	v_subrev_nc_u32_e32 v5, 20, v3
	v_add_co_u32 v22, s1, s14, v22
	v_add_co_ci_u32_e64 v23, null, s15, v23, s1
	v_lshlrev_b64 v[26:27], 2, v[5:6]
	v_subrev_nc_u32_e32 v5, 18, v3
	v_add_co_u32 v24, s1, s14, v24
	global_load_dwordx2 v[22:23], v[22:23], off
	v_add_co_ci_u32_e64 v25, null, s15, v25, s1
	v_lshlrev_b64 v[28:29], 2, v[5:6]
	v_add_nc_u32_e32 v5, 4, v16
	v_add_co_u32 v26, s1, s12, v26
	v_add_co_ci_u32_e64 v27, null, s13, v27, s1
	v_lshlrev_b64 v[30:31], 2, v[5:6]
	v_add_nc_u32_e32 v5, -16, v3
	global_load_dwordx2 v[24:25], v[24:25], off
	v_add_co_u32 v28, s1, s12, v28
	v_add_co_ci_u32_e64 v29, null, s13, v29, s1
	v_lshlrev_b64 v[32:33], 2, v[5:6]
	v_add_nc_u32_e32 v5, -14, v3
	v_add_co_u32 v30, s1, s14, v30
	s_clause 0x1
	global_load_dwordx2 v[26:27], v[26:27], off
	global_load_dwordx2 v[28:29], v[28:29], off
	v_lshlrev_b64 v[34:35], 2, v[5:6]
	v_add_nc_u32_e32 v5, 6, v16
	v_add_co_ci_u32_e64 v31, null, s15, v31, s1
	v_add_co_u32 v32, s1, s12, v32
	v_lshlrev_b64 v[36:37], 2, v[5:6]
	v_add_nc_u32_e32 v5, -12, v3
	global_load_dwordx2 v[30:31], v[30:31], off
	v_add_co_ci_u32_e64 v33, null, s13, v33, s1
	v_add_co_u32 v34, s1, s12, v34
	v_lshlrev_b64 v[38:39], 2, v[5:6]
	v_add_nc_u32_e32 v5, -10, v3
	v_add_co_ci_u32_e64 v35, null, s13, v35, s1
	v_add_co_u32 v36, s1, s14, v36
	v_lshlrev_b64 v[40:41], 2, v[5:6]
	v_add_nc_u32_e32 v5, 8, v16
	s_clause 0x1
	global_load_dwordx2 v[32:33], v[32:33], off
	global_load_dwordx2 v[34:35], v[34:35], off
	v_add_co_ci_u32_e64 v37, null, s15, v37, s1
	v_lshlrev_b64 v[42:43], 2, v[5:6]
	v_add_nc_u32_e32 v5, -8, v3
	v_add_co_u32 v38, s1, s12, v38
	v_add_co_ci_u32_e64 v39, null, s13, v39, s1
	v_lshlrev_b64 v[44:45], 2, v[5:6]
	v_add_nc_u32_e32 v5, -6, v3
	global_load_dwordx2 v[36:37], v[36:37], off
	v_add_co_u32 v40, s1, s12, v40
	v_add_co_ci_u32_e64 v41, null, s13, v41, s1
	v_lshlrev_b64 v[46:47], 2, v[5:6]
	v_add_nc_u32_e32 v5, 10, v16
	v_add_co_u32 v42, s1, s14, v42
	s_clause 0x1
	global_load_dwordx2 v[38:39], v[38:39], off
	global_load_dwordx2 v[40:41], v[40:41], off
	v_lshlrev_b64 v[48:49], 2, v[5:6]
	v_add_nc_u32_e32 v5, -4, v3
	v_add_co_ci_u32_e64 v43, null, s15, v43, s1
	v_add_co_u32 v44, s1, s12, v44
	v_lshlrev_b64 v[50:51], 2, v[5:6]
	v_add_nc_u32_e32 v5, -2, v3
	global_load_dwordx2 v[42:43], v[42:43], off
	v_add_co_ci_u32_e64 v45, null, s13, v45, s1
	v_add_co_u32 v46, s1, s12, v46
	v_add_co_ci_u32_e64 v47, null, s13, v47, s1
	v_add_co_u32 v48, s1, s14, v48
	v_lshlrev_b64 v[52:53], 2, v[5:6]
	v_add_nc_u32_e32 v5, 12, v16
	s_clause 0x1
	global_load_dwordx2 v[44:45], v[44:45], off
	global_load_dwordx2 v[46:47], v[46:47], off
	v_add_co_ci_u32_e64 v49, null, s15, v49, s1
	v_add_co_u32 v16, s1, s12, v50
	v_lshlrev_b64 v[4:5], 2, v[5:6]
	v_add_co_ci_u32_e64 v17, null, s13, v51, s1
	global_load_dwordx2 v[48:49], v[48:49], off
	v_add_co_u32 v50, s1, s12, v52
	global_load_dwordx2 v[16:17], v[16:17], off
	v_add_co_ci_u32_e64 v51, null, s13, v53, s1
	v_add_co_u32 v4, s1, s14, v4
	v_add_co_ci_u32_e64 v5, null, s15, v5, s1
	global_load_dwordx2 v[50:51], v[50:51], off
	global_load_dwordx2 v[4:5], v[4:5], off
	;; [unrolled: 1-line block ×3, first 2 shown]
	v_add_nc_u32_e32 v3, 0x700, v3
	s_waitcnt vmcnt(17)
	v_fmac_f32_e32 v9, v12, v22
	v_fmac_f32_e32 v10, v13, v22
	;; [unrolled: 1-line block ×4, first 2 shown]
	s_waitcnt vmcnt(16)
	v_fmac_f32_e32 v9, v20, v24
	v_fmac_f32_e32 v10, v21, v24
	s_waitcnt vmcnt(15)
	v_fmac_f32_e32 v9, v26, v25
	v_fmac_f32_e32 v10, v27, v25
	;; [unrolled: 3-line block ×12, first 2 shown]
	s_andn2_b32 exec_lo, exec_lo, s6
	s_cbranch_execnz .LBB64_9
; %bb.10:
	s_or_b32 exec_lo, exec_lo, s6
.LBB64_11:
	s_or_b32 exec_lo, exec_lo, s3
	s_cbranch_execz .LBB64_13
	s_branch .LBB64_18
.LBB64_12:
                                        ; implicit-def: $vgpr9
                                        ; implicit-def: $vgpr10
.LBB64_13:
	v_mov_b32_e32 v9, 0
	v_mov_b32_e32 v10, 0
	s_and_saveexec_b32 s1, s0
	s_cbranch_execz .LBB64_17
; %bb.14:
	v_mad_u64_u32 v[4:5], null, v2, 28, 27
	v_mov_b32_e32 v7, 0
	v_mov_b32_e32 v9, 0
	;; [unrolled: 1-line block ×3, first 2 shown]
	s_mov_b32 s0, 0
.LBB64_15:                              ; =>This Inner Loop Header: Depth=1
	v_ashrrev_i32_e32 v3, 31, v2
	v_add_nc_u32_e32 v12, -13, v4
	v_mov_b32_e32 v13, v7
	v_mov_b32_e32 v17, v7
	v_lshlrev_b64 v[5:6], 2, v[2:3]
	v_add_nc_u32_e32 v2, 64, v2
	v_lshlrev_b64 v[12:13], 2, v[12:13]
	v_add_co_u32 v5, vcc_lo, s10, v5
	v_add_co_ci_u32_e64 v6, null, s11, v6, vcc_lo
	global_load_dword v3, v[5:6], off
	v_subrev_nc_u32_e32 v6, 27, v4
	v_mov_b32_e32 v5, v7
	v_lshlrev_b64 v[14:15], 2, v[6:7]
	v_add_nc_u32_e32 v6, -12, v4
	v_lshlrev_b64 v[18:19], 2, v[4:5]
	v_lshlrev_b64 v[5:6], 2, v[6:7]
	v_add_co_u32 v14, vcc_lo, s12, v14
	v_add_co_ci_u32_e64 v15, null, s13, v15, vcc_lo
	v_add_co_u32 v20, vcc_lo, s12, v12
	v_add_co_ci_u32_e64 v21, null, s13, v13, vcc_lo
	;; [unrolled: 2-line block ×4, first 2 shown]
	s_clause 0x2
	global_load_dwordx4 v[12:15], v[14:15], off
	global_load_dword v8, v[20:21], off
	global_load_dword v38, v[5:6], off
	s_waitcnt vmcnt(3)
	v_subrev_nc_u32_e32 v3, s18, v3
	v_mul_lo_u32 v16, v3, 14
	v_add_nc_u32_e32 v6, 2, v16
	v_lshlrev_b64 v[20:21], 2, v[16:17]
	v_lshlrev_b64 v[22:23], 2, v[6:7]
	v_add_nc_u32_e32 v6, -11, v4
	v_add_co_u32 v20, vcc_lo, s14, v20
	v_add_co_ci_u32_e64 v21, null, s15, v21, vcc_lo
	v_lshlrev_b64 v[24:25], 2, v[6:7]
	v_add_nc_u32_e32 v6, -10, v4
	v_add_co_u32 v22, vcc_lo, s14, v22
	v_add_co_ci_u32_e64 v23, null, s15, v23, vcc_lo
	v_lshlrev_b64 v[26:27], 2, v[6:7]
	v_subrev_nc_u32_e32 v6, 23, v4
	v_add_co_u32 v24, vcc_lo, s12, v24
	v_add_co_ci_u32_e64 v25, null, s13, v25, vcc_lo
	v_add_co_u32 v26, vcc_lo, s12, v26
	v_lshlrev_b64 v[28:29], 2, v[6:7]
	v_add_nc_u32_e32 v6, 4, v16
	v_add_co_ci_u32_e64 v27, null, s13, v27, vcc_lo
	global_load_dword v3, v[24:25], off
	s_clause 0x1
	global_load_dwordx2 v[20:21], v[20:21], off
	global_load_dwordx2 v[22:23], v[22:23], off
	global_load_dword v39, v[26:27], off
	v_lshlrev_b64 v[24:25], 2, v[6:7]
	v_add_nc_u32_e32 v6, -9, v4
	v_add_co_u32 v26, vcc_lo, s12, v28
	v_add_co_ci_u32_e64 v27, null, s13, v29, vcc_lo
	v_lshlrev_b64 v[28:29], 2, v[6:7]
	v_add_co_u32 v24, vcc_lo, s14, v24
	v_add_co_ci_u32_e64 v25, null, s15, v25, vcc_lo
	v_subrev_nc_u32_e32 v6, 22, v4
	v_add_co_u32 v28, vcc_lo, s12, v28
	v_add_co_ci_u32_e64 v29, null, s13, v29, vcc_lo
	global_load_dword v40, v[26:27], off
	global_load_dwordx2 v[24:25], v[24:25], off
	global_load_dword v41, v[28:29], off
	v_lshlrev_b64 v[26:27], 2, v[6:7]
	v_add_nc_u32_e32 v6, -8, v4
	v_lshlrev_b64 v[30:31], 2, v[6:7]
	v_subrev_nc_u32_e32 v6, 21, v4
	v_add_co_u32 v26, vcc_lo, s12, v26
	v_add_co_ci_u32_e64 v27, null, s13, v27, vcc_lo
	v_lshlrev_b64 v[28:29], 2, v[6:7]
	v_add_nc_u32_e32 v6, 6, v16
	global_load_dword v42, v[26:27], off
	v_add_co_u32 v26, vcc_lo, s12, v30
	v_add_co_ci_u32_e64 v27, null, s13, v31, vcc_lo
	v_add_co_u32 v28, vcc_lo, s12, v28
	v_lshlrev_b64 v[30:31], 2, v[6:7]
	v_add_nc_u32_e32 v6, -7, v4
	v_add_co_ci_u32_e64 v29, null, s13, v29, vcc_lo
	s_clause 0x1
	global_load_dword v43, v[26:27], off
	global_load_dword v44, v[28:29], off
	v_lshlrev_b64 v[26:27], 2, v[6:7]
	v_subrev_nc_u32_e32 v6, 20, v4
	v_add_co_u32 v28, vcc_lo, s14, v30
	v_add_co_ci_u32_e64 v29, null, s15, v31, vcc_lo
	v_lshlrev_b64 v[30:31], 2, v[6:7]
	v_add_nc_u32_e32 v6, -6, v4
	v_add_co_u32 v26, vcc_lo, s12, v26
	v_add_co_ci_u32_e64 v27, null, s13, v27, vcc_lo
	v_lshlrev_b64 v[32:33], 2, v[6:7]
	v_subrev_nc_u32_e32 v6, 19, v4
	global_load_dwordx2 v[28:29], v[28:29], off
	global_load_dword v45, v[26:27], off
	v_add_co_u32 v26, vcc_lo, s12, v30
	v_add_co_ci_u32_e64 v27, null, s13, v31, vcc_lo
	v_lshlrev_b64 v[30:31], 2, v[6:7]
	v_add_nc_u32_e32 v6, 8, v16
	v_add_co_u32 v32, vcc_lo, s12, v32
	v_add_co_ci_u32_e64 v33, null, s13, v33, vcc_lo
	v_add_co_u32 v30, vcc_lo, s12, v30
	global_load_dword v46, v[26:27], off
	v_lshlrev_b64 v[26:27], 2, v[6:7]
	v_add_nc_u32_e32 v6, -5, v4
	v_add_co_ci_u32_e64 v31, null, s13, v31, vcc_lo
	global_load_dword v47, v[32:33], off
	v_add_co_u32 v26, vcc_lo, s14, v26
	global_load_dword v48, v[30:31], off
	v_lshlrev_b64 v[32:33], 2, v[6:7]
	v_subrev_nc_u32_e32 v6, 18, v4
	v_add_co_ci_u32_e64 v27, null, s15, v27, vcc_lo
	v_lshlrev_b64 v[30:31], 2, v[6:7]
	v_add_nc_u32_e32 v6, -4, v4
	v_add_co_u32 v32, vcc_lo, s12, v32
	v_add_co_ci_u32_e64 v33, null, s13, v33, vcc_lo
	v_add_co_u32 v30, vcc_lo, s12, v30
	v_lshlrev_b64 v[34:35], 2, v[6:7]
	v_subrev_nc_u32_e32 v6, 17, v4
	v_add_co_ci_u32_e64 v31, null, s13, v31, vcc_lo
	global_load_dword v49, v[32:33], off
	global_load_dwordx2 v[26:27], v[26:27], off
	global_load_dword v50, v[30:31], off
	v_lshlrev_b64 v[32:33], 2, v[6:7]
	v_add_nc_u32_e32 v6, 10, v16
	v_add_co_u32 v30, vcc_lo, s12, v34
	v_add_co_ci_u32_e64 v31, null, s13, v35, vcc_lo
	v_add_co_u32 v32, vcc_lo, s12, v32
	v_lshlrev_b64 v[34:35], 2, v[6:7]
	v_add_nc_u32_e32 v6, -3, v4
	v_add_co_ci_u32_e64 v33, null, s13, v33, vcc_lo
	s_clause 0x1
	global_load_dword v51, v[30:31], off
	global_load_dword v52, v[32:33], off
	v_lshlrev_b64 v[30:31], 2, v[6:7]
	v_add_nc_u32_e32 v6, -16, v4
	v_add_co_u32 v32, vcc_lo, s14, v34
	v_add_co_ci_u32_e64 v33, null, s15, v35, vcc_lo
	v_lshlrev_b64 v[34:35], 2, v[6:7]
	v_add_nc_u32_e32 v6, -2, v4
	v_add_co_u32 v30, vcc_lo, s12, v30
	v_add_co_ci_u32_e64 v31, null, s13, v31, vcc_lo
	v_lshlrev_b64 v[36:37], 2, v[6:7]
	v_add_nc_u32_e32 v6, -15, v4
	global_load_dwordx2 v[32:33], v[32:33], off
	global_load_dword v53, v[30:31], off
	v_add_co_u32 v30, vcc_lo, s12, v34
	v_add_co_ci_u32_e64 v31, null, s13, v35, vcc_lo
	v_lshlrev_b64 v[34:35], 2, v[6:7]
	v_add_nc_u32_e32 v6, 12, v16
	v_add_co_u32 v16, vcc_lo, s12, v36
	v_add_co_ci_u32_e64 v17, null, s13, v37, vcc_lo
	global_load_dword v36, v[30:31], off
	v_lshlrev_b64 v[30:31], 2, v[6:7]
	v_add_nc_u32_e32 v6, -1, v4
	global_load_dword v37, v[16:17], off
	v_add_co_u32 v16, vcc_lo, s12, v34
	v_add_co_ci_u32_e64 v17, null, s13, v35, vcc_lo
	v_lshlrev_b64 v[34:35], 2, v[6:7]
	v_add_nc_u32_e32 v6, -14, v4
	v_add_co_u32 v30, vcc_lo, s14, v30
	v_add_co_ci_u32_e64 v31, null, s15, v31, vcc_lo
	v_lshlrev_b64 v[5:6], 2, v[6:7]
	global_load_dword v54, v[16:17], off
	v_add_nc_u32_e32 v4, 0x700, v4
	global_load_dwordx2 v[16:17], v[30:31], off
	v_add_co_u32 v30, vcc_lo, s12, v34
	v_add_co_ci_u32_e64 v31, null, s13, v35, vcc_lo
	v_add_co_u32 v5, vcc_lo, s12, v5
	v_add_co_ci_u32_e64 v6, null, s13, v6, vcc_lo
	s_clause 0x2
	global_load_dword v30, v[30:31], off
	global_load_dword v5, v[5:6], off
	;; [unrolled: 1-line block ×3, first 2 shown]
	v_cmp_ge_i32_e32 vcc_lo, v2, v11
	s_or_b32 s0, vcc_lo, s0
	s_waitcnt vmcnt(27)
	v_fmac_f32_e32 v9, v12, v20
	v_fmac_f32_e32 v10, v8, v20
	v_fmac_f32_e32 v9, v13, v21
	v_fmac_f32_e32 v10, v38, v21
	s_waitcnt vmcnt(26)
	v_fmac_f32_e32 v9, v14, v22
	v_fmac_f32_e32 v10, v3, v22
	;; [unrolled: 1-line block ×3, first 2 shown]
	s_waitcnt vmcnt(25)
	v_fmac_f32_e32 v10, v39, v23
	s_waitcnt vmcnt(23)
	v_fmac_f32_e32 v9, v40, v24
	;; [unrolled: 2-line block ×10, first 2 shown]
	v_fmac_f32_e32 v10, v49, v26
	s_waitcnt vmcnt(11)
	v_fmac_f32_e32 v9, v50, v27
	s_waitcnt vmcnt(10)
	;; [unrolled: 2-line block ×10, first 2 shown]
	v_fmac_f32_e32 v10, v6, v17
	s_andn2_b32 exec_lo, exec_lo, s0
	s_cbranch_execnz .LBB64_15
; %bb.16:
	s_or_b32 exec_lo, exec_lo, s0
.LBB64_17:
	s_or_b32 exec_lo, exec_lo, s1
.LBB64_18:
	v_mbcnt_lo_u32_b32 v2, -1, 0
	s_mov_b32 s3, -1
	v_or_b32_e32 v3, 32, v2
	v_xor_b32_e32 v5, 16, v2
	v_xor_b32_e32 v7, 8, v2
	v_cmp_gt_i32_e32 vcc_lo, 32, v3
	v_cndmask_b32_e32 v3, v2, v3, vcc_lo
	v_cmp_gt_i32_e32 vcc_lo, 32, v5
	v_lshlrev_b32_e32 v3, 2, v3
	v_cndmask_b32_e32 v5, v2, v5, vcc_lo
	v_cmp_gt_i32_e32 vcc_lo, 32, v7
	ds_bpermute_b32 v4, v3, v9
	ds_bpermute_b32 v3, v3, v10
	v_lshlrev_b32_e32 v5, 2, v5
	v_cndmask_b32_e32 v7, v2, v7, vcc_lo
	v_lshlrev_b32_e32 v7, 2, v7
	s_waitcnt lgkmcnt(1)
	v_add_f32_e32 v4, v9, v4
	s_waitcnt lgkmcnt(0)
	v_add_f32_e32 v3, v10, v3
	ds_bpermute_b32 v6, v5, v4
	ds_bpermute_b32 v5, v5, v3
	s_waitcnt lgkmcnt(1)
	v_add_f32_e32 v4, v4, v6
	s_waitcnt lgkmcnt(0)
	v_add_f32_e32 v3, v3, v5
	ds_bpermute_b32 v5, v7, v4
	ds_bpermute_b32 v6, v7, v3
	v_xor_b32_e32 v7, 4, v2
	v_cmp_gt_i32_e32 vcc_lo, 32, v7
	v_cndmask_b32_e32 v7, v2, v7, vcc_lo
	v_lshlrev_b32_e32 v7, 2, v7
	s_waitcnt lgkmcnt(1)
	v_add_f32_e32 v4, v4, v5
	s_waitcnt lgkmcnt(0)
	v_add_f32_e32 v3, v3, v6
	ds_bpermute_b32 v5, v7, v4
	ds_bpermute_b32 v6, v7, v3
	v_xor_b32_e32 v7, 2, v2
	v_cmp_gt_i32_e32 vcc_lo, 32, v7
	v_cndmask_b32_e32 v7, v2, v7, vcc_lo
	v_lshlrev_b32_e32 v7, 2, v7
	s_waitcnt lgkmcnt(1)
	v_add_f32_e32 v4, v4, v5
	s_waitcnt lgkmcnt(0)
	v_add_f32_e32 v3, v3, v6
	ds_bpermute_b32 v5, v7, v4
	ds_bpermute_b32 v6, v7, v3
	v_xor_b32_e32 v7, 1, v2
	v_cmp_gt_i32_e32 vcc_lo, 32, v7
	v_cndmask_b32_e32 v2, v2, v7, vcc_lo
	v_cmp_eq_u32_e32 vcc_lo, 63, v0
	v_lshlrev_b32_e32 v7, 2, v2
	s_waitcnt lgkmcnt(1)
	v_add_f32_e32 v2, v4, v5
	s_waitcnt lgkmcnt(0)
	v_add_f32_e32 v3, v3, v6
	ds_bpermute_b32 v4, v7, v2
	ds_bpermute_b32 v5, v7, v3
	s_and_b32 exec_lo, exec_lo, vcc_lo
	s_cbranch_execz .LBB64_23
; %bb.19:
	s_load_dwordx2 s[0:1], s[4:5], 0x38
	s_waitcnt lgkmcnt(0)
	v_add_f32_e32 v0, v2, v4
	v_add_f32_e32 v3, v3, v5
	v_cmp_eq_f32_e64 s4, s2, 0
	v_mul_f32_e32 v2, s16, v0
	v_mul_f32_e32 v3, s16, v3
	v_lshlrev_b32_e32 v0, 1, v1
	s_and_b32 vcc_lo, exec_lo, s4
	s_cbranch_vccz .LBB64_21
; %bb.20:
	v_ashrrev_i32_e32 v1, 31, v0
	s_mov_b32 s3, 0
	v_lshlrev_b64 v[4:5], 2, v[0:1]
	v_add_co_u32 v4, vcc_lo, s0, v4
	v_add_co_ci_u32_e64 v5, null, s1, v5, vcc_lo
	global_store_dwordx2 v[4:5], v[2:3], off
.LBB64_21:
	s_andn2_b32 vcc_lo, exec_lo, s3
	s_cbranch_vccnz .LBB64_23
; %bb.22:
	v_ashrrev_i32_e32 v1, 31, v0
	v_lshlrev_b64 v[0:1], 2, v[0:1]
	v_add_co_u32 v0, vcc_lo, s0, v0
	v_add_co_ci_u32_e64 v1, null, s1, v1, vcc_lo
	global_load_dwordx2 v[4:5], v[0:1], off
	s_waitcnt vmcnt(0)
	v_fmac_f32_e32 v2, s2, v4
	v_fmac_f32_e32 v3, s2, v5
	global_store_dwordx2 v[0:1], v[2:3], off
.LBB64_23:
	s_endpgm
	.section	.rodata,"a",@progbits
	.p2align	6, 0x0
	.amdhsa_kernel _ZN9rocsparseL19gebsrmvn_2xn_kernelILj128ELj14ELj64EfEEvi20rocsparse_direction_NS_24const_host_device_scalarIT2_EEPKiS6_PKS3_S8_S4_PS3_21rocsparse_index_base_b
		.amdhsa_group_segment_fixed_size 0
		.amdhsa_private_segment_fixed_size 0
		.amdhsa_kernarg_size 72
		.amdhsa_user_sgpr_count 6
		.amdhsa_user_sgpr_private_segment_buffer 1
		.amdhsa_user_sgpr_dispatch_ptr 0
		.amdhsa_user_sgpr_queue_ptr 0
		.amdhsa_user_sgpr_kernarg_segment_ptr 1
		.amdhsa_user_sgpr_dispatch_id 0
		.amdhsa_user_sgpr_flat_scratch_init 0
		.amdhsa_user_sgpr_private_segment_size 0
		.amdhsa_wavefront_size32 1
		.amdhsa_uses_dynamic_stack 0
		.amdhsa_system_sgpr_private_segment_wavefront_offset 0
		.amdhsa_system_sgpr_workgroup_id_x 1
		.amdhsa_system_sgpr_workgroup_id_y 0
		.amdhsa_system_sgpr_workgroup_id_z 0
		.amdhsa_system_sgpr_workgroup_info 0
		.amdhsa_system_vgpr_workitem_id 0
		.amdhsa_next_free_vgpr 55
		.amdhsa_next_free_sgpr 20
		.amdhsa_reserve_vcc 1
		.amdhsa_reserve_flat_scratch 0
		.amdhsa_float_round_mode_32 0
		.amdhsa_float_round_mode_16_64 0
		.amdhsa_float_denorm_mode_32 3
		.amdhsa_float_denorm_mode_16_64 3
		.amdhsa_dx10_clamp 1
		.amdhsa_ieee_mode 1
		.amdhsa_fp16_overflow 0
		.amdhsa_workgroup_processor_mode 1
		.amdhsa_memory_ordered 1
		.amdhsa_forward_progress 1
		.amdhsa_shared_vgpr_count 0
		.amdhsa_exception_fp_ieee_invalid_op 0
		.amdhsa_exception_fp_denorm_src 0
		.amdhsa_exception_fp_ieee_div_zero 0
		.amdhsa_exception_fp_ieee_overflow 0
		.amdhsa_exception_fp_ieee_underflow 0
		.amdhsa_exception_fp_ieee_inexact 0
		.amdhsa_exception_int_div_zero 0
	.end_amdhsa_kernel
	.section	.text._ZN9rocsparseL19gebsrmvn_2xn_kernelILj128ELj14ELj64EfEEvi20rocsparse_direction_NS_24const_host_device_scalarIT2_EEPKiS6_PKS3_S8_S4_PS3_21rocsparse_index_base_b,"axG",@progbits,_ZN9rocsparseL19gebsrmvn_2xn_kernelILj128ELj14ELj64EfEEvi20rocsparse_direction_NS_24const_host_device_scalarIT2_EEPKiS6_PKS3_S8_S4_PS3_21rocsparse_index_base_b,comdat
.Lfunc_end64:
	.size	_ZN9rocsparseL19gebsrmvn_2xn_kernelILj128ELj14ELj64EfEEvi20rocsparse_direction_NS_24const_host_device_scalarIT2_EEPKiS6_PKS3_S8_S4_PS3_21rocsparse_index_base_b, .Lfunc_end64-_ZN9rocsparseL19gebsrmvn_2xn_kernelILj128ELj14ELj64EfEEvi20rocsparse_direction_NS_24const_host_device_scalarIT2_EEPKiS6_PKS3_S8_S4_PS3_21rocsparse_index_base_b
                                        ; -- End function
	.set _ZN9rocsparseL19gebsrmvn_2xn_kernelILj128ELj14ELj64EfEEvi20rocsparse_direction_NS_24const_host_device_scalarIT2_EEPKiS6_PKS3_S8_S4_PS3_21rocsparse_index_base_b.num_vgpr, 55
	.set _ZN9rocsparseL19gebsrmvn_2xn_kernelILj128ELj14ELj64EfEEvi20rocsparse_direction_NS_24const_host_device_scalarIT2_EEPKiS6_PKS3_S8_S4_PS3_21rocsparse_index_base_b.num_agpr, 0
	.set _ZN9rocsparseL19gebsrmvn_2xn_kernelILj128ELj14ELj64EfEEvi20rocsparse_direction_NS_24const_host_device_scalarIT2_EEPKiS6_PKS3_S8_S4_PS3_21rocsparse_index_base_b.numbered_sgpr, 20
	.set _ZN9rocsparseL19gebsrmvn_2xn_kernelILj128ELj14ELj64EfEEvi20rocsparse_direction_NS_24const_host_device_scalarIT2_EEPKiS6_PKS3_S8_S4_PS3_21rocsparse_index_base_b.num_named_barrier, 0
	.set _ZN9rocsparseL19gebsrmvn_2xn_kernelILj128ELj14ELj64EfEEvi20rocsparse_direction_NS_24const_host_device_scalarIT2_EEPKiS6_PKS3_S8_S4_PS3_21rocsparse_index_base_b.private_seg_size, 0
	.set _ZN9rocsparseL19gebsrmvn_2xn_kernelILj128ELj14ELj64EfEEvi20rocsparse_direction_NS_24const_host_device_scalarIT2_EEPKiS6_PKS3_S8_S4_PS3_21rocsparse_index_base_b.uses_vcc, 1
	.set _ZN9rocsparseL19gebsrmvn_2xn_kernelILj128ELj14ELj64EfEEvi20rocsparse_direction_NS_24const_host_device_scalarIT2_EEPKiS6_PKS3_S8_S4_PS3_21rocsparse_index_base_b.uses_flat_scratch, 0
	.set _ZN9rocsparseL19gebsrmvn_2xn_kernelILj128ELj14ELj64EfEEvi20rocsparse_direction_NS_24const_host_device_scalarIT2_EEPKiS6_PKS3_S8_S4_PS3_21rocsparse_index_base_b.has_dyn_sized_stack, 0
	.set _ZN9rocsparseL19gebsrmvn_2xn_kernelILj128ELj14ELj64EfEEvi20rocsparse_direction_NS_24const_host_device_scalarIT2_EEPKiS6_PKS3_S8_S4_PS3_21rocsparse_index_base_b.has_recursion, 0
	.set _ZN9rocsparseL19gebsrmvn_2xn_kernelILj128ELj14ELj64EfEEvi20rocsparse_direction_NS_24const_host_device_scalarIT2_EEPKiS6_PKS3_S8_S4_PS3_21rocsparse_index_base_b.has_indirect_call, 0
	.section	.AMDGPU.csdata,"",@progbits
; Kernel info:
; codeLenInByte = 3228
; TotalNumSgprs: 22
; NumVgprs: 55
; ScratchSize: 0
; MemoryBound: 0
; FloatMode: 240
; IeeeMode: 1
; LDSByteSize: 0 bytes/workgroup (compile time only)
; SGPRBlocks: 0
; VGPRBlocks: 6
; NumSGPRsForWavesPerEU: 22
; NumVGPRsForWavesPerEU: 55
; Occupancy: 16
; WaveLimiterHint : 1
; COMPUTE_PGM_RSRC2:SCRATCH_EN: 0
; COMPUTE_PGM_RSRC2:USER_SGPR: 6
; COMPUTE_PGM_RSRC2:TRAP_HANDLER: 0
; COMPUTE_PGM_RSRC2:TGID_X_EN: 1
; COMPUTE_PGM_RSRC2:TGID_Y_EN: 0
; COMPUTE_PGM_RSRC2:TGID_Z_EN: 0
; COMPUTE_PGM_RSRC2:TIDIG_COMP_CNT: 0
	.section	.text._ZN9rocsparseL19gebsrmvn_2xn_kernelILj128ELj15ELj4EfEEvi20rocsparse_direction_NS_24const_host_device_scalarIT2_EEPKiS6_PKS3_S8_S4_PS3_21rocsparse_index_base_b,"axG",@progbits,_ZN9rocsparseL19gebsrmvn_2xn_kernelILj128ELj15ELj4EfEEvi20rocsparse_direction_NS_24const_host_device_scalarIT2_EEPKiS6_PKS3_S8_S4_PS3_21rocsparse_index_base_b,comdat
	.globl	_ZN9rocsparseL19gebsrmvn_2xn_kernelILj128ELj15ELj4EfEEvi20rocsparse_direction_NS_24const_host_device_scalarIT2_EEPKiS6_PKS3_S8_S4_PS3_21rocsparse_index_base_b ; -- Begin function _ZN9rocsparseL19gebsrmvn_2xn_kernelILj128ELj15ELj4EfEEvi20rocsparse_direction_NS_24const_host_device_scalarIT2_EEPKiS6_PKS3_S8_S4_PS3_21rocsparse_index_base_b
	.p2align	8
	.type	_ZN9rocsparseL19gebsrmvn_2xn_kernelILj128ELj15ELj4EfEEvi20rocsparse_direction_NS_24const_host_device_scalarIT2_EEPKiS6_PKS3_S8_S4_PS3_21rocsparse_index_base_b,@function
_ZN9rocsparseL19gebsrmvn_2xn_kernelILj128ELj15ELj4EfEEvi20rocsparse_direction_NS_24const_host_device_scalarIT2_EEPKiS6_PKS3_S8_S4_PS3_21rocsparse_index_base_b: ; @_ZN9rocsparseL19gebsrmvn_2xn_kernelILj128ELj15ELj4EfEEvi20rocsparse_direction_NS_24const_host_device_scalarIT2_EEPKiS6_PKS3_S8_S4_PS3_21rocsparse_index_base_b
; %bb.0:
	s_clause 0x2
	s_load_dwordx2 s[18:19], s[4:5], 0x40
	s_load_dwordx2 s[16:17], s[4:5], 0x8
	;; [unrolled: 1-line block ×3, first 2 shown]
	s_waitcnt lgkmcnt(0)
	s_bitcmp1_b32 s19, 0
	s_cselect_b32 s0, -1, 0
	s_and_b32 vcc_lo, exec_lo, s0
	s_xor_b32 s0, s0, -1
	s_cbranch_vccnz .LBB65_2
; %bb.1:
	s_load_dword s16, s[16:17], 0x0
.LBB65_2:
	s_andn2_b32 vcc_lo, exec_lo, s0
	s_cbranch_vccnz .LBB65_4
; %bb.3:
	s_load_dword s2, s[2:3], 0x0
.LBB65_4:
	s_waitcnt lgkmcnt(0)
	v_cmp_eq_f32_e64 s0, s16, 0
	v_cmp_eq_f32_e64 s1, s2, 1.0
	s_and_b32 s0, s0, s1
	s_and_b32 vcc_lo, exec_lo, s0
	s_cbranch_vccnz .LBB65_23
; %bb.5:
	s_load_dwordx2 s[0:1], s[4:5], 0x0
	v_lshrrev_b32_e32 v1, 2, v0
	v_lshl_or_b32 v1, s6, 5, v1
	s_waitcnt lgkmcnt(0)
	v_cmp_gt_i32_e32 vcc_lo, s0, v1
	s_and_saveexec_b32 s0, vcc_lo
	s_cbranch_execz .LBB65_23
; %bb.6:
	s_load_dwordx8 s[8:15], s[4:5], 0x10
	v_ashrrev_i32_e32 v2, 31, v1
	v_and_b32_e32 v0, 3, v0
	s_cmp_lg_u32 s1, 0
	v_lshlrev_b64 v[2:3], 2, v[1:2]
	s_waitcnt lgkmcnt(0)
	v_add_co_u32 v2, vcc_lo, s8, v2
	v_add_co_ci_u32_e64 v3, null, s9, v3, vcc_lo
	global_load_dwordx2 v[2:3], v[2:3], off
	s_waitcnt vmcnt(0)
	v_subrev_nc_u32_e32 v2, s18, v2
	v_subrev_nc_u32_e32 v12, s18, v3
	v_add_nc_u32_e32 v2, v2, v0
	v_cmp_lt_i32_e64 s0, v2, v12
	s_cbranch_scc0 .LBB65_12
; %bb.7:
	v_mov_b32_e32 v10, 0
	v_mov_b32_e32 v11, 0
	s_and_saveexec_b32 s1, s0
	s_cbranch_execz .LBB65_11
; %bb.8:
	v_mad_u64_u32 v[3:4], null, v2, 30, 28
	v_mov_b32_e32 v6, 0
	v_mov_b32_e32 v7, v2
	;; [unrolled: 1-line block ×4, first 2 shown]
	s_mov_b32 s3, 0
.LBB65_9:                               ; =>This Inner Loop Header: Depth=1
	v_ashrrev_i32_e32 v8, 31, v7
	v_mov_b32_e32 v9, v6
	v_lshlrev_b64 v[4:5], 2, v[7:8]
	v_add_nc_u32_e32 v7, 4, v7
	v_add_co_u32 v4, vcc_lo, s10, v4
	v_add_co_ci_u32_e64 v5, null, s11, v5, vcc_lo
	global_load_dword v8, v[4:5], off
	v_subrev_nc_u32_e32 v5, 28, v3
	v_mov_b32_e32 v4, v6
	v_lshlrev_b64 v[13:14], 2, v[5:6]
	v_subrev_nc_u32_e32 v5, 26, v3
	v_lshlrev_b64 v[15:16], 2, v[3:4]
	v_lshlrev_b64 v[4:5], 2, v[5:6]
	v_add_co_u32 v13, vcc_lo, s12, v13
	v_add_co_ci_u32_e64 v14, null, s13, v14, vcc_lo
	v_add_co_u32 v15, vcc_lo, s12, v15
	v_add_co_ci_u32_e64 v16, null, s13, v16, vcc_lo
	;; [unrolled: 2-line block ×3, first 2 shown]
	s_clause 0x1
	global_load_dwordx2 v[13:14], v[13:14], off
	global_load_dwordx2 v[17:18], v[4:5], off
	s_waitcnt vmcnt(2)
	v_subrev_nc_u32_e32 v4, s18, v8
	v_mul_lo_u32 v8, v4, 15
	v_add_nc_u32_e32 v5, 1, v8
	v_lshlrev_b64 v[19:20], 2, v[8:9]
	v_lshlrev_b64 v[21:22], 2, v[5:6]
	v_subrev_nc_u32_e32 v5, 24, v3
	v_add_co_u32 v19, vcc_lo, s14, v19
	v_add_co_ci_u32_e64 v20, null, s15, v20, vcc_lo
	v_add_co_u32 v21, vcc_lo, s14, v21
	v_lshlrev_b64 v[23:24], 2, v[5:6]
	v_add_nc_u32_e32 v5, 2, v8
	v_add_co_ci_u32_e64 v22, null, s15, v22, vcc_lo
	s_clause 0x1
	global_load_dword v47, v[19:20], off
	global_load_dword v48, v[21:22], off
	v_lshlrev_b64 v[19:20], 2, v[5:6]
	v_subrev_nc_u32_e32 v5, 22, v3
	v_add_co_u32 v21, vcc_lo, s12, v23
	v_add_co_ci_u32_e64 v22, null, s13, v24, vcc_lo
	v_lshlrev_b64 v[23:24], 2, v[5:6]
	v_add_nc_u32_e32 v5, 3, v8
	v_add_co_u32 v19, vcc_lo, s14, v19
	v_add_co_ci_u32_e64 v20, null, s15, v20, vcc_lo
	v_lshlrev_b64 v[25:26], 2, v[5:6]
	v_subrev_nc_u32_e32 v5, 20, v3
	global_load_dwordx2 v[21:22], v[21:22], off
	global_load_dword v49, v[19:20], off
	v_add_co_u32 v19, vcc_lo, s12, v23
	v_add_co_ci_u32_e64 v20, null, s13, v24, vcc_lo
	v_lshlrev_b64 v[23:24], 2, v[5:6]
	v_add_nc_u32_e32 v5, 4, v8
	v_add_co_u32 v25, vcc_lo, s14, v25
	v_add_co_ci_u32_e64 v26, null, s15, v26, vcc_lo
	v_lshlrev_b64 v[27:28], 2, v[5:6]
	v_add_co_u32 v23, vcc_lo, s12, v23
	v_add_co_ci_u32_e64 v24, null, s13, v24, vcc_lo
	v_subrev_nc_u32_e32 v5, 18, v3
	v_add_co_u32 v27, vcc_lo, s14, v27
	v_add_co_ci_u32_e64 v28, null, s15, v28, vcc_lo
	global_load_dword v50, v[25:26], off
	s_clause 0x1
	global_load_dwordx2 v[23:24], v[23:24], off
	global_load_dwordx2 v[19:20], v[19:20], off
	global_load_dword v51, v[27:28], off
	v_lshlrev_b64 v[25:26], 2, v[5:6]
	v_add_nc_u32_e32 v5, 5, v8
	v_lshlrev_b64 v[29:30], 2, v[5:6]
	v_add_nc_u32_e32 v5, -16, v3
	v_add_co_u32 v25, vcc_lo, s12, v25
	v_add_co_ci_u32_e64 v26, null, s13, v26, vcc_lo
	v_lshlrev_b64 v[27:28], 2, v[5:6]
	v_add_nc_u32_e32 v5, 6, v8
	v_add_co_u32 v29, vcc_lo, s14, v29
	v_add_co_ci_u32_e64 v30, null, s15, v30, vcc_lo
	v_lshlrev_b64 v[31:32], 2, v[5:6]
	v_add_co_u32 v27, vcc_lo, s12, v27
	v_add_co_ci_u32_e64 v28, null, s13, v28, vcc_lo
	v_add_nc_u32_e32 v5, -14, v3
	v_add_co_u32 v31, vcc_lo, s14, v31
	v_add_co_ci_u32_e64 v32, null, s15, v32, vcc_lo
	global_load_dword v52, v[29:30], off
	s_clause 0x1
	global_load_dwordx2 v[25:26], v[25:26], off
	global_load_dwordx2 v[27:28], v[27:28], off
	global_load_dword v53, v[31:32], off
	v_lshlrev_b64 v[29:30], 2, v[5:6]
	v_add_nc_u32_e32 v5, 7, v8
	v_lshlrev_b64 v[33:34], 2, v[5:6]
	v_add_nc_u32_e32 v5, -12, v3
	v_add_co_u32 v29, vcc_lo, s12, v29
	v_add_co_ci_u32_e64 v30, null, s13, v30, vcc_lo
	v_lshlrev_b64 v[31:32], 2, v[5:6]
	v_add_nc_u32_e32 v5, 8, v8
	v_add_co_u32 v33, vcc_lo, s14, v33
	v_add_co_ci_u32_e64 v34, null, s15, v34, vcc_lo
	v_lshlrev_b64 v[35:36], 2, v[5:6]
	v_add_co_u32 v31, vcc_lo, s12, v31
	v_add_co_ci_u32_e64 v32, null, s13, v32, vcc_lo
	v_add_nc_u32_e32 v5, -10, v3
	;; [unrolled: 21-line block ×4, first 2 shown]
	v_add_co_u32 v43, vcc_lo, s14, v43
	v_add_co_ci_u32_e64 v44, null, s15, v44, vcc_lo
	global_load_dword v58, v[41:42], off
	s_clause 0x1
	global_load_dwordx2 v[37:38], v[37:38], off
	global_load_dwordx2 v[39:40], v[39:40], off
	global_load_dword v43, v[43:44], off
	v_lshlrev_b64 v[41:42], 2, v[5:6]
	v_add_nc_u32_e32 v5, 13, v8
	v_add_nc_u32_e32 v3, 0x78, v3
	v_lshlrev_b64 v[45:46], 2, v[5:6]
	v_add_nc_u32_e32 v5, 14, v8
	v_add_co_u32 v8, vcc_lo, s12, v41
	v_add_co_ci_u32_e64 v9, null, s13, v42, vcc_lo
	v_lshlrev_b64 v[4:5], 2, v[5:6]
	v_add_co_u32 v41, vcc_lo, s14, v45
	v_add_co_ci_u32_e64 v42, null, s15, v46, vcc_lo
	global_load_dwordx2 v[8:9], v[8:9], off
	global_load_dword v41, v[41:42], off
	v_add_co_u32 v4, vcc_lo, s14, v4
	v_add_co_ci_u32_e64 v5, null, s15, v5, vcc_lo
	global_load_dwordx2 v[15:16], v[15:16], off
	global_load_dword v4, v[4:5], off
	v_cmp_ge_i32_e32 vcc_lo, v7, v12
	s_or_b32 s3, vcc_lo, s3
	s_waitcnt vmcnt(27)
	v_fmac_f32_e32 v10, v13, v47
	v_fmac_f32_e32 v11, v14, v47
	s_waitcnt vmcnt(26)
	v_fmac_f32_e32 v10, v17, v48
	v_fmac_f32_e32 v11, v18, v48
	;; [unrolled: 3-line block ×15, first 2 shown]
	s_andn2_b32 exec_lo, exec_lo, s3
	s_cbranch_execnz .LBB65_9
; %bb.10:
	s_or_b32 exec_lo, exec_lo, s3
.LBB65_11:
	s_or_b32 exec_lo, exec_lo, s1
	s_cbranch_execz .LBB65_13
	s_branch .LBB65_18
.LBB65_12:
                                        ; implicit-def: $vgpr10
                                        ; implicit-def: $vgpr11
.LBB65_13:
	v_mov_b32_e32 v10, 0
	v_mov_b32_e32 v11, 0
	s_and_saveexec_b32 s1, s0
	s_cbranch_execz .LBB65_17
; %bb.14:
	v_mad_u64_u32 v[4:5], null, v2, 30, 29
	v_mov_b32_e32 v7, 0
	v_mov_b32_e32 v10, 0
	;; [unrolled: 1-line block ×3, first 2 shown]
	s_mov_b32 s0, 0
.LBB65_15:                              ; =>This Inner Loop Header: Depth=1
	v_ashrrev_i32_e32 v3, 31, v2
	v_add_nc_u32_e32 v13, -14, v4
	v_mov_b32_e32 v14, v7
	v_mov_b32_e32 v9, v7
	v_lshlrev_b64 v[5:6], 2, v[2:3]
	v_add_nc_u32_e32 v2, 4, v2
	v_lshlrev_b64 v[13:14], 2, v[13:14]
	v_add_co_u32 v5, vcc_lo, s10, v5
	v_add_co_ci_u32_e64 v6, null, s11, v6, vcc_lo
	global_load_dword v3, v[5:6], off
	v_subrev_nc_u32_e32 v6, 29, v4
	v_mov_b32_e32 v5, v7
	v_lshlrev_b64 v[15:16], 2, v[6:7]
	v_lshlrev_b64 v[5:6], 2, v[4:5]
	v_add_co_u32 v15, vcc_lo, s12, v15
	v_add_co_ci_u32_e64 v16, null, s13, v16, vcc_lo
	v_add_co_u32 v13, vcc_lo, s12, v13
	v_add_co_ci_u32_e64 v14, null, s13, v14, vcc_lo
	;; [unrolled: 2-line block ×3, first 2 shown]
	s_clause 0x1
	global_load_dwordx2 v[15:16], v[15:16], off
	global_load_dword v23, v[13:14], off
	s_waitcnt vmcnt(2)
	v_subrev_nc_u32_e32 v3, s18, v3
	v_mul_lo_u32 v8, v3, 15
	v_add_nc_u32_e32 v6, 1, v8
	v_lshlrev_b64 v[13:14], 2, v[8:9]
	v_lshlrev_b64 v[19:20], 2, v[6:7]
	v_add_nc_u32_e32 v6, -13, v4
	v_add_co_u32 v13, vcc_lo, s14, v13
	v_add_co_ci_u32_e64 v14, null, s15, v14, vcc_lo
	v_lshlrev_b64 v[21:22], 2, v[6:7]
	v_subrev_nc_u32_e32 v6, 27, v4
	global_load_dword v3, v[13:14], off
	v_add_co_u32 v13, vcc_lo, s14, v19
	v_add_co_ci_u32_e64 v14, null, s15, v20, vcc_lo
	v_lshlrev_b64 v[19:20], 2, v[6:7]
	v_add_nc_u32_e32 v6, 2, v8
	v_add_co_u32 v21, vcc_lo, s12, v21
	v_add_co_ci_u32_e64 v22, null, s13, v22, vcc_lo
	global_load_dword v24, v[13:14], off
	v_lshlrev_b64 v[13:14], 2, v[6:7]
	v_add_co_u32 v19, vcc_lo, s12, v19
	v_add_nc_u32_e32 v6, -12, v4
	v_add_co_ci_u32_e64 v20, null, s13, v20, vcc_lo
	v_add_co_u32 v13, vcc_lo, s14, v13
	s_clause 0x1
	global_load_dword v25, v[21:22], off
	global_load_dword v26, v[19:20], off
	v_lshlrev_b64 v[21:22], 2, v[6:7]
	v_add_co_ci_u32_e64 v14, null, s15, v14, vcc_lo
	v_subrev_nc_u32_e32 v6, 26, v4
	global_load_dword v27, v[13:14], off
	v_add_co_u32 v13, vcc_lo, s12, v21
	v_add_co_ci_u32_e64 v14, null, s13, v22, vcc_lo
	global_load_dword v28, v[13:14], off
	v_lshlrev_b64 v[19:20], 2, v[6:7]
	v_add_nc_u32_e32 v6, 3, v8
	v_lshlrev_b64 v[21:22], 2, v[6:7]
	v_add_nc_u32_e32 v6, -11, v4
	v_add_co_u32 v19, vcc_lo, s12, v19
	v_add_co_ci_u32_e64 v20, null, s13, v20, vcc_lo
	v_lshlrev_b64 v[13:14], 2, v[6:7]
	v_subrev_nc_u32_e32 v6, 25, v4
	global_load_dword v29, v[19:20], off
	v_add_co_u32 v19, vcc_lo, s14, v21
	v_add_co_ci_u32_e64 v20, null, s15, v22, vcc_lo
	v_lshlrev_b64 v[21:22], 2, v[6:7]
	v_add_nc_u32_e32 v6, 4, v8
	v_add_co_u32 v13, vcc_lo, s12, v13
	v_add_co_ci_u32_e64 v14, null, s13, v14, vcc_lo
	global_load_dword v30, v[19:20], off
	v_lshlrev_b64 v[19:20], 2, v[6:7]
	v_add_nc_u32_e32 v6, -10, v4
	global_load_dword v31, v[13:14], off
	v_add_co_u32 v13, vcc_lo, s12, v21
	v_add_co_ci_u32_e64 v14, null, s13, v22, vcc_lo
	v_lshlrev_b64 v[21:22], 2, v[6:7]
	v_subrev_nc_u32_e32 v6, 24, v4
	v_add_co_u32 v19, vcc_lo, s14, v19
	v_add_co_ci_u32_e64 v20, null, s15, v20, vcc_lo
	global_load_dword v32, v[13:14], off
	v_lshlrev_b64 v[13:14], 2, v[6:7]
	v_add_nc_u32_e32 v6, 5, v8
	global_load_dword v33, v[19:20], off
	v_add_co_u32 v19, vcc_lo, s12, v21
	v_add_co_ci_u32_e64 v20, null, s13, v22, vcc_lo
	v_add_co_u32 v13, vcc_lo, s12, v13
	v_lshlrev_b64 v[21:22], 2, v[6:7]
	v_add_nc_u32_e32 v6, -9, v4
	v_add_co_ci_u32_e64 v14, null, s13, v14, vcc_lo
	s_clause 0x1
	global_load_dword v34, v[19:20], off
	global_load_dword v35, v[13:14], off
	v_lshlrev_b64 v[19:20], 2, v[6:7]
	v_subrev_nc_u32_e32 v6, 23, v4
	v_add_co_u32 v13, vcc_lo, s14, v21
	v_add_co_ci_u32_e64 v14, null, s15, v22, vcc_lo
	v_lshlrev_b64 v[21:22], 2, v[6:7]
	v_add_nc_u32_e32 v6, 6, v8
	v_add_co_u32 v19, vcc_lo, s12, v19
	v_add_co_ci_u32_e64 v20, null, s13, v20, vcc_lo
	global_load_dword v36, v[13:14], off
	v_lshlrev_b64 v[13:14], 2, v[6:7]
	v_add_nc_u32_e32 v6, -8, v4
	global_load_dword v37, v[19:20], off
	v_add_co_u32 v19, vcc_lo, s12, v21
	v_add_co_ci_u32_e64 v20, null, s13, v22, vcc_lo
	v_add_co_u32 v13, vcc_lo, s14, v13
	v_lshlrev_b64 v[21:22], 2, v[6:7]
	v_add_co_ci_u32_e64 v14, null, s15, v14, vcc_lo
	v_subrev_nc_u32_e32 v6, 22, v4
	global_load_dword v38, v[19:20], off
	global_load_dword v39, v[13:14], off
	v_add_co_u32 v13, vcc_lo, s12, v21
	v_add_co_ci_u32_e64 v14, null, s13, v22, vcc_lo
	global_load_dword v40, v[13:14], off
	v_lshlrev_b64 v[19:20], 2, v[6:7]
	v_add_nc_u32_e32 v6, 7, v8
	v_lshlrev_b64 v[21:22], 2, v[6:7]
	v_add_nc_u32_e32 v6, -7, v4
	v_add_co_u32 v19, vcc_lo, s12, v19
	v_add_co_ci_u32_e64 v20, null, s13, v20, vcc_lo
	v_lshlrev_b64 v[13:14], 2, v[6:7]
	v_subrev_nc_u32_e32 v6, 21, v4
	global_load_dword v41, v[19:20], off
	v_add_co_u32 v19, vcc_lo, s14, v21
	v_add_co_ci_u32_e64 v20, null, s15, v22, vcc_lo
	v_lshlrev_b64 v[21:22], 2, v[6:7]
	v_add_nc_u32_e32 v6, 8, v8
	v_add_co_u32 v13, vcc_lo, s12, v13
	v_add_co_ci_u32_e64 v14, null, s13, v14, vcc_lo
	global_load_dword v42, v[19:20], off
	v_lshlrev_b64 v[19:20], 2, v[6:7]
	v_add_nc_u32_e32 v6, -6, v4
	global_load_dword v43, v[13:14], off
	v_add_co_u32 v13, vcc_lo, s12, v21
	v_add_co_ci_u32_e64 v14, null, s13, v22, vcc_lo
	v_lshlrev_b64 v[21:22], 2, v[6:7]
	v_subrev_nc_u32_e32 v6, 20, v4
	v_add_co_u32 v19, vcc_lo, s14, v19
	v_add_co_ci_u32_e64 v20, null, s15, v20, vcc_lo
	global_load_dword v44, v[13:14], off
	v_lshlrev_b64 v[13:14], 2, v[6:7]
	v_add_nc_u32_e32 v6, 9, v8
	global_load_dword v45, v[19:20], off
	v_add_co_u32 v19, vcc_lo, s12, v21
	v_add_co_ci_u32_e64 v20, null, s13, v22, vcc_lo
	v_add_co_u32 v13, vcc_lo, s12, v13
	v_lshlrev_b64 v[21:22], 2, v[6:7]
	v_add_nc_u32_e32 v6, -5, v4
	v_add_co_ci_u32_e64 v14, null, s13, v14, vcc_lo
	s_clause 0x1
	global_load_dword v46, v[19:20], off
	global_load_dword v47, v[13:14], off
	v_lshlrev_b64 v[19:20], 2, v[6:7]
	v_subrev_nc_u32_e32 v6, 19, v4
	v_add_co_u32 v13, vcc_lo, s14, v21
	v_add_co_ci_u32_e64 v14, null, s15, v22, vcc_lo
	v_lshlrev_b64 v[21:22], 2, v[6:7]
	v_add_nc_u32_e32 v6, 10, v8
	v_add_co_u32 v19, vcc_lo, s12, v19
	v_add_co_ci_u32_e64 v20, null, s13, v20, vcc_lo
	global_load_dword v48, v[13:14], off
	v_lshlrev_b64 v[13:14], 2, v[6:7]
	v_add_nc_u32_e32 v6, -4, v4
	global_load_dword v49, v[19:20], off
	v_add_co_u32 v19, vcc_lo, s12, v21
	v_add_co_ci_u32_e64 v20, null, s13, v22, vcc_lo
	v_add_co_u32 v13, vcc_lo, s14, v13
	v_lshlrev_b64 v[21:22], 2, v[6:7]
	v_add_co_ci_u32_e64 v14, null, s15, v14, vcc_lo
	v_subrev_nc_u32_e32 v6, 18, v4
	global_load_dword v50, v[19:20], off
	global_load_dword v51, v[13:14], off
	v_add_co_u32 v13, vcc_lo, s12, v21
	v_add_co_ci_u32_e64 v14, null, s13, v22, vcc_lo
	global_load_dword v52, v[13:14], off
	v_lshlrev_b64 v[19:20], 2, v[6:7]
	v_add_nc_u32_e32 v6, 11, v8
	v_lshlrev_b64 v[21:22], 2, v[6:7]
	v_add_nc_u32_e32 v6, -3, v4
	v_add_co_u32 v19, vcc_lo, s12, v19
	v_add_co_ci_u32_e64 v20, null, s13, v20, vcc_lo
	v_lshlrev_b64 v[13:14], 2, v[6:7]
	v_subrev_nc_u32_e32 v6, 17, v4
	global_load_dword v53, v[19:20], off
	v_add_co_u32 v19, vcc_lo, s14, v21
	v_add_co_ci_u32_e64 v20, null, s15, v22, vcc_lo
	v_lshlrev_b64 v[21:22], 2, v[6:7]
	v_add_nc_u32_e32 v6, 12, v8
	v_add_co_u32 v13, vcc_lo, s12, v13
	v_add_co_ci_u32_e64 v14, null, s13, v14, vcc_lo
	global_load_dword v54, v[19:20], off
	v_lshlrev_b64 v[19:20], 2, v[6:7]
	v_add_nc_u32_e32 v6, -2, v4
	global_load_dword v55, v[13:14], off
	v_add_co_u32 v13, vcc_lo, s12, v21
	v_add_co_ci_u32_e64 v14, null, s13, v22, vcc_lo
	v_lshlrev_b64 v[21:22], 2, v[6:7]
	v_add_nc_u32_e32 v6, -16, v4
	v_add_co_u32 v19, vcc_lo, s14, v19
	v_add_co_ci_u32_e64 v20, null, s15, v20, vcc_lo
	global_load_dword v56, v[13:14], off
	v_lshlrev_b64 v[13:14], 2, v[6:7]
	v_add_nc_u32_e32 v6, 13, v8
	global_load_dword v57, v[19:20], off
	v_add_co_u32 v19, vcc_lo, s12, v21
	v_add_co_ci_u32_e64 v20, null, s13, v22, vcc_lo
	v_add_co_u32 v13, vcc_lo, s12, v13
	v_lshlrev_b64 v[21:22], 2, v[6:7]
	v_add_nc_u32_e32 v6, -1, v4
	v_add_co_ci_u32_e64 v14, null, s13, v14, vcc_lo
	s_clause 0x1
	global_load_dword v58, v[19:20], off
	global_load_dword v59, v[13:14], off
	v_lshlrev_b64 v[19:20], 2, v[6:7]
	v_add_nc_u32_e32 v6, -15, v4
	v_add_co_u32 v13, vcc_lo, s14, v21
	v_add_co_ci_u32_e64 v14, null, s15, v22, vcc_lo
	v_lshlrev_b64 v[21:22], 2, v[6:7]
	v_add_nc_u32_e32 v6, 14, v8
	v_add_co_u32 v8, vcc_lo, s12, v19
	v_add_co_ci_u32_e64 v9, null, s13, v20, vcc_lo
	v_lshlrev_b64 v[5:6], 2, v[6:7]
	global_load_dword v13, v[13:14], off
	v_add_nc_u32_e32 v4, 0x78, v4
	global_load_dword v14, v[8:9], off
	v_add_co_u32 v8, vcc_lo, s12, v21
	v_add_co_ci_u32_e64 v9, null, s13, v22, vcc_lo
	v_add_co_u32 v5, vcc_lo, s14, v5
	v_add_co_ci_u32_e64 v6, null, s15, v6, vcc_lo
	s_clause 0x1
	global_load_dword v17, v[17:18], off
	global_load_dword v8, v[8:9], off
	;; [unrolled: 1-line block ×3, first 2 shown]
	v_cmp_ge_i32_e32 vcc_lo, v2, v12
	s_or_b32 s0, vcc_lo, s0
	s_waitcnt vmcnt(41)
	v_fmac_f32_e32 v10, v15, v3
	v_fmac_f32_e32 v11, v23, v3
	s_waitcnt vmcnt(40)
	v_fmac_f32_e32 v10, v16, v24
	s_waitcnt vmcnt(39)
	;; [unrolled: 2-line block ×27, first 2 shown]
	v_fmac_f32_e32 v10, v8, v5
	v_fmac_f32_e32 v11, v17, v5
	s_andn2_b32 exec_lo, exec_lo, s0
	s_cbranch_execnz .LBB65_15
; %bb.16:
	s_or_b32 exec_lo, exec_lo, s0
.LBB65_17:
	s_or_b32 exec_lo, exec_lo, s1
.LBB65_18:
	v_mbcnt_lo_u32_b32 v2, -1, 0
	s_mov_b32 s3, -1
	v_xor_b32_e32 v3, 2, v2
	v_xor_b32_e32 v5, 1, v2
	v_cmp_gt_i32_e32 vcc_lo, 32, v3
	v_cndmask_b32_e32 v3, v2, v3, vcc_lo
	v_cmp_gt_i32_e32 vcc_lo, 32, v5
	v_lshlrev_b32_e32 v3, 2, v3
	v_cndmask_b32_e32 v2, v2, v5, vcc_lo
	v_cmp_eq_u32_e32 vcc_lo, 3, v0
	ds_bpermute_b32 v4, v3, v10
	ds_bpermute_b32 v3, v3, v11
	v_lshlrev_b32_e32 v5, 2, v2
	s_waitcnt lgkmcnt(1)
	v_add_f32_e32 v2, v10, v4
	s_waitcnt lgkmcnt(0)
	v_add_f32_e32 v3, v11, v3
	ds_bpermute_b32 v4, v5, v2
	ds_bpermute_b32 v5, v5, v3
	s_and_b32 exec_lo, exec_lo, vcc_lo
	s_cbranch_execz .LBB65_23
; %bb.19:
	s_load_dwordx2 s[0:1], s[4:5], 0x38
	s_waitcnt lgkmcnt(0)
	v_add_f32_e32 v0, v2, v4
	v_add_f32_e32 v3, v3, v5
	v_cmp_eq_f32_e64 s4, s2, 0
	v_mul_f32_e32 v2, s16, v0
	v_mul_f32_e32 v3, s16, v3
	v_lshlrev_b32_e32 v0, 1, v1
	s_and_b32 vcc_lo, exec_lo, s4
	s_cbranch_vccz .LBB65_21
; %bb.20:
	v_ashrrev_i32_e32 v1, 31, v0
	s_mov_b32 s3, 0
	v_lshlrev_b64 v[4:5], 2, v[0:1]
	v_add_co_u32 v4, vcc_lo, s0, v4
	v_add_co_ci_u32_e64 v5, null, s1, v5, vcc_lo
	global_store_dwordx2 v[4:5], v[2:3], off
.LBB65_21:
	s_andn2_b32 vcc_lo, exec_lo, s3
	s_cbranch_vccnz .LBB65_23
; %bb.22:
	v_ashrrev_i32_e32 v1, 31, v0
	v_lshlrev_b64 v[0:1], 2, v[0:1]
	v_add_co_u32 v0, vcc_lo, s0, v0
	v_add_co_ci_u32_e64 v1, null, s1, v1, vcc_lo
	global_load_dwordx2 v[4:5], v[0:1], off
	s_waitcnt vmcnt(0)
	v_fmac_f32_e32 v2, s2, v4
	v_fmac_f32_e32 v3, s2, v5
	global_store_dwordx2 v[0:1], v[2:3], off
.LBB65_23:
	s_endpgm
	.section	.rodata,"a",@progbits
	.p2align	6, 0x0
	.amdhsa_kernel _ZN9rocsparseL19gebsrmvn_2xn_kernelILj128ELj15ELj4EfEEvi20rocsparse_direction_NS_24const_host_device_scalarIT2_EEPKiS6_PKS3_S8_S4_PS3_21rocsparse_index_base_b
		.amdhsa_group_segment_fixed_size 0
		.amdhsa_private_segment_fixed_size 0
		.amdhsa_kernarg_size 72
		.amdhsa_user_sgpr_count 6
		.amdhsa_user_sgpr_private_segment_buffer 1
		.amdhsa_user_sgpr_dispatch_ptr 0
		.amdhsa_user_sgpr_queue_ptr 0
		.amdhsa_user_sgpr_kernarg_segment_ptr 1
		.amdhsa_user_sgpr_dispatch_id 0
		.amdhsa_user_sgpr_flat_scratch_init 0
		.amdhsa_user_sgpr_private_segment_size 0
		.amdhsa_wavefront_size32 1
		.amdhsa_uses_dynamic_stack 0
		.amdhsa_system_sgpr_private_segment_wavefront_offset 0
		.amdhsa_system_sgpr_workgroup_id_x 1
		.amdhsa_system_sgpr_workgroup_id_y 0
		.amdhsa_system_sgpr_workgroup_id_z 0
		.amdhsa_system_sgpr_workgroup_info 0
		.amdhsa_system_vgpr_workitem_id 0
		.amdhsa_next_free_vgpr 60
		.amdhsa_next_free_sgpr 20
		.amdhsa_reserve_vcc 1
		.amdhsa_reserve_flat_scratch 0
		.amdhsa_float_round_mode_32 0
		.amdhsa_float_round_mode_16_64 0
		.amdhsa_float_denorm_mode_32 3
		.amdhsa_float_denorm_mode_16_64 3
		.amdhsa_dx10_clamp 1
		.amdhsa_ieee_mode 1
		.amdhsa_fp16_overflow 0
		.amdhsa_workgroup_processor_mode 1
		.amdhsa_memory_ordered 1
		.amdhsa_forward_progress 1
		.amdhsa_shared_vgpr_count 0
		.amdhsa_exception_fp_ieee_invalid_op 0
		.amdhsa_exception_fp_denorm_src 0
		.amdhsa_exception_fp_ieee_div_zero 0
		.amdhsa_exception_fp_ieee_overflow 0
		.amdhsa_exception_fp_ieee_underflow 0
		.amdhsa_exception_fp_ieee_inexact 0
		.amdhsa_exception_int_div_zero 0
	.end_amdhsa_kernel
	.section	.text._ZN9rocsparseL19gebsrmvn_2xn_kernelILj128ELj15ELj4EfEEvi20rocsparse_direction_NS_24const_host_device_scalarIT2_EEPKiS6_PKS3_S8_S4_PS3_21rocsparse_index_base_b,"axG",@progbits,_ZN9rocsparseL19gebsrmvn_2xn_kernelILj128ELj15ELj4EfEEvi20rocsparse_direction_NS_24const_host_device_scalarIT2_EEPKiS6_PKS3_S8_S4_PS3_21rocsparse_index_base_b,comdat
.Lfunc_end65:
	.size	_ZN9rocsparseL19gebsrmvn_2xn_kernelILj128ELj15ELj4EfEEvi20rocsparse_direction_NS_24const_host_device_scalarIT2_EEPKiS6_PKS3_S8_S4_PS3_21rocsparse_index_base_b, .Lfunc_end65-_ZN9rocsparseL19gebsrmvn_2xn_kernelILj128ELj15ELj4EfEEvi20rocsparse_direction_NS_24const_host_device_scalarIT2_EEPKiS6_PKS3_S8_S4_PS3_21rocsparse_index_base_b
                                        ; -- End function
	.set _ZN9rocsparseL19gebsrmvn_2xn_kernelILj128ELj15ELj4EfEEvi20rocsparse_direction_NS_24const_host_device_scalarIT2_EEPKiS6_PKS3_S8_S4_PS3_21rocsparse_index_base_b.num_vgpr, 60
	.set _ZN9rocsparseL19gebsrmvn_2xn_kernelILj128ELj15ELj4EfEEvi20rocsparse_direction_NS_24const_host_device_scalarIT2_EEPKiS6_PKS3_S8_S4_PS3_21rocsparse_index_base_b.num_agpr, 0
	.set _ZN9rocsparseL19gebsrmvn_2xn_kernelILj128ELj15ELj4EfEEvi20rocsparse_direction_NS_24const_host_device_scalarIT2_EEPKiS6_PKS3_S8_S4_PS3_21rocsparse_index_base_b.numbered_sgpr, 20
	.set _ZN9rocsparseL19gebsrmvn_2xn_kernelILj128ELj15ELj4EfEEvi20rocsparse_direction_NS_24const_host_device_scalarIT2_EEPKiS6_PKS3_S8_S4_PS3_21rocsparse_index_base_b.num_named_barrier, 0
	.set _ZN9rocsparseL19gebsrmvn_2xn_kernelILj128ELj15ELj4EfEEvi20rocsparse_direction_NS_24const_host_device_scalarIT2_EEPKiS6_PKS3_S8_S4_PS3_21rocsparse_index_base_b.private_seg_size, 0
	.set _ZN9rocsparseL19gebsrmvn_2xn_kernelILj128ELj15ELj4EfEEvi20rocsparse_direction_NS_24const_host_device_scalarIT2_EEPKiS6_PKS3_S8_S4_PS3_21rocsparse_index_base_b.uses_vcc, 1
	.set _ZN9rocsparseL19gebsrmvn_2xn_kernelILj128ELj15ELj4EfEEvi20rocsparse_direction_NS_24const_host_device_scalarIT2_EEPKiS6_PKS3_S8_S4_PS3_21rocsparse_index_base_b.uses_flat_scratch, 0
	.set _ZN9rocsparseL19gebsrmvn_2xn_kernelILj128ELj15ELj4EfEEvi20rocsparse_direction_NS_24const_host_device_scalarIT2_EEPKiS6_PKS3_S8_S4_PS3_21rocsparse_index_base_b.has_dyn_sized_stack, 0
	.set _ZN9rocsparseL19gebsrmvn_2xn_kernelILj128ELj15ELj4EfEEvi20rocsparse_direction_NS_24const_host_device_scalarIT2_EEPKiS6_PKS3_S8_S4_PS3_21rocsparse_index_base_b.has_recursion, 0
	.set _ZN9rocsparseL19gebsrmvn_2xn_kernelILj128ELj15ELj4EfEEvi20rocsparse_direction_NS_24const_host_device_scalarIT2_EEPKiS6_PKS3_S8_S4_PS3_21rocsparse_index_base_b.has_indirect_call, 0
	.section	.AMDGPU.csdata,"",@progbits
; Kernel info:
; codeLenInByte = 3888
; TotalNumSgprs: 22
; NumVgprs: 60
; ScratchSize: 0
; MemoryBound: 0
; FloatMode: 240
; IeeeMode: 1
; LDSByteSize: 0 bytes/workgroup (compile time only)
; SGPRBlocks: 0
; VGPRBlocks: 7
; NumSGPRsForWavesPerEU: 22
; NumVGPRsForWavesPerEU: 60
; Occupancy: 16
; WaveLimiterHint : 1
; COMPUTE_PGM_RSRC2:SCRATCH_EN: 0
; COMPUTE_PGM_RSRC2:USER_SGPR: 6
; COMPUTE_PGM_RSRC2:TRAP_HANDLER: 0
; COMPUTE_PGM_RSRC2:TGID_X_EN: 1
; COMPUTE_PGM_RSRC2:TGID_Y_EN: 0
; COMPUTE_PGM_RSRC2:TGID_Z_EN: 0
; COMPUTE_PGM_RSRC2:TIDIG_COMP_CNT: 0
	.section	.text._ZN9rocsparseL19gebsrmvn_2xn_kernelILj128ELj15ELj8EfEEvi20rocsparse_direction_NS_24const_host_device_scalarIT2_EEPKiS6_PKS3_S8_S4_PS3_21rocsparse_index_base_b,"axG",@progbits,_ZN9rocsparseL19gebsrmvn_2xn_kernelILj128ELj15ELj8EfEEvi20rocsparse_direction_NS_24const_host_device_scalarIT2_EEPKiS6_PKS3_S8_S4_PS3_21rocsparse_index_base_b,comdat
	.globl	_ZN9rocsparseL19gebsrmvn_2xn_kernelILj128ELj15ELj8EfEEvi20rocsparse_direction_NS_24const_host_device_scalarIT2_EEPKiS6_PKS3_S8_S4_PS3_21rocsparse_index_base_b ; -- Begin function _ZN9rocsparseL19gebsrmvn_2xn_kernelILj128ELj15ELj8EfEEvi20rocsparse_direction_NS_24const_host_device_scalarIT2_EEPKiS6_PKS3_S8_S4_PS3_21rocsparse_index_base_b
	.p2align	8
	.type	_ZN9rocsparseL19gebsrmvn_2xn_kernelILj128ELj15ELj8EfEEvi20rocsparse_direction_NS_24const_host_device_scalarIT2_EEPKiS6_PKS3_S8_S4_PS3_21rocsparse_index_base_b,@function
_ZN9rocsparseL19gebsrmvn_2xn_kernelILj128ELj15ELj8EfEEvi20rocsparse_direction_NS_24const_host_device_scalarIT2_EEPKiS6_PKS3_S8_S4_PS3_21rocsparse_index_base_b: ; @_ZN9rocsparseL19gebsrmvn_2xn_kernelILj128ELj15ELj8EfEEvi20rocsparse_direction_NS_24const_host_device_scalarIT2_EEPKiS6_PKS3_S8_S4_PS3_21rocsparse_index_base_b
; %bb.0:
	s_clause 0x2
	s_load_dwordx2 s[18:19], s[4:5], 0x40
	s_load_dwordx2 s[16:17], s[4:5], 0x8
	s_load_dwordx2 s[2:3], s[4:5], 0x30
	s_waitcnt lgkmcnt(0)
	s_bitcmp1_b32 s19, 0
	s_cselect_b32 s0, -1, 0
	s_and_b32 vcc_lo, exec_lo, s0
	s_xor_b32 s0, s0, -1
	s_cbranch_vccnz .LBB66_2
; %bb.1:
	s_load_dword s16, s[16:17], 0x0
.LBB66_2:
	s_andn2_b32 vcc_lo, exec_lo, s0
	s_cbranch_vccnz .LBB66_4
; %bb.3:
	s_load_dword s2, s[2:3], 0x0
.LBB66_4:
	s_waitcnt lgkmcnt(0)
	v_cmp_eq_f32_e64 s0, s16, 0
	v_cmp_eq_f32_e64 s1, s2, 1.0
	s_and_b32 s0, s0, s1
	s_and_b32 vcc_lo, exec_lo, s0
	s_cbranch_vccnz .LBB66_23
; %bb.5:
	s_load_dwordx2 s[0:1], s[4:5], 0x0
	v_lshrrev_b32_e32 v1, 3, v0
	v_lshl_or_b32 v1, s6, 4, v1
	s_waitcnt lgkmcnt(0)
	v_cmp_gt_i32_e32 vcc_lo, s0, v1
	s_and_saveexec_b32 s0, vcc_lo
	s_cbranch_execz .LBB66_23
; %bb.6:
	s_load_dwordx8 s[8:15], s[4:5], 0x10
	v_ashrrev_i32_e32 v2, 31, v1
	v_and_b32_e32 v0, 7, v0
	s_cmp_lg_u32 s1, 0
	v_lshlrev_b64 v[2:3], 2, v[1:2]
	s_waitcnt lgkmcnt(0)
	v_add_co_u32 v2, vcc_lo, s8, v2
	v_add_co_ci_u32_e64 v3, null, s9, v3, vcc_lo
	global_load_dwordx2 v[2:3], v[2:3], off
	s_waitcnt vmcnt(0)
	v_subrev_nc_u32_e32 v2, s18, v2
	v_subrev_nc_u32_e32 v12, s18, v3
	v_add_nc_u32_e32 v2, v2, v0
	v_cmp_lt_i32_e64 s0, v2, v12
	s_cbranch_scc0 .LBB66_12
; %bb.7:
	v_mov_b32_e32 v10, 0
	v_mov_b32_e32 v11, 0
	s_and_saveexec_b32 s1, s0
	s_cbranch_execz .LBB66_11
; %bb.8:
	v_mad_u64_u32 v[3:4], null, v2, 30, 28
	v_mov_b32_e32 v6, 0
	v_mov_b32_e32 v7, v2
	v_mov_b32_e32 v10, 0
	v_mov_b32_e32 v11, 0
	s_mov_b32 s3, 0
.LBB66_9:                               ; =>This Inner Loop Header: Depth=1
	v_ashrrev_i32_e32 v8, 31, v7
	v_mov_b32_e32 v9, v6
	v_lshlrev_b64 v[4:5], 2, v[7:8]
	v_add_nc_u32_e32 v7, 8, v7
	v_add_co_u32 v4, vcc_lo, s10, v4
	v_add_co_ci_u32_e64 v5, null, s11, v5, vcc_lo
	global_load_dword v8, v[4:5], off
	v_subrev_nc_u32_e32 v5, 28, v3
	v_mov_b32_e32 v4, v6
	v_lshlrev_b64 v[13:14], 2, v[5:6]
	v_subrev_nc_u32_e32 v5, 26, v3
	v_lshlrev_b64 v[15:16], 2, v[3:4]
	v_lshlrev_b64 v[4:5], 2, v[5:6]
	v_add_co_u32 v13, vcc_lo, s12, v13
	v_add_co_ci_u32_e64 v14, null, s13, v14, vcc_lo
	v_add_co_u32 v15, vcc_lo, s12, v15
	v_add_co_ci_u32_e64 v16, null, s13, v16, vcc_lo
	;; [unrolled: 2-line block ×3, first 2 shown]
	s_clause 0x1
	global_load_dwordx2 v[13:14], v[13:14], off
	global_load_dwordx2 v[17:18], v[4:5], off
	s_waitcnt vmcnt(2)
	v_subrev_nc_u32_e32 v4, s18, v8
	v_mul_lo_u32 v8, v4, 15
	v_add_nc_u32_e32 v5, 1, v8
	v_lshlrev_b64 v[19:20], 2, v[8:9]
	v_lshlrev_b64 v[21:22], 2, v[5:6]
	v_subrev_nc_u32_e32 v5, 24, v3
	v_add_co_u32 v19, vcc_lo, s14, v19
	v_add_co_ci_u32_e64 v20, null, s15, v20, vcc_lo
	v_add_co_u32 v21, vcc_lo, s14, v21
	v_lshlrev_b64 v[23:24], 2, v[5:6]
	v_add_nc_u32_e32 v5, 2, v8
	v_add_co_ci_u32_e64 v22, null, s15, v22, vcc_lo
	s_clause 0x1
	global_load_dword v47, v[19:20], off
	global_load_dword v48, v[21:22], off
	v_lshlrev_b64 v[19:20], 2, v[5:6]
	v_subrev_nc_u32_e32 v5, 22, v3
	v_add_co_u32 v21, vcc_lo, s12, v23
	v_add_co_ci_u32_e64 v22, null, s13, v24, vcc_lo
	v_lshlrev_b64 v[23:24], 2, v[5:6]
	v_add_nc_u32_e32 v5, 3, v8
	v_add_co_u32 v19, vcc_lo, s14, v19
	v_add_co_ci_u32_e64 v20, null, s15, v20, vcc_lo
	v_lshlrev_b64 v[25:26], 2, v[5:6]
	v_subrev_nc_u32_e32 v5, 20, v3
	global_load_dwordx2 v[21:22], v[21:22], off
	global_load_dword v49, v[19:20], off
	v_add_co_u32 v19, vcc_lo, s12, v23
	v_add_co_ci_u32_e64 v20, null, s13, v24, vcc_lo
	v_lshlrev_b64 v[23:24], 2, v[5:6]
	v_add_nc_u32_e32 v5, 4, v8
	v_add_co_u32 v25, vcc_lo, s14, v25
	v_add_co_ci_u32_e64 v26, null, s15, v26, vcc_lo
	v_lshlrev_b64 v[27:28], 2, v[5:6]
	v_add_co_u32 v23, vcc_lo, s12, v23
	v_add_co_ci_u32_e64 v24, null, s13, v24, vcc_lo
	v_subrev_nc_u32_e32 v5, 18, v3
	v_add_co_u32 v27, vcc_lo, s14, v27
	v_add_co_ci_u32_e64 v28, null, s15, v28, vcc_lo
	global_load_dword v50, v[25:26], off
	s_clause 0x1
	global_load_dwordx2 v[23:24], v[23:24], off
	global_load_dwordx2 v[19:20], v[19:20], off
	global_load_dword v51, v[27:28], off
	v_lshlrev_b64 v[25:26], 2, v[5:6]
	v_add_nc_u32_e32 v5, 5, v8
	v_lshlrev_b64 v[29:30], 2, v[5:6]
	v_add_nc_u32_e32 v5, -16, v3
	v_add_co_u32 v25, vcc_lo, s12, v25
	v_add_co_ci_u32_e64 v26, null, s13, v26, vcc_lo
	v_lshlrev_b64 v[27:28], 2, v[5:6]
	v_add_nc_u32_e32 v5, 6, v8
	v_add_co_u32 v29, vcc_lo, s14, v29
	v_add_co_ci_u32_e64 v30, null, s15, v30, vcc_lo
	v_lshlrev_b64 v[31:32], 2, v[5:6]
	v_add_co_u32 v27, vcc_lo, s12, v27
	v_add_co_ci_u32_e64 v28, null, s13, v28, vcc_lo
	v_add_nc_u32_e32 v5, -14, v3
	v_add_co_u32 v31, vcc_lo, s14, v31
	v_add_co_ci_u32_e64 v32, null, s15, v32, vcc_lo
	global_load_dword v52, v[29:30], off
	s_clause 0x1
	global_load_dwordx2 v[25:26], v[25:26], off
	global_load_dwordx2 v[27:28], v[27:28], off
	global_load_dword v53, v[31:32], off
	v_lshlrev_b64 v[29:30], 2, v[5:6]
	v_add_nc_u32_e32 v5, 7, v8
	v_lshlrev_b64 v[33:34], 2, v[5:6]
	v_add_nc_u32_e32 v5, -12, v3
	v_add_co_u32 v29, vcc_lo, s12, v29
	v_add_co_ci_u32_e64 v30, null, s13, v30, vcc_lo
	v_lshlrev_b64 v[31:32], 2, v[5:6]
	v_add_nc_u32_e32 v5, 8, v8
	v_add_co_u32 v33, vcc_lo, s14, v33
	v_add_co_ci_u32_e64 v34, null, s15, v34, vcc_lo
	v_lshlrev_b64 v[35:36], 2, v[5:6]
	v_add_co_u32 v31, vcc_lo, s12, v31
	v_add_co_ci_u32_e64 v32, null, s13, v32, vcc_lo
	v_add_nc_u32_e32 v5, -10, v3
	;; [unrolled: 21-line block ×4, first 2 shown]
	v_add_co_u32 v43, vcc_lo, s14, v43
	v_add_co_ci_u32_e64 v44, null, s15, v44, vcc_lo
	global_load_dword v58, v[41:42], off
	s_clause 0x1
	global_load_dwordx2 v[37:38], v[37:38], off
	global_load_dwordx2 v[39:40], v[39:40], off
	global_load_dword v43, v[43:44], off
	v_lshlrev_b64 v[41:42], 2, v[5:6]
	v_add_nc_u32_e32 v5, 13, v8
	v_add_nc_u32_e32 v3, 0xf0, v3
	v_lshlrev_b64 v[45:46], 2, v[5:6]
	v_add_nc_u32_e32 v5, 14, v8
	v_add_co_u32 v8, vcc_lo, s12, v41
	v_add_co_ci_u32_e64 v9, null, s13, v42, vcc_lo
	v_lshlrev_b64 v[4:5], 2, v[5:6]
	v_add_co_u32 v41, vcc_lo, s14, v45
	v_add_co_ci_u32_e64 v42, null, s15, v46, vcc_lo
	global_load_dwordx2 v[8:9], v[8:9], off
	global_load_dword v41, v[41:42], off
	v_add_co_u32 v4, vcc_lo, s14, v4
	v_add_co_ci_u32_e64 v5, null, s15, v5, vcc_lo
	global_load_dwordx2 v[15:16], v[15:16], off
	global_load_dword v4, v[4:5], off
	v_cmp_ge_i32_e32 vcc_lo, v7, v12
	s_or_b32 s3, vcc_lo, s3
	s_waitcnt vmcnt(27)
	v_fmac_f32_e32 v10, v13, v47
	v_fmac_f32_e32 v11, v14, v47
	s_waitcnt vmcnt(26)
	v_fmac_f32_e32 v10, v17, v48
	v_fmac_f32_e32 v11, v18, v48
	;; [unrolled: 3-line block ×15, first 2 shown]
	s_andn2_b32 exec_lo, exec_lo, s3
	s_cbranch_execnz .LBB66_9
; %bb.10:
	s_or_b32 exec_lo, exec_lo, s3
.LBB66_11:
	s_or_b32 exec_lo, exec_lo, s1
	s_cbranch_execz .LBB66_13
	s_branch .LBB66_18
.LBB66_12:
                                        ; implicit-def: $vgpr10
                                        ; implicit-def: $vgpr11
.LBB66_13:
	v_mov_b32_e32 v10, 0
	v_mov_b32_e32 v11, 0
	s_and_saveexec_b32 s1, s0
	s_cbranch_execz .LBB66_17
; %bb.14:
	v_mad_u64_u32 v[4:5], null, v2, 30, 29
	v_mov_b32_e32 v7, 0
	v_mov_b32_e32 v10, 0
	;; [unrolled: 1-line block ×3, first 2 shown]
	s_mov_b32 s0, 0
.LBB66_15:                              ; =>This Inner Loop Header: Depth=1
	v_ashrrev_i32_e32 v3, 31, v2
	v_add_nc_u32_e32 v13, -14, v4
	v_mov_b32_e32 v14, v7
	v_mov_b32_e32 v9, v7
	v_lshlrev_b64 v[5:6], 2, v[2:3]
	v_add_nc_u32_e32 v2, 8, v2
	v_lshlrev_b64 v[13:14], 2, v[13:14]
	v_add_co_u32 v5, vcc_lo, s10, v5
	v_add_co_ci_u32_e64 v6, null, s11, v6, vcc_lo
	global_load_dword v3, v[5:6], off
	v_subrev_nc_u32_e32 v6, 29, v4
	v_mov_b32_e32 v5, v7
	v_lshlrev_b64 v[15:16], 2, v[6:7]
	v_lshlrev_b64 v[5:6], 2, v[4:5]
	v_add_co_u32 v15, vcc_lo, s12, v15
	v_add_co_ci_u32_e64 v16, null, s13, v16, vcc_lo
	v_add_co_u32 v13, vcc_lo, s12, v13
	v_add_co_ci_u32_e64 v14, null, s13, v14, vcc_lo
	v_add_co_u32 v17, vcc_lo, s12, v5
	v_add_co_ci_u32_e64 v18, null, s13, v6, vcc_lo
	s_clause 0x1
	global_load_dwordx2 v[15:16], v[15:16], off
	global_load_dword v23, v[13:14], off
	s_waitcnt vmcnt(2)
	v_subrev_nc_u32_e32 v3, s18, v3
	v_mul_lo_u32 v8, v3, 15
	v_add_nc_u32_e32 v6, 1, v8
	v_lshlrev_b64 v[13:14], 2, v[8:9]
	v_lshlrev_b64 v[19:20], 2, v[6:7]
	v_add_nc_u32_e32 v6, -13, v4
	v_add_co_u32 v13, vcc_lo, s14, v13
	v_add_co_ci_u32_e64 v14, null, s15, v14, vcc_lo
	v_lshlrev_b64 v[21:22], 2, v[6:7]
	v_subrev_nc_u32_e32 v6, 27, v4
	global_load_dword v3, v[13:14], off
	v_add_co_u32 v13, vcc_lo, s14, v19
	v_add_co_ci_u32_e64 v14, null, s15, v20, vcc_lo
	v_lshlrev_b64 v[19:20], 2, v[6:7]
	v_add_nc_u32_e32 v6, 2, v8
	v_add_co_u32 v21, vcc_lo, s12, v21
	v_add_co_ci_u32_e64 v22, null, s13, v22, vcc_lo
	global_load_dword v24, v[13:14], off
	v_lshlrev_b64 v[13:14], 2, v[6:7]
	v_add_co_u32 v19, vcc_lo, s12, v19
	v_add_nc_u32_e32 v6, -12, v4
	v_add_co_ci_u32_e64 v20, null, s13, v20, vcc_lo
	v_add_co_u32 v13, vcc_lo, s14, v13
	s_clause 0x1
	global_load_dword v25, v[21:22], off
	global_load_dword v26, v[19:20], off
	v_lshlrev_b64 v[21:22], 2, v[6:7]
	v_add_co_ci_u32_e64 v14, null, s15, v14, vcc_lo
	v_subrev_nc_u32_e32 v6, 26, v4
	global_load_dword v27, v[13:14], off
	v_add_co_u32 v13, vcc_lo, s12, v21
	v_add_co_ci_u32_e64 v14, null, s13, v22, vcc_lo
	global_load_dword v28, v[13:14], off
	v_lshlrev_b64 v[19:20], 2, v[6:7]
	v_add_nc_u32_e32 v6, 3, v8
	v_lshlrev_b64 v[21:22], 2, v[6:7]
	v_add_nc_u32_e32 v6, -11, v4
	v_add_co_u32 v19, vcc_lo, s12, v19
	v_add_co_ci_u32_e64 v20, null, s13, v20, vcc_lo
	v_lshlrev_b64 v[13:14], 2, v[6:7]
	v_subrev_nc_u32_e32 v6, 25, v4
	global_load_dword v29, v[19:20], off
	v_add_co_u32 v19, vcc_lo, s14, v21
	v_add_co_ci_u32_e64 v20, null, s15, v22, vcc_lo
	v_lshlrev_b64 v[21:22], 2, v[6:7]
	v_add_nc_u32_e32 v6, 4, v8
	v_add_co_u32 v13, vcc_lo, s12, v13
	v_add_co_ci_u32_e64 v14, null, s13, v14, vcc_lo
	global_load_dword v30, v[19:20], off
	v_lshlrev_b64 v[19:20], 2, v[6:7]
	v_add_nc_u32_e32 v6, -10, v4
	global_load_dword v31, v[13:14], off
	v_add_co_u32 v13, vcc_lo, s12, v21
	v_add_co_ci_u32_e64 v14, null, s13, v22, vcc_lo
	v_lshlrev_b64 v[21:22], 2, v[6:7]
	v_subrev_nc_u32_e32 v6, 24, v4
	v_add_co_u32 v19, vcc_lo, s14, v19
	v_add_co_ci_u32_e64 v20, null, s15, v20, vcc_lo
	global_load_dword v32, v[13:14], off
	v_lshlrev_b64 v[13:14], 2, v[6:7]
	v_add_nc_u32_e32 v6, 5, v8
	global_load_dword v33, v[19:20], off
	v_add_co_u32 v19, vcc_lo, s12, v21
	v_add_co_ci_u32_e64 v20, null, s13, v22, vcc_lo
	v_add_co_u32 v13, vcc_lo, s12, v13
	v_lshlrev_b64 v[21:22], 2, v[6:7]
	v_add_nc_u32_e32 v6, -9, v4
	v_add_co_ci_u32_e64 v14, null, s13, v14, vcc_lo
	s_clause 0x1
	global_load_dword v34, v[19:20], off
	global_load_dword v35, v[13:14], off
	v_lshlrev_b64 v[19:20], 2, v[6:7]
	v_subrev_nc_u32_e32 v6, 23, v4
	v_add_co_u32 v13, vcc_lo, s14, v21
	v_add_co_ci_u32_e64 v14, null, s15, v22, vcc_lo
	v_lshlrev_b64 v[21:22], 2, v[6:7]
	v_add_nc_u32_e32 v6, 6, v8
	v_add_co_u32 v19, vcc_lo, s12, v19
	v_add_co_ci_u32_e64 v20, null, s13, v20, vcc_lo
	global_load_dword v36, v[13:14], off
	v_lshlrev_b64 v[13:14], 2, v[6:7]
	v_add_nc_u32_e32 v6, -8, v4
	global_load_dword v37, v[19:20], off
	v_add_co_u32 v19, vcc_lo, s12, v21
	v_add_co_ci_u32_e64 v20, null, s13, v22, vcc_lo
	v_add_co_u32 v13, vcc_lo, s14, v13
	v_lshlrev_b64 v[21:22], 2, v[6:7]
	v_add_co_ci_u32_e64 v14, null, s15, v14, vcc_lo
	v_subrev_nc_u32_e32 v6, 22, v4
	global_load_dword v38, v[19:20], off
	global_load_dword v39, v[13:14], off
	v_add_co_u32 v13, vcc_lo, s12, v21
	v_add_co_ci_u32_e64 v14, null, s13, v22, vcc_lo
	global_load_dword v40, v[13:14], off
	v_lshlrev_b64 v[19:20], 2, v[6:7]
	v_add_nc_u32_e32 v6, 7, v8
	v_lshlrev_b64 v[21:22], 2, v[6:7]
	v_add_nc_u32_e32 v6, -7, v4
	v_add_co_u32 v19, vcc_lo, s12, v19
	v_add_co_ci_u32_e64 v20, null, s13, v20, vcc_lo
	v_lshlrev_b64 v[13:14], 2, v[6:7]
	v_subrev_nc_u32_e32 v6, 21, v4
	global_load_dword v41, v[19:20], off
	v_add_co_u32 v19, vcc_lo, s14, v21
	v_add_co_ci_u32_e64 v20, null, s15, v22, vcc_lo
	v_lshlrev_b64 v[21:22], 2, v[6:7]
	v_add_nc_u32_e32 v6, 8, v8
	v_add_co_u32 v13, vcc_lo, s12, v13
	v_add_co_ci_u32_e64 v14, null, s13, v14, vcc_lo
	global_load_dword v42, v[19:20], off
	v_lshlrev_b64 v[19:20], 2, v[6:7]
	v_add_nc_u32_e32 v6, -6, v4
	global_load_dword v43, v[13:14], off
	v_add_co_u32 v13, vcc_lo, s12, v21
	v_add_co_ci_u32_e64 v14, null, s13, v22, vcc_lo
	v_lshlrev_b64 v[21:22], 2, v[6:7]
	v_subrev_nc_u32_e32 v6, 20, v4
	v_add_co_u32 v19, vcc_lo, s14, v19
	v_add_co_ci_u32_e64 v20, null, s15, v20, vcc_lo
	global_load_dword v44, v[13:14], off
	v_lshlrev_b64 v[13:14], 2, v[6:7]
	v_add_nc_u32_e32 v6, 9, v8
	global_load_dword v45, v[19:20], off
	v_add_co_u32 v19, vcc_lo, s12, v21
	v_add_co_ci_u32_e64 v20, null, s13, v22, vcc_lo
	v_add_co_u32 v13, vcc_lo, s12, v13
	v_lshlrev_b64 v[21:22], 2, v[6:7]
	v_add_nc_u32_e32 v6, -5, v4
	v_add_co_ci_u32_e64 v14, null, s13, v14, vcc_lo
	s_clause 0x1
	global_load_dword v46, v[19:20], off
	global_load_dword v47, v[13:14], off
	v_lshlrev_b64 v[19:20], 2, v[6:7]
	v_subrev_nc_u32_e32 v6, 19, v4
	v_add_co_u32 v13, vcc_lo, s14, v21
	v_add_co_ci_u32_e64 v14, null, s15, v22, vcc_lo
	v_lshlrev_b64 v[21:22], 2, v[6:7]
	v_add_nc_u32_e32 v6, 10, v8
	v_add_co_u32 v19, vcc_lo, s12, v19
	v_add_co_ci_u32_e64 v20, null, s13, v20, vcc_lo
	global_load_dword v48, v[13:14], off
	v_lshlrev_b64 v[13:14], 2, v[6:7]
	v_add_nc_u32_e32 v6, -4, v4
	global_load_dword v49, v[19:20], off
	v_add_co_u32 v19, vcc_lo, s12, v21
	v_add_co_ci_u32_e64 v20, null, s13, v22, vcc_lo
	v_add_co_u32 v13, vcc_lo, s14, v13
	v_lshlrev_b64 v[21:22], 2, v[6:7]
	v_add_co_ci_u32_e64 v14, null, s15, v14, vcc_lo
	v_subrev_nc_u32_e32 v6, 18, v4
	global_load_dword v50, v[19:20], off
	global_load_dword v51, v[13:14], off
	v_add_co_u32 v13, vcc_lo, s12, v21
	v_add_co_ci_u32_e64 v14, null, s13, v22, vcc_lo
	global_load_dword v52, v[13:14], off
	v_lshlrev_b64 v[19:20], 2, v[6:7]
	v_add_nc_u32_e32 v6, 11, v8
	v_lshlrev_b64 v[21:22], 2, v[6:7]
	v_add_nc_u32_e32 v6, -3, v4
	v_add_co_u32 v19, vcc_lo, s12, v19
	v_add_co_ci_u32_e64 v20, null, s13, v20, vcc_lo
	v_lshlrev_b64 v[13:14], 2, v[6:7]
	v_subrev_nc_u32_e32 v6, 17, v4
	global_load_dword v53, v[19:20], off
	v_add_co_u32 v19, vcc_lo, s14, v21
	v_add_co_ci_u32_e64 v20, null, s15, v22, vcc_lo
	v_lshlrev_b64 v[21:22], 2, v[6:7]
	v_add_nc_u32_e32 v6, 12, v8
	v_add_co_u32 v13, vcc_lo, s12, v13
	v_add_co_ci_u32_e64 v14, null, s13, v14, vcc_lo
	global_load_dword v54, v[19:20], off
	v_lshlrev_b64 v[19:20], 2, v[6:7]
	v_add_nc_u32_e32 v6, -2, v4
	global_load_dword v55, v[13:14], off
	v_add_co_u32 v13, vcc_lo, s12, v21
	v_add_co_ci_u32_e64 v14, null, s13, v22, vcc_lo
	v_lshlrev_b64 v[21:22], 2, v[6:7]
	v_add_nc_u32_e32 v6, -16, v4
	v_add_co_u32 v19, vcc_lo, s14, v19
	v_add_co_ci_u32_e64 v20, null, s15, v20, vcc_lo
	global_load_dword v56, v[13:14], off
	v_lshlrev_b64 v[13:14], 2, v[6:7]
	v_add_nc_u32_e32 v6, 13, v8
	global_load_dword v57, v[19:20], off
	v_add_co_u32 v19, vcc_lo, s12, v21
	v_add_co_ci_u32_e64 v20, null, s13, v22, vcc_lo
	v_add_co_u32 v13, vcc_lo, s12, v13
	v_lshlrev_b64 v[21:22], 2, v[6:7]
	v_add_nc_u32_e32 v6, -1, v4
	v_add_co_ci_u32_e64 v14, null, s13, v14, vcc_lo
	s_clause 0x1
	global_load_dword v58, v[19:20], off
	global_load_dword v59, v[13:14], off
	v_lshlrev_b64 v[19:20], 2, v[6:7]
	v_add_nc_u32_e32 v6, -15, v4
	v_add_co_u32 v13, vcc_lo, s14, v21
	v_add_co_ci_u32_e64 v14, null, s15, v22, vcc_lo
	v_lshlrev_b64 v[21:22], 2, v[6:7]
	v_add_nc_u32_e32 v6, 14, v8
	v_add_co_u32 v8, vcc_lo, s12, v19
	v_add_co_ci_u32_e64 v9, null, s13, v20, vcc_lo
	v_lshlrev_b64 v[5:6], 2, v[6:7]
	global_load_dword v13, v[13:14], off
	v_add_nc_u32_e32 v4, 0xf0, v4
	global_load_dword v14, v[8:9], off
	v_add_co_u32 v8, vcc_lo, s12, v21
	v_add_co_ci_u32_e64 v9, null, s13, v22, vcc_lo
	v_add_co_u32 v5, vcc_lo, s14, v5
	v_add_co_ci_u32_e64 v6, null, s15, v6, vcc_lo
	s_clause 0x1
	global_load_dword v17, v[17:18], off
	global_load_dword v8, v[8:9], off
	;; [unrolled: 1-line block ×3, first 2 shown]
	v_cmp_ge_i32_e32 vcc_lo, v2, v12
	s_or_b32 s0, vcc_lo, s0
	s_waitcnt vmcnt(41)
	v_fmac_f32_e32 v10, v15, v3
	v_fmac_f32_e32 v11, v23, v3
	s_waitcnt vmcnt(40)
	v_fmac_f32_e32 v10, v16, v24
	s_waitcnt vmcnt(39)
	;; [unrolled: 2-line block ×27, first 2 shown]
	v_fmac_f32_e32 v10, v8, v5
	v_fmac_f32_e32 v11, v17, v5
	s_andn2_b32 exec_lo, exec_lo, s0
	s_cbranch_execnz .LBB66_15
; %bb.16:
	s_or_b32 exec_lo, exec_lo, s0
.LBB66_17:
	s_or_b32 exec_lo, exec_lo, s1
.LBB66_18:
	v_mbcnt_lo_u32_b32 v2, -1, 0
	s_mov_b32 s3, -1
	v_xor_b32_e32 v3, 4, v2
	v_xor_b32_e32 v5, 2, v2
	;; [unrolled: 1-line block ×3, first 2 shown]
	v_cmp_gt_i32_e32 vcc_lo, 32, v3
	v_cndmask_b32_e32 v3, v2, v3, vcc_lo
	v_cmp_gt_i32_e32 vcc_lo, 32, v5
	v_lshlrev_b32_e32 v3, 2, v3
	v_cndmask_b32_e32 v5, v2, v5, vcc_lo
	v_cmp_gt_i32_e32 vcc_lo, 32, v7
	ds_bpermute_b32 v4, v3, v10
	ds_bpermute_b32 v3, v3, v11
	v_lshlrev_b32_e32 v5, 2, v5
	v_cndmask_b32_e32 v2, v2, v7, vcc_lo
	v_cmp_eq_u32_e32 vcc_lo, 7, v0
	v_lshlrev_b32_e32 v7, 2, v2
	s_waitcnt lgkmcnt(1)
	v_add_f32_e32 v4, v10, v4
	s_waitcnt lgkmcnt(0)
	v_add_f32_e32 v3, v11, v3
	ds_bpermute_b32 v6, v5, v4
	ds_bpermute_b32 v5, v5, v3
	s_waitcnt lgkmcnt(1)
	v_add_f32_e32 v2, v4, v6
	s_waitcnt lgkmcnt(0)
	v_add_f32_e32 v3, v3, v5
	ds_bpermute_b32 v4, v7, v2
	ds_bpermute_b32 v5, v7, v3
	s_and_b32 exec_lo, exec_lo, vcc_lo
	s_cbranch_execz .LBB66_23
; %bb.19:
	s_load_dwordx2 s[0:1], s[4:5], 0x38
	s_waitcnt lgkmcnt(0)
	v_add_f32_e32 v0, v2, v4
	v_add_f32_e32 v3, v3, v5
	v_cmp_eq_f32_e64 s4, s2, 0
	v_mul_f32_e32 v2, s16, v0
	v_mul_f32_e32 v3, s16, v3
	v_lshlrev_b32_e32 v0, 1, v1
	s_and_b32 vcc_lo, exec_lo, s4
	s_cbranch_vccz .LBB66_21
; %bb.20:
	v_ashrrev_i32_e32 v1, 31, v0
	s_mov_b32 s3, 0
	v_lshlrev_b64 v[4:5], 2, v[0:1]
	v_add_co_u32 v4, vcc_lo, s0, v4
	v_add_co_ci_u32_e64 v5, null, s1, v5, vcc_lo
	global_store_dwordx2 v[4:5], v[2:3], off
.LBB66_21:
	s_andn2_b32 vcc_lo, exec_lo, s3
	s_cbranch_vccnz .LBB66_23
; %bb.22:
	v_ashrrev_i32_e32 v1, 31, v0
	v_lshlrev_b64 v[0:1], 2, v[0:1]
	v_add_co_u32 v0, vcc_lo, s0, v0
	v_add_co_ci_u32_e64 v1, null, s1, v1, vcc_lo
	global_load_dwordx2 v[4:5], v[0:1], off
	s_waitcnt vmcnt(0)
	v_fmac_f32_e32 v2, s2, v4
	v_fmac_f32_e32 v3, s2, v5
	global_store_dwordx2 v[0:1], v[2:3], off
.LBB66_23:
	s_endpgm
	.section	.rodata,"a",@progbits
	.p2align	6, 0x0
	.amdhsa_kernel _ZN9rocsparseL19gebsrmvn_2xn_kernelILj128ELj15ELj8EfEEvi20rocsparse_direction_NS_24const_host_device_scalarIT2_EEPKiS6_PKS3_S8_S4_PS3_21rocsparse_index_base_b
		.amdhsa_group_segment_fixed_size 0
		.amdhsa_private_segment_fixed_size 0
		.amdhsa_kernarg_size 72
		.amdhsa_user_sgpr_count 6
		.amdhsa_user_sgpr_private_segment_buffer 1
		.amdhsa_user_sgpr_dispatch_ptr 0
		.amdhsa_user_sgpr_queue_ptr 0
		.amdhsa_user_sgpr_kernarg_segment_ptr 1
		.amdhsa_user_sgpr_dispatch_id 0
		.amdhsa_user_sgpr_flat_scratch_init 0
		.amdhsa_user_sgpr_private_segment_size 0
		.amdhsa_wavefront_size32 1
		.amdhsa_uses_dynamic_stack 0
		.amdhsa_system_sgpr_private_segment_wavefront_offset 0
		.amdhsa_system_sgpr_workgroup_id_x 1
		.amdhsa_system_sgpr_workgroup_id_y 0
		.amdhsa_system_sgpr_workgroup_id_z 0
		.amdhsa_system_sgpr_workgroup_info 0
		.amdhsa_system_vgpr_workitem_id 0
		.amdhsa_next_free_vgpr 60
		.amdhsa_next_free_sgpr 20
		.amdhsa_reserve_vcc 1
		.amdhsa_reserve_flat_scratch 0
		.amdhsa_float_round_mode_32 0
		.amdhsa_float_round_mode_16_64 0
		.amdhsa_float_denorm_mode_32 3
		.amdhsa_float_denorm_mode_16_64 3
		.amdhsa_dx10_clamp 1
		.amdhsa_ieee_mode 1
		.amdhsa_fp16_overflow 0
		.amdhsa_workgroup_processor_mode 1
		.amdhsa_memory_ordered 1
		.amdhsa_forward_progress 1
		.amdhsa_shared_vgpr_count 0
		.amdhsa_exception_fp_ieee_invalid_op 0
		.amdhsa_exception_fp_denorm_src 0
		.amdhsa_exception_fp_ieee_div_zero 0
		.amdhsa_exception_fp_ieee_overflow 0
		.amdhsa_exception_fp_ieee_underflow 0
		.amdhsa_exception_fp_ieee_inexact 0
		.amdhsa_exception_int_div_zero 0
	.end_amdhsa_kernel
	.section	.text._ZN9rocsparseL19gebsrmvn_2xn_kernelILj128ELj15ELj8EfEEvi20rocsparse_direction_NS_24const_host_device_scalarIT2_EEPKiS6_PKS3_S8_S4_PS3_21rocsparse_index_base_b,"axG",@progbits,_ZN9rocsparseL19gebsrmvn_2xn_kernelILj128ELj15ELj8EfEEvi20rocsparse_direction_NS_24const_host_device_scalarIT2_EEPKiS6_PKS3_S8_S4_PS3_21rocsparse_index_base_b,comdat
.Lfunc_end66:
	.size	_ZN9rocsparseL19gebsrmvn_2xn_kernelILj128ELj15ELj8EfEEvi20rocsparse_direction_NS_24const_host_device_scalarIT2_EEPKiS6_PKS3_S8_S4_PS3_21rocsparse_index_base_b, .Lfunc_end66-_ZN9rocsparseL19gebsrmvn_2xn_kernelILj128ELj15ELj8EfEEvi20rocsparse_direction_NS_24const_host_device_scalarIT2_EEPKiS6_PKS3_S8_S4_PS3_21rocsparse_index_base_b
                                        ; -- End function
	.set _ZN9rocsparseL19gebsrmvn_2xn_kernelILj128ELj15ELj8EfEEvi20rocsparse_direction_NS_24const_host_device_scalarIT2_EEPKiS6_PKS3_S8_S4_PS3_21rocsparse_index_base_b.num_vgpr, 60
	.set _ZN9rocsparseL19gebsrmvn_2xn_kernelILj128ELj15ELj8EfEEvi20rocsparse_direction_NS_24const_host_device_scalarIT2_EEPKiS6_PKS3_S8_S4_PS3_21rocsparse_index_base_b.num_agpr, 0
	.set _ZN9rocsparseL19gebsrmvn_2xn_kernelILj128ELj15ELj8EfEEvi20rocsparse_direction_NS_24const_host_device_scalarIT2_EEPKiS6_PKS3_S8_S4_PS3_21rocsparse_index_base_b.numbered_sgpr, 20
	.set _ZN9rocsparseL19gebsrmvn_2xn_kernelILj128ELj15ELj8EfEEvi20rocsparse_direction_NS_24const_host_device_scalarIT2_EEPKiS6_PKS3_S8_S4_PS3_21rocsparse_index_base_b.num_named_barrier, 0
	.set _ZN9rocsparseL19gebsrmvn_2xn_kernelILj128ELj15ELj8EfEEvi20rocsparse_direction_NS_24const_host_device_scalarIT2_EEPKiS6_PKS3_S8_S4_PS3_21rocsparse_index_base_b.private_seg_size, 0
	.set _ZN9rocsparseL19gebsrmvn_2xn_kernelILj128ELj15ELj8EfEEvi20rocsparse_direction_NS_24const_host_device_scalarIT2_EEPKiS6_PKS3_S8_S4_PS3_21rocsparse_index_base_b.uses_vcc, 1
	.set _ZN9rocsparseL19gebsrmvn_2xn_kernelILj128ELj15ELj8EfEEvi20rocsparse_direction_NS_24const_host_device_scalarIT2_EEPKiS6_PKS3_S8_S4_PS3_21rocsparse_index_base_b.uses_flat_scratch, 0
	.set _ZN9rocsparseL19gebsrmvn_2xn_kernelILj128ELj15ELj8EfEEvi20rocsparse_direction_NS_24const_host_device_scalarIT2_EEPKiS6_PKS3_S8_S4_PS3_21rocsparse_index_base_b.has_dyn_sized_stack, 0
	.set _ZN9rocsparseL19gebsrmvn_2xn_kernelILj128ELj15ELj8EfEEvi20rocsparse_direction_NS_24const_host_device_scalarIT2_EEPKiS6_PKS3_S8_S4_PS3_21rocsparse_index_base_b.has_recursion, 0
	.set _ZN9rocsparseL19gebsrmvn_2xn_kernelILj128ELj15ELj8EfEEvi20rocsparse_direction_NS_24const_host_device_scalarIT2_EEPKiS6_PKS3_S8_S4_PS3_21rocsparse_index_base_b.has_indirect_call, 0
	.section	.AMDGPU.csdata,"",@progbits
; Kernel info:
; codeLenInByte = 3936
; TotalNumSgprs: 22
; NumVgprs: 60
; ScratchSize: 0
; MemoryBound: 0
; FloatMode: 240
; IeeeMode: 1
; LDSByteSize: 0 bytes/workgroup (compile time only)
; SGPRBlocks: 0
; VGPRBlocks: 7
; NumSGPRsForWavesPerEU: 22
; NumVGPRsForWavesPerEU: 60
; Occupancy: 16
; WaveLimiterHint : 1
; COMPUTE_PGM_RSRC2:SCRATCH_EN: 0
; COMPUTE_PGM_RSRC2:USER_SGPR: 6
; COMPUTE_PGM_RSRC2:TRAP_HANDLER: 0
; COMPUTE_PGM_RSRC2:TGID_X_EN: 1
; COMPUTE_PGM_RSRC2:TGID_Y_EN: 0
; COMPUTE_PGM_RSRC2:TGID_Z_EN: 0
; COMPUTE_PGM_RSRC2:TIDIG_COMP_CNT: 0
	.section	.text._ZN9rocsparseL19gebsrmvn_2xn_kernelILj128ELj15ELj16EfEEvi20rocsparse_direction_NS_24const_host_device_scalarIT2_EEPKiS6_PKS3_S8_S4_PS3_21rocsparse_index_base_b,"axG",@progbits,_ZN9rocsparseL19gebsrmvn_2xn_kernelILj128ELj15ELj16EfEEvi20rocsparse_direction_NS_24const_host_device_scalarIT2_EEPKiS6_PKS3_S8_S4_PS3_21rocsparse_index_base_b,comdat
	.globl	_ZN9rocsparseL19gebsrmvn_2xn_kernelILj128ELj15ELj16EfEEvi20rocsparse_direction_NS_24const_host_device_scalarIT2_EEPKiS6_PKS3_S8_S4_PS3_21rocsparse_index_base_b ; -- Begin function _ZN9rocsparseL19gebsrmvn_2xn_kernelILj128ELj15ELj16EfEEvi20rocsparse_direction_NS_24const_host_device_scalarIT2_EEPKiS6_PKS3_S8_S4_PS3_21rocsparse_index_base_b
	.p2align	8
	.type	_ZN9rocsparseL19gebsrmvn_2xn_kernelILj128ELj15ELj16EfEEvi20rocsparse_direction_NS_24const_host_device_scalarIT2_EEPKiS6_PKS3_S8_S4_PS3_21rocsparse_index_base_b,@function
_ZN9rocsparseL19gebsrmvn_2xn_kernelILj128ELj15ELj16EfEEvi20rocsparse_direction_NS_24const_host_device_scalarIT2_EEPKiS6_PKS3_S8_S4_PS3_21rocsparse_index_base_b: ; @_ZN9rocsparseL19gebsrmvn_2xn_kernelILj128ELj15ELj16EfEEvi20rocsparse_direction_NS_24const_host_device_scalarIT2_EEPKiS6_PKS3_S8_S4_PS3_21rocsparse_index_base_b
; %bb.0:
	s_clause 0x2
	s_load_dwordx2 s[18:19], s[4:5], 0x40
	s_load_dwordx2 s[16:17], s[4:5], 0x8
	;; [unrolled: 1-line block ×3, first 2 shown]
	s_waitcnt lgkmcnt(0)
	s_bitcmp1_b32 s19, 0
	s_cselect_b32 s0, -1, 0
	s_and_b32 vcc_lo, exec_lo, s0
	s_xor_b32 s0, s0, -1
	s_cbranch_vccnz .LBB67_2
; %bb.1:
	s_load_dword s16, s[16:17], 0x0
.LBB67_2:
	s_andn2_b32 vcc_lo, exec_lo, s0
	s_cbranch_vccnz .LBB67_4
; %bb.3:
	s_load_dword s2, s[2:3], 0x0
.LBB67_4:
	s_waitcnt lgkmcnt(0)
	v_cmp_eq_f32_e64 s0, s16, 0
	v_cmp_eq_f32_e64 s1, s2, 1.0
	s_and_b32 s0, s0, s1
	s_and_b32 vcc_lo, exec_lo, s0
	s_cbranch_vccnz .LBB67_23
; %bb.5:
	s_load_dwordx2 s[0:1], s[4:5], 0x0
	v_lshrrev_b32_e32 v1, 4, v0
	v_lshl_or_b32 v1, s6, 3, v1
	s_waitcnt lgkmcnt(0)
	v_cmp_gt_i32_e32 vcc_lo, s0, v1
	s_and_saveexec_b32 s0, vcc_lo
	s_cbranch_execz .LBB67_23
; %bb.6:
	s_load_dwordx8 s[8:15], s[4:5], 0x10
	v_ashrrev_i32_e32 v2, 31, v1
	v_and_b32_e32 v0, 15, v0
	s_cmp_lg_u32 s1, 0
	v_lshlrev_b64 v[2:3], 2, v[1:2]
	s_waitcnt lgkmcnt(0)
	v_add_co_u32 v2, vcc_lo, s8, v2
	v_add_co_ci_u32_e64 v3, null, s9, v3, vcc_lo
	global_load_dwordx2 v[2:3], v[2:3], off
	s_waitcnt vmcnt(0)
	v_subrev_nc_u32_e32 v2, s18, v2
	v_subrev_nc_u32_e32 v12, s18, v3
	v_add_nc_u32_e32 v2, v2, v0
	v_cmp_lt_i32_e64 s0, v2, v12
	s_cbranch_scc0 .LBB67_12
; %bb.7:
	v_mov_b32_e32 v10, 0
	v_mov_b32_e32 v11, 0
	s_and_saveexec_b32 s1, s0
	s_cbranch_execz .LBB67_11
; %bb.8:
	v_mad_u64_u32 v[3:4], null, v2, 30, 28
	v_mov_b32_e32 v6, 0
	v_mov_b32_e32 v7, v2
	;; [unrolled: 1-line block ×4, first 2 shown]
	s_mov_b32 s3, 0
.LBB67_9:                               ; =>This Inner Loop Header: Depth=1
	v_ashrrev_i32_e32 v8, 31, v7
	v_mov_b32_e32 v9, v6
	v_lshlrev_b64 v[4:5], 2, v[7:8]
	v_add_nc_u32_e32 v7, 16, v7
	v_add_co_u32 v4, vcc_lo, s10, v4
	v_add_co_ci_u32_e64 v5, null, s11, v5, vcc_lo
	global_load_dword v8, v[4:5], off
	v_subrev_nc_u32_e32 v5, 28, v3
	v_mov_b32_e32 v4, v6
	v_lshlrev_b64 v[13:14], 2, v[5:6]
	v_subrev_nc_u32_e32 v5, 26, v3
	v_lshlrev_b64 v[15:16], 2, v[3:4]
	v_lshlrev_b64 v[4:5], 2, v[5:6]
	v_add_co_u32 v13, vcc_lo, s12, v13
	v_add_co_ci_u32_e64 v14, null, s13, v14, vcc_lo
	v_add_co_u32 v15, vcc_lo, s12, v15
	v_add_co_ci_u32_e64 v16, null, s13, v16, vcc_lo
	;; [unrolled: 2-line block ×3, first 2 shown]
	s_clause 0x1
	global_load_dwordx2 v[13:14], v[13:14], off
	global_load_dwordx2 v[17:18], v[4:5], off
	s_waitcnt vmcnt(2)
	v_subrev_nc_u32_e32 v4, s18, v8
	v_mul_lo_u32 v8, v4, 15
	v_add_nc_u32_e32 v5, 1, v8
	v_lshlrev_b64 v[19:20], 2, v[8:9]
	v_lshlrev_b64 v[21:22], 2, v[5:6]
	v_subrev_nc_u32_e32 v5, 24, v3
	v_add_co_u32 v19, vcc_lo, s14, v19
	v_add_co_ci_u32_e64 v20, null, s15, v20, vcc_lo
	v_add_co_u32 v21, vcc_lo, s14, v21
	v_lshlrev_b64 v[23:24], 2, v[5:6]
	v_add_nc_u32_e32 v5, 2, v8
	v_add_co_ci_u32_e64 v22, null, s15, v22, vcc_lo
	s_clause 0x1
	global_load_dword v47, v[19:20], off
	global_load_dword v48, v[21:22], off
	v_lshlrev_b64 v[19:20], 2, v[5:6]
	v_subrev_nc_u32_e32 v5, 22, v3
	v_add_co_u32 v21, vcc_lo, s12, v23
	v_add_co_ci_u32_e64 v22, null, s13, v24, vcc_lo
	v_lshlrev_b64 v[23:24], 2, v[5:6]
	v_add_nc_u32_e32 v5, 3, v8
	v_add_co_u32 v19, vcc_lo, s14, v19
	v_add_co_ci_u32_e64 v20, null, s15, v20, vcc_lo
	v_lshlrev_b64 v[25:26], 2, v[5:6]
	v_subrev_nc_u32_e32 v5, 20, v3
	global_load_dwordx2 v[21:22], v[21:22], off
	global_load_dword v49, v[19:20], off
	v_add_co_u32 v19, vcc_lo, s12, v23
	v_add_co_ci_u32_e64 v20, null, s13, v24, vcc_lo
	v_lshlrev_b64 v[23:24], 2, v[5:6]
	v_add_nc_u32_e32 v5, 4, v8
	v_add_co_u32 v25, vcc_lo, s14, v25
	v_add_co_ci_u32_e64 v26, null, s15, v26, vcc_lo
	v_lshlrev_b64 v[27:28], 2, v[5:6]
	v_add_co_u32 v23, vcc_lo, s12, v23
	v_add_co_ci_u32_e64 v24, null, s13, v24, vcc_lo
	v_subrev_nc_u32_e32 v5, 18, v3
	v_add_co_u32 v27, vcc_lo, s14, v27
	v_add_co_ci_u32_e64 v28, null, s15, v28, vcc_lo
	global_load_dword v50, v[25:26], off
	s_clause 0x1
	global_load_dwordx2 v[23:24], v[23:24], off
	global_load_dwordx2 v[19:20], v[19:20], off
	global_load_dword v51, v[27:28], off
	v_lshlrev_b64 v[25:26], 2, v[5:6]
	v_add_nc_u32_e32 v5, 5, v8
	v_lshlrev_b64 v[29:30], 2, v[5:6]
	v_add_nc_u32_e32 v5, -16, v3
	v_add_co_u32 v25, vcc_lo, s12, v25
	v_add_co_ci_u32_e64 v26, null, s13, v26, vcc_lo
	v_lshlrev_b64 v[27:28], 2, v[5:6]
	v_add_nc_u32_e32 v5, 6, v8
	v_add_co_u32 v29, vcc_lo, s14, v29
	v_add_co_ci_u32_e64 v30, null, s15, v30, vcc_lo
	v_lshlrev_b64 v[31:32], 2, v[5:6]
	v_add_co_u32 v27, vcc_lo, s12, v27
	v_add_co_ci_u32_e64 v28, null, s13, v28, vcc_lo
	v_add_nc_u32_e32 v5, -14, v3
	v_add_co_u32 v31, vcc_lo, s14, v31
	v_add_co_ci_u32_e64 v32, null, s15, v32, vcc_lo
	global_load_dword v52, v[29:30], off
	s_clause 0x1
	global_load_dwordx2 v[25:26], v[25:26], off
	global_load_dwordx2 v[27:28], v[27:28], off
	global_load_dword v53, v[31:32], off
	v_lshlrev_b64 v[29:30], 2, v[5:6]
	v_add_nc_u32_e32 v5, 7, v8
	v_lshlrev_b64 v[33:34], 2, v[5:6]
	v_add_nc_u32_e32 v5, -12, v3
	v_add_co_u32 v29, vcc_lo, s12, v29
	v_add_co_ci_u32_e64 v30, null, s13, v30, vcc_lo
	v_lshlrev_b64 v[31:32], 2, v[5:6]
	v_add_nc_u32_e32 v5, 8, v8
	v_add_co_u32 v33, vcc_lo, s14, v33
	v_add_co_ci_u32_e64 v34, null, s15, v34, vcc_lo
	v_lshlrev_b64 v[35:36], 2, v[5:6]
	v_add_co_u32 v31, vcc_lo, s12, v31
	v_add_co_ci_u32_e64 v32, null, s13, v32, vcc_lo
	v_add_nc_u32_e32 v5, -10, v3
	;; [unrolled: 21-line block ×4, first 2 shown]
	v_add_co_u32 v43, vcc_lo, s14, v43
	v_add_co_ci_u32_e64 v44, null, s15, v44, vcc_lo
	global_load_dword v58, v[41:42], off
	s_clause 0x1
	global_load_dwordx2 v[37:38], v[37:38], off
	global_load_dwordx2 v[39:40], v[39:40], off
	global_load_dword v43, v[43:44], off
	v_lshlrev_b64 v[41:42], 2, v[5:6]
	v_add_nc_u32_e32 v5, 13, v8
	v_add_nc_u32_e32 v3, 0x1e0, v3
	v_lshlrev_b64 v[45:46], 2, v[5:6]
	v_add_nc_u32_e32 v5, 14, v8
	v_add_co_u32 v8, vcc_lo, s12, v41
	v_add_co_ci_u32_e64 v9, null, s13, v42, vcc_lo
	v_lshlrev_b64 v[4:5], 2, v[5:6]
	v_add_co_u32 v41, vcc_lo, s14, v45
	v_add_co_ci_u32_e64 v42, null, s15, v46, vcc_lo
	global_load_dwordx2 v[8:9], v[8:9], off
	global_load_dword v41, v[41:42], off
	v_add_co_u32 v4, vcc_lo, s14, v4
	v_add_co_ci_u32_e64 v5, null, s15, v5, vcc_lo
	global_load_dwordx2 v[15:16], v[15:16], off
	global_load_dword v4, v[4:5], off
	v_cmp_ge_i32_e32 vcc_lo, v7, v12
	s_or_b32 s3, vcc_lo, s3
	s_waitcnt vmcnt(27)
	v_fmac_f32_e32 v10, v13, v47
	v_fmac_f32_e32 v11, v14, v47
	s_waitcnt vmcnt(26)
	v_fmac_f32_e32 v10, v17, v48
	v_fmac_f32_e32 v11, v18, v48
	;; [unrolled: 3-line block ×15, first 2 shown]
	s_andn2_b32 exec_lo, exec_lo, s3
	s_cbranch_execnz .LBB67_9
; %bb.10:
	s_or_b32 exec_lo, exec_lo, s3
.LBB67_11:
	s_or_b32 exec_lo, exec_lo, s1
	s_cbranch_execz .LBB67_13
	s_branch .LBB67_18
.LBB67_12:
                                        ; implicit-def: $vgpr10
                                        ; implicit-def: $vgpr11
.LBB67_13:
	v_mov_b32_e32 v10, 0
	v_mov_b32_e32 v11, 0
	s_and_saveexec_b32 s1, s0
	s_cbranch_execz .LBB67_17
; %bb.14:
	v_mad_u64_u32 v[4:5], null, v2, 30, 29
	v_mov_b32_e32 v7, 0
	v_mov_b32_e32 v10, 0
	;; [unrolled: 1-line block ×3, first 2 shown]
	s_mov_b32 s0, 0
.LBB67_15:                              ; =>This Inner Loop Header: Depth=1
	v_ashrrev_i32_e32 v3, 31, v2
	v_add_nc_u32_e32 v13, -14, v4
	v_mov_b32_e32 v14, v7
	v_mov_b32_e32 v9, v7
	v_lshlrev_b64 v[5:6], 2, v[2:3]
	v_add_nc_u32_e32 v2, 16, v2
	v_lshlrev_b64 v[13:14], 2, v[13:14]
	v_add_co_u32 v5, vcc_lo, s10, v5
	v_add_co_ci_u32_e64 v6, null, s11, v6, vcc_lo
	global_load_dword v3, v[5:6], off
	v_subrev_nc_u32_e32 v6, 29, v4
	v_mov_b32_e32 v5, v7
	v_lshlrev_b64 v[15:16], 2, v[6:7]
	v_lshlrev_b64 v[5:6], 2, v[4:5]
	v_add_co_u32 v15, vcc_lo, s12, v15
	v_add_co_ci_u32_e64 v16, null, s13, v16, vcc_lo
	v_add_co_u32 v13, vcc_lo, s12, v13
	v_add_co_ci_u32_e64 v14, null, s13, v14, vcc_lo
	;; [unrolled: 2-line block ×3, first 2 shown]
	s_clause 0x1
	global_load_dwordx2 v[15:16], v[15:16], off
	global_load_dword v23, v[13:14], off
	s_waitcnt vmcnt(2)
	v_subrev_nc_u32_e32 v3, s18, v3
	v_mul_lo_u32 v8, v3, 15
	v_add_nc_u32_e32 v6, 1, v8
	v_lshlrev_b64 v[13:14], 2, v[8:9]
	v_lshlrev_b64 v[19:20], 2, v[6:7]
	v_add_nc_u32_e32 v6, -13, v4
	v_add_co_u32 v13, vcc_lo, s14, v13
	v_add_co_ci_u32_e64 v14, null, s15, v14, vcc_lo
	v_lshlrev_b64 v[21:22], 2, v[6:7]
	v_subrev_nc_u32_e32 v6, 27, v4
	global_load_dword v3, v[13:14], off
	v_add_co_u32 v13, vcc_lo, s14, v19
	v_add_co_ci_u32_e64 v14, null, s15, v20, vcc_lo
	v_lshlrev_b64 v[19:20], 2, v[6:7]
	v_add_nc_u32_e32 v6, 2, v8
	v_add_co_u32 v21, vcc_lo, s12, v21
	v_add_co_ci_u32_e64 v22, null, s13, v22, vcc_lo
	global_load_dword v24, v[13:14], off
	v_lshlrev_b64 v[13:14], 2, v[6:7]
	v_add_co_u32 v19, vcc_lo, s12, v19
	v_add_nc_u32_e32 v6, -12, v4
	v_add_co_ci_u32_e64 v20, null, s13, v20, vcc_lo
	v_add_co_u32 v13, vcc_lo, s14, v13
	s_clause 0x1
	global_load_dword v25, v[21:22], off
	global_load_dword v26, v[19:20], off
	v_lshlrev_b64 v[21:22], 2, v[6:7]
	v_add_co_ci_u32_e64 v14, null, s15, v14, vcc_lo
	v_subrev_nc_u32_e32 v6, 26, v4
	global_load_dword v27, v[13:14], off
	v_add_co_u32 v13, vcc_lo, s12, v21
	v_add_co_ci_u32_e64 v14, null, s13, v22, vcc_lo
	global_load_dword v28, v[13:14], off
	v_lshlrev_b64 v[19:20], 2, v[6:7]
	v_add_nc_u32_e32 v6, 3, v8
	v_lshlrev_b64 v[21:22], 2, v[6:7]
	v_add_nc_u32_e32 v6, -11, v4
	v_add_co_u32 v19, vcc_lo, s12, v19
	v_add_co_ci_u32_e64 v20, null, s13, v20, vcc_lo
	v_lshlrev_b64 v[13:14], 2, v[6:7]
	v_subrev_nc_u32_e32 v6, 25, v4
	global_load_dword v29, v[19:20], off
	v_add_co_u32 v19, vcc_lo, s14, v21
	v_add_co_ci_u32_e64 v20, null, s15, v22, vcc_lo
	v_lshlrev_b64 v[21:22], 2, v[6:7]
	v_add_nc_u32_e32 v6, 4, v8
	v_add_co_u32 v13, vcc_lo, s12, v13
	v_add_co_ci_u32_e64 v14, null, s13, v14, vcc_lo
	global_load_dword v30, v[19:20], off
	v_lshlrev_b64 v[19:20], 2, v[6:7]
	v_add_nc_u32_e32 v6, -10, v4
	global_load_dword v31, v[13:14], off
	v_add_co_u32 v13, vcc_lo, s12, v21
	v_add_co_ci_u32_e64 v14, null, s13, v22, vcc_lo
	v_lshlrev_b64 v[21:22], 2, v[6:7]
	v_subrev_nc_u32_e32 v6, 24, v4
	v_add_co_u32 v19, vcc_lo, s14, v19
	v_add_co_ci_u32_e64 v20, null, s15, v20, vcc_lo
	global_load_dword v32, v[13:14], off
	v_lshlrev_b64 v[13:14], 2, v[6:7]
	v_add_nc_u32_e32 v6, 5, v8
	global_load_dword v33, v[19:20], off
	v_add_co_u32 v19, vcc_lo, s12, v21
	v_add_co_ci_u32_e64 v20, null, s13, v22, vcc_lo
	v_add_co_u32 v13, vcc_lo, s12, v13
	v_lshlrev_b64 v[21:22], 2, v[6:7]
	v_add_nc_u32_e32 v6, -9, v4
	v_add_co_ci_u32_e64 v14, null, s13, v14, vcc_lo
	s_clause 0x1
	global_load_dword v34, v[19:20], off
	global_load_dword v35, v[13:14], off
	v_lshlrev_b64 v[19:20], 2, v[6:7]
	v_subrev_nc_u32_e32 v6, 23, v4
	v_add_co_u32 v13, vcc_lo, s14, v21
	v_add_co_ci_u32_e64 v14, null, s15, v22, vcc_lo
	v_lshlrev_b64 v[21:22], 2, v[6:7]
	v_add_nc_u32_e32 v6, 6, v8
	v_add_co_u32 v19, vcc_lo, s12, v19
	v_add_co_ci_u32_e64 v20, null, s13, v20, vcc_lo
	global_load_dword v36, v[13:14], off
	v_lshlrev_b64 v[13:14], 2, v[6:7]
	v_add_nc_u32_e32 v6, -8, v4
	global_load_dword v37, v[19:20], off
	v_add_co_u32 v19, vcc_lo, s12, v21
	v_add_co_ci_u32_e64 v20, null, s13, v22, vcc_lo
	v_add_co_u32 v13, vcc_lo, s14, v13
	v_lshlrev_b64 v[21:22], 2, v[6:7]
	v_add_co_ci_u32_e64 v14, null, s15, v14, vcc_lo
	v_subrev_nc_u32_e32 v6, 22, v4
	global_load_dword v38, v[19:20], off
	global_load_dword v39, v[13:14], off
	v_add_co_u32 v13, vcc_lo, s12, v21
	v_add_co_ci_u32_e64 v14, null, s13, v22, vcc_lo
	global_load_dword v40, v[13:14], off
	v_lshlrev_b64 v[19:20], 2, v[6:7]
	v_add_nc_u32_e32 v6, 7, v8
	v_lshlrev_b64 v[21:22], 2, v[6:7]
	v_add_nc_u32_e32 v6, -7, v4
	v_add_co_u32 v19, vcc_lo, s12, v19
	v_add_co_ci_u32_e64 v20, null, s13, v20, vcc_lo
	v_lshlrev_b64 v[13:14], 2, v[6:7]
	v_subrev_nc_u32_e32 v6, 21, v4
	global_load_dword v41, v[19:20], off
	v_add_co_u32 v19, vcc_lo, s14, v21
	v_add_co_ci_u32_e64 v20, null, s15, v22, vcc_lo
	v_lshlrev_b64 v[21:22], 2, v[6:7]
	v_add_nc_u32_e32 v6, 8, v8
	v_add_co_u32 v13, vcc_lo, s12, v13
	v_add_co_ci_u32_e64 v14, null, s13, v14, vcc_lo
	global_load_dword v42, v[19:20], off
	v_lshlrev_b64 v[19:20], 2, v[6:7]
	v_add_nc_u32_e32 v6, -6, v4
	global_load_dword v43, v[13:14], off
	v_add_co_u32 v13, vcc_lo, s12, v21
	v_add_co_ci_u32_e64 v14, null, s13, v22, vcc_lo
	v_lshlrev_b64 v[21:22], 2, v[6:7]
	v_subrev_nc_u32_e32 v6, 20, v4
	v_add_co_u32 v19, vcc_lo, s14, v19
	v_add_co_ci_u32_e64 v20, null, s15, v20, vcc_lo
	global_load_dword v44, v[13:14], off
	v_lshlrev_b64 v[13:14], 2, v[6:7]
	v_add_nc_u32_e32 v6, 9, v8
	global_load_dword v45, v[19:20], off
	v_add_co_u32 v19, vcc_lo, s12, v21
	v_add_co_ci_u32_e64 v20, null, s13, v22, vcc_lo
	v_add_co_u32 v13, vcc_lo, s12, v13
	v_lshlrev_b64 v[21:22], 2, v[6:7]
	v_add_nc_u32_e32 v6, -5, v4
	v_add_co_ci_u32_e64 v14, null, s13, v14, vcc_lo
	s_clause 0x1
	global_load_dword v46, v[19:20], off
	global_load_dword v47, v[13:14], off
	v_lshlrev_b64 v[19:20], 2, v[6:7]
	v_subrev_nc_u32_e32 v6, 19, v4
	v_add_co_u32 v13, vcc_lo, s14, v21
	v_add_co_ci_u32_e64 v14, null, s15, v22, vcc_lo
	v_lshlrev_b64 v[21:22], 2, v[6:7]
	v_add_nc_u32_e32 v6, 10, v8
	v_add_co_u32 v19, vcc_lo, s12, v19
	v_add_co_ci_u32_e64 v20, null, s13, v20, vcc_lo
	global_load_dword v48, v[13:14], off
	v_lshlrev_b64 v[13:14], 2, v[6:7]
	v_add_nc_u32_e32 v6, -4, v4
	global_load_dword v49, v[19:20], off
	v_add_co_u32 v19, vcc_lo, s12, v21
	v_add_co_ci_u32_e64 v20, null, s13, v22, vcc_lo
	v_add_co_u32 v13, vcc_lo, s14, v13
	v_lshlrev_b64 v[21:22], 2, v[6:7]
	v_add_co_ci_u32_e64 v14, null, s15, v14, vcc_lo
	v_subrev_nc_u32_e32 v6, 18, v4
	global_load_dword v50, v[19:20], off
	global_load_dword v51, v[13:14], off
	v_add_co_u32 v13, vcc_lo, s12, v21
	v_add_co_ci_u32_e64 v14, null, s13, v22, vcc_lo
	global_load_dword v52, v[13:14], off
	v_lshlrev_b64 v[19:20], 2, v[6:7]
	v_add_nc_u32_e32 v6, 11, v8
	v_lshlrev_b64 v[21:22], 2, v[6:7]
	v_add_nc_u32_e32 v6, -3, v4
	v_add_co_u32 v19, vcc_lo, s12, v19
	v_add_co_ci_u32_e64 v20, null, s13, v20, vcc_lo
	v_lshlrev_b64 v[13:14], 2, v[6:7]
	v_subrev_nc_u32_e32 v6, 17, v4
	global_load_dword v53, v[19:20], off
	v_add_co_u32 v19, vcc_lo, s14, v21
	v_add_co_ci_u32_e64 v20, null, s15, v22, vcc_lo
	v_lshlrev_b64 v[21:22], 2, v[6:7]
	v_add_nc_u32_e32 v6, 12, v8
	v_add_co_u32 v13, vcc_lo, s12, v13
	v_add_co_ci_u32_e64 v14, null, s13, v14, vcc_lo
	global_load_dword v54, v[19:20], off
	v_lshlrev_b64 v[19:20], 2, v[6:7]
	v_add_nc_u32_e32 v6, -2, v4
	global_load_dword v55, v[13:14], off
	v_add_co_u32 v13, vcc_lo, s12, v21
	v_add_co_ci_u32_e64 v14, null, s13, v22, vcc_lo
	v_lshlrev_b64 v[21:22], 2, v[6:7]
	v_add_nc_u32_e32 v6, -16, v4
	v_add_co_u32 v19, vcc_lo, s14, v19
	v_add_co_ci_u32_e64 v20, null, s15, v20, vcc_lo
	global_load_dword v56, v[13:14], off
	v_lshlrev_b64 v[13:14], 2, v[6:7]
	v_add_nc_u32_e32 v6, 13, v8
	global_load_dword v57, v[19:20], off
	v_add_co_u32 v19, vcc_lo, s12, v21
	v_add_co_ci_u32_e64 v20, null, s13, v22, vcc_lo
	v_add_co_u32 v13, vcc_lo, s12, v13
	v_lshlrev_b64 v[21:22], 2, v[6:7]
	v_add_nc_u32_e32 v6, -1, v4
	v_add_co_ci_u32_e64 v14, null, s13, v14, vcc_lo
	s_clause 0x1
	global_load_dword v58, v[19:20], off
	global_load_dword v59, v[13:14], off
	v_lshlrev_b64 v[19:20], 2, v[6:7]
	v_add_nc_u32_e32 v6, -15, v4
	v_add_co_u32 v13, vcc_lo, s14, v21
	v_add_co_ci_u32_e64 v14, null, s15, v22, vcc_lo
	v_lshlrev_b64 v[21:22], 2, v[6:7]
	v_add_nc_u32_e32 v6, 14, v8
	v_add_co_u32 v8, vcc_lo, s12, v19
	v_add_co_ci_u32_e64 v9, null, s13, v20, vcc_lo
	v_lshlrev_b64 v[5:6], 2, v[6:7]
	global_load_dword v13, v[13:14], off
	v_add_nc_u32_e32 v4, 0x1e0, v4
	global_load_dword v14, v[8:9], off
	v_add_co_u32 v8, vcc_lo, s12, v21
	v_add_co_ci_u32_e64 v9, null, s13, v22, vcc_lo
	v_add_co_u32 v5, vcc_lo, s14, v5
	v_add_co_ci_u32_e64 v6, null, s15, v6, vcc_lo
	s_clause 0x1
	global_load_dword v17, v[17:18], off
	global_load_dword v8, v[8:9], off
	;; [unrolled: 1-line block ×3, first 2 shown]
	v_cmp_ge_i32_e32 vcc_lo, v2, v12
	s_or_b32 s0, vcc_lo, s0
	s_waitcnt vmcnt(41)
	v_fmac_f32_e32 v10, v15, v3
	v_fmac_f32_e32 v11, v23, v3
	s_waitcnt vmcnt(40)
	v_fmac_f32_e32 v10, v16, v24
	s_waitcnt vmcnt(39)
	;; [unrolled: 2-line block ×27, first 2 shown]
	v_fmac_f32_e32 v10, v8, v5
	v_fmac_f32_e32 v11, v17, v5
	s_andn2_b32 exec_lo, exec_lo, s0
	s_cbranch_execnz .LBB67_15
; %bb.16:
	s_or_b32 exec_lo, exec_lo, s0
.LBB67_17:
	s_or_b32 exec_lo, exec_lo, s1
.LBB67_18:
	v_mbcnt_lo_u32_b32 v2, -1, 0
	s_mov_b32 s3, -1
	v_xor_b32_e32 v3, 8, v2
	v_xor_b32_e32 v5, 4, v2
	v_xor_b32_e32 v7, 2, v2
	v_cmp_gt_i32_e32 vcc_lo, 32, v3
	v_cndmask_b32_e32 v3, v2, v3, vcc_lo
	v_cmp_gt_i32_e32 vcc_lo, 32, v5
	v_lshlrev_b32_e32 v3, 2, v3
	v_cndmask_b32_e32 v5, v2, v5, vcc_lo
	v_cmp_gt_i32_e32 vcc_lo, 32, v7
	ds_bpermute_b32 v4, v3, v10
	ds_bpermute_b32 v3, v3, v11
	v_lshlrev_b32_e32 v5, 2, v5
	v_cndmask_b32_e32 v7, v2, v7, vcc_lo
	v_lshlrev_b32_e32 v7, 2, v7
	s_waitcnt lgkmcnt(1)
	v_add_f32_e32 v4, v10, v4
	s_waitcnt lgkmcnt(0)
	v_add_f32_e32 v3, v11, v3
	ds_bpermute_b32 v6, v5, v4
	ds_bpermute_b32 v5, v5, v3
	s_waitcnt lgkmcnt(1)
	v_add_f32_e32 v4, v4, v6
	s_waitcnt lgkmcnt(0)
	v_add_f32_e32 v3, v3, v5
	ds_bpermute_b32 v5, v7, v4
	ds_bpermute_b32 v6, v7, v3
	v_xor_b32_e32 v7, 1, v2
	v_cmp_gt_i32_e32 vcc_lo, 32, v7
	v_cndmask_b32_e32 v2, v2, v7, vcc_lo
	v_cmp_eq_u32_e32 vcc_lo, 15, v0
	v_lshlrev_b32_e32 v7, 2, v2
	s_waitcnt lgkmcnt(1)
	v_add_f32_e32 v2, v4, v5
	s_waitcnt lgkmcnt(0)
	v_add_f32_e32 v3, v3, v6
	ds_bpermute_b32 v4, v7, v2
	ds_bpermute_b32 v5, v7, v3
	s_and_b32 exec_lo, exec_lo, vcc_lo
	s_cbranch_execz .LBB67_23
; %bb.19:
	s_load_dwordx2 s[0:1], s[4:5], 0x38
	s_waitcnt lgkmcnt(0)
	v_add_f32_e32 v0, v2, v4
	v_add_f32_e32 v3, v3, v5
	v_cmp_eq_f32_e64 s4, s2, 0
	v_mul_f32_e32 v2, s16, v0
	v_mul_f32_e32 v3, s16, v3
	v_lshlrev_b32_e32 v0, 1, v1
	s_and_b32 vcc_lo, exec_lo, s4
	s_cbranch_vccz .LBB67_21
; %bb.20:
	v_ashrrev_i32_e32 v1, 31, v0
	s_mov_b32 s3, 0
	v_lshlrev_b64 v[4:5], 2, v[0:1]
	v_add_co_u32 v4, vcc_lo, s0, v4
	v_add_co_ci_u32_e64 v5, null, s1, v5, vcc_lo
	global_store_dwordx2 v[4:5], v[2:3], off
.LBB67_21:
	s_andn2_b32 vcc_lo, exec_lo, s3
	s_cbranch_vccnz .LBB67_23
; %bb.22:
	v_ashrrev_i32_e32 v1, 31, v0
	v_lshlrev_b64 v[0:1], 2, v[0:1]
	v_add_co_u32 v0, vcc_lo, s0, v0
	v_add_co_ci_u32_e64 v1, null, s1, v1, vcc_lo
	global_load_dwordx2 v[4:5], v[0:1], off
	s_waitcnt vmcnt(0)
	v_fmac_f32_e32 v2, s2, v4
	v_fmac_f32_e32 v3, s2, v5
	global_store_dwordx2 v[0:1], v[2:3], off
.LBB67_23:
	s_endpgm
	.section	.rodata,"a",@progbits
	.p2align	6, 0x0
	.amdhsa_kernel _ZN9rocsparseL19gebsrmvn_2xn_kernelILj128ELj15ELj16EfEEvi20rocsparse_direction_NS_24const_host_device_scalarIT2_EEPKiS6_PKS3_S8_S4_PS3_21rocsparse_index_base_b
		.amdhsa_group_segment_fixed_size 0
		.amdhsa_private_segment_fixed_size 0
		.amdhsa_kernarg_size 72
		.amdhsa_user_sgpr_count 6
		.amdhsa_user_sgpr_private_segment_buffer 1
		.amdhsa_user_sgpr_dispatch_ptr 0
		.amdhsa_user_sgpr_queue_ptr 0
		.amdhsa_user_sgpr_kernarg_segment_ptr 1
		.amdhsa_user_sgpr_dispatch_id 0
		.amdhsa_user_sgpr_flat_scratch_init 0
		.amdhsa_user_sgpr_private_segment_size 0
		.amdhsa_wavefront_size32 1
		.amdhsa_uses_dynamic_stack 0
		.amdhsa_system_sgpr_private_segment_wavefront_offset 0
		.amdhsa_system_sgpr_workgroup_id_x 1
		.amdhsa_system_sgpr_workgroup_id_y 0
		.amdhsa_system_sgpr_workgroup_id_z 0
		.amdhsa_system_sgpr_workgroup_info 0
		.amdhsa_system_vgpr_workitem_id 0
		.amdhsa_next_free_vgpr 60
		.amdhsa_next_free_sgpr 20
		.amdhsa_reserve_vcc 1
		.amdhsa_reserve_flat_scratch 0
		.amdhsa_float_round_mode_32 0
		.amdhsa_float_round_mode_16_64 0
		.amdhsa_float_denorm_mode_32 3
		.amdhsa_float_denorm_mode_16_64 3
		.amdhsa_dx10_clamp 1
		.amdhsa_ieee_mode 1
		.amdhsa_fp16_overflow 0
		.amdhsa_workgroup_processor_mode 1
		.amdhsa_memory_ordered 1
		.amdhsa_forward_progress 1
		.amdhsa_shared_vgpr_count 0
		.amdhsa_exception_fp_ieee_invalid_op 0
		.amdhsa_exception_fp_denorm_src 0
		.amdhsa_exception_fp_ieee_div_zero 0
		.amdhsa_exception_fp_ieee_overflow 0
		.amdhsa_exception_fp_ieee_underflow 0
		.amdhsa_exception_fp_ieee_inexact 0
		.amdhsa_exception_int_div_zero 0
	.end_amdhsa_kernel
	.section	.text._ZN9rocsparseL19gebsrmvn_2xn_kernelILj128ELj15ELj16EfEEvi20rocsparse_direction_NS_24const_host_device_scalarIT2_EEPKiS6_PKS3_S8_S4_PS3_21rocsparse_index_base_b,"axG",@progbits,_ZN9rocsparseL19gebsrmvn_2xn_kernelILj128ELj15ELj16EfEEvi20rocsparse_direction_NS_24const_host_device_scalarIT2_EEPKiS6_PKS3_S8_S4_PS3_21rocsparse_index_base_b,comdat
.Lfunc_end67:
	.size	_ZN9rocsparseL19gebsrmvn_2xn_kernelILj128ELj15ELj16EfEEvi20rocsparse_direction_NS_24const_host_device_scalarIT2_EEPKiS6_PKS3_S8_S4_PS3_21rocsparse_index_base_b, .Lfunc_end67-_ZN9rocsparseL19gebsrmvn_2xn_kernelILj128ELj15ELj16EfEEvi20rocsparse_direction_NS_24const_host_device_scalarIT2_EEPKiS6_PKS3_S8_S4_PS3_21rocsparse_index_base_b
                                        ; -- End function
	.set _ZN9rocsparseL19gebsrmvn_2xn_kernelILj128ELj15ELj16EfEEvi20rocsparse_direction_NS_24const_host_device_scalarIT2_EEPKiS6_PKS3_S8_S4_PS3_21rocsparse_index_base_b.num_vgpr, 60
	.set _ZN9rocsparseL19gebsrmvn_2xn_kernelILj128ELj15ELj16EfEEvi20rocsparse_direction_NS_24const_host_device_scalarIT2_EEPKiS6_PKS3_S8_S4_PS3_21rocsparse_index_base_b.num_agpr, 0
	.set _ZN9rocsparseL19gebsrmvn_2xn_kernelILj128ELj15ELj16EfEEvi20rocsparse_direction_NS_24const_host_device_scalarIT2_EEPKiS6_PKS3_S8_S4_PS3_21rocsparse_index_base_b.numbered_sgpr, 20
	.set _ZN9rocsparseL19gebsrmvn_2xn_kernelILj128ELj15ELj16EfEEvi20rocsparse_direction_NS_24const_host_device_scalarIT2_EEPKiS6_PKS3_S8_S4_PS3_21rocsparse_index_base_b.num_named_barrier, 0
	.set _ZN9rocsparseL19gebsrmvn_2xn_kernelILj128ELj15ELj16EfEEvi20rocsparse_direction_NS_24const_host_device_scalarIT2_EEPKiS6_PKS3_S8_S4_PS3_21rocsparse_index_base_b.private_seg_size, 0
	.set _ZN9rocsparseL19gebsrmvn_2xn_kernelILj128ELj15ELj16EfEEvi20rocsparse_direction_NS_24const_host_device_scalarIT2_EEPKiS6_PKS3_S8_S4_PS3_21rocsparse_index_base_b.uses_vcc, 1
	.set _ZN9rocsparseL19gebsrmvn_2xn_kernelILj128ELj15ELj16EfEEvi20rocsparse_direction_NS_24const_host_device_scalarIT2_EEPKiS6_PKS3_S8_S4_PS3_21rocsparse_index_base_b.uses_flat_scratch, 0
	.set _ZN9rocsparseL19gebsrmvn_2xn_kernelILj128ELj15ELj16EfEEvi20rocsparse_direction_NS_24const_host_device_scalarIT2_EEPKiS6_PKS3_S8_S4_PS3_21rocsparse_index_base_b.has_dyn_sized_stack, 0
	.set _ZN9rocsparseL19gebsrmvn_2xn_kernelILj128ELj15ELj16EfEEvi20rocsparse_direction_NS_24const_host_device_scalarIT2_EEPKiS6_PKS3_S8_S4_PS3_21rocsparse_index_base_b.has_recursion, 0
	.set _ZN9rocsparseL19gebsrmvn_2xn_kernelILj128ELj15ELj16EfEEvi20rocsparse_direction_NS_24const_host_device_scalarIT2_EEPKiS6_PKS3_S8_S4_PS3_21rocsparse_index_base_b.has_indirect_call, 0
	.section	.AMDGPU.csdata,"",@progbits
; Kernel info:
; codeLenInByte = 3984
; TotalNumSgprs: 22
; NumVgprs: 60
; ScratchSize: 0
; MemoryBound: 0
; FloatMode: 240
; IeeeMode: 1
; LDSByteSize: 0 bytes/workgroup (compile time only)
; SGPRBlocks: 0
; VGPRBlocks: 7
; NumSGPRsForWavesPerEU: 22
; NumVGPRsForWavesPerEU: 60
; Occupancy: 16
; WaveLimiterHint : 1
; COMPUTE_PGM_RSRC2:SCRATCH_EN: 0
; COMPUTE_PGM_RSRC2:USER_SGPR: 6
; COMPUTE_PGM_RSRC2:TRAP_HANDLER: 0
; COMPUTE_PGM_RSRC2:TGID_X_EN: 1
; COMPUTE_PGM_RSRC2:TGID_Y_EN: 0
; COMPUTE_PGM_RSRC2:TGID_Z_EN: 0
; COMPUTE_PGM_RSRC2:TIDIG_COMP_CNT: 0
	.section	.text._ZN9rocsparseL19gebsrmvn_2xn_kernelILj128ELj15ELj32EfEEvi20rocsparse_direction_NS_24const_host_device_scalarIT2_EEPKiS6_PKS3_S8_S4_PS3_21rocsparse_index_base_b,"axG",@progbits,_ZN9rocsparseL19gebsrmvn_2xn_kernelILj128ELj15ELj32EfEEvi20rocsparse_direction_NS_24const_host_device_scalarIT2_EEPKiS6_PKS3_S8_S4_PS3_21rocsparse_index_base_b,comdat
	.globl	_ZN9rocsparseL19gebsrmvn_2xn_kernelILj128ELj15ELj32EfEEvi20rocsparse_direction_NS_24const_host_device_scalarIT2_EEPKiS6_PKS3_S8_S4_PS3_21rocsparse_index_base_b ; -- Begin function _ZN9rocsparseL19gebsrmvn_2xn_kernelILj128ELj15ELj32EfEEvi20rocsparse_direction_NS_24const_host_device_scalarIT2_EEPKiS6_PKS3_S8_S4_PS3_21rocsparse_index_base_b
	.p2align	8
	.type	_ZN9rocsparseL19gebsrmvn_2xn_kernelILj128ELj15ELj32EfEEvi20rocsparse_direction_NS_24const_host_device_scalarIT2_EEPKiS6_PKS3_S8_S4_PS3_21rocsparse_index_base_b,@function
_ZN9rocsparseL19gebsrmvn_2xn_kernelILj128ELj15ELj32EfEEvi20rocsparse_direction_NS_24const_host_device_scalarIT2_EEPKiS6_PKS3_S8_S4_PS3_21rocsparse_index_base_b: ; @_ZN9rocsparseL19gebsrmvn_2xn_kernelILj128ELj15ELj32EfEEvi20rocsparse_direction_NS_24const_host_device_scalarIT2_EEPKiS6_PKS3_S8_S4_PS3_21rocsparse_index_base_b
; %bb.0:
	s_clause 0x2
	s_load_dwordx2 s[18:19], s[4:5], 0x40
	s_load_dwordx2 s[16:17], s[4:5], 0x8
	;; [unrolled: 1-line block ×3, first 2 shown]
	s_waitcnt lgkmcnt(0)
	s_bitcmp1_b32 s19, 0
	s_cselect_b32 s0, -1, 0
	s_and_b32 vcc_lo, exec_lo, s0
	s_xor_b32 s0, s0, -1
	s_cbranch_vccnz .LBB68_2
; %bb.1:
	s_load_dword s16, s[16:17], 0x0
.LBB68_2:
	s_andn2_b32 vcc_lo, exec_lo, s0
	s_cbranch_vccnz .LBB68_4
; %bb.3:
	s_load_dword s2, s[2:3], 0x0
.LBB68_4:
	s_waitcnt lgkmcnt(0)
	v_cmp_eq_f32_e64 s0, s16, 0
	v_cmp_eq_f32_e64 s1, s2, 1.0
	s_and_b32 s0, s0, s1
	s_and_b32 vcc_lo, exec_lo, s0
	s_cbranch_vccnz .LBB68_23
; %bb.5:
	s_load_dwordx2 s[0:1], s[4:5], 0x0
	v_lshrrev_b32_e32 v1, 5, v0
	v_lshl_or_b32 v1, s6, 2, v1
	s_waitcnt lgkmcnt(0)
	v_cmp_gt_i32_e32 vcc_lo, s0, v1
	s_and_saveexec_b32 s0, vcc_lo
	s_cbranch_execz .LBB68_23
; %bb.6:
	s_load_dwordx8 s[8:15], s[4:5], 0x10
	v_ashrrev_i32_e32 v2, 31, v1
	v_and_b32_e32 v0, 31, v0
	s_cmp_lg_u32 s1, 0
	v_lshlrev_b64 v[2:3], 2, v[1:2]
	s_waitcnt lgkmcnt(0)
	v_add_co_u32 v2, vcc_lo, s8, v2
	v_add_co_ci_u32_e64 v3, null, s9, v3, vcc_lo
	global_load_dwordx2 v[2:3], v[2:3], off
	s_waitcnt vmcnt(0)
	v_subrev_nc_u32_e32 v2, s18, v2
	v_subrev_nc_u32_e32 v12, s18, v3
	v_add_nc_u32_e32 v2, v2, v0
	v_cmp_lt_i32_e64 s0, v2, v12
	s_cbranch_scc0 .LBB68_12
; %bb.7:
	v_mov_b32_e32 v10, 0
	v_mov_b32_e32 v11, 0
	s_and_saveexec_b32 s1, s0
	s_cbranch_execz .LBB68_11
; %bb.8:
	v_mad_u64_u32 v[3:4], null, v2, 30, 28
	v_mov_b32_e32 v6, 0
	v_mov_b32_e32 v7, v2
	;; [unrolled: 1-line block ×4, first 2 shown]
	s_mov_b32 s3, 0
.LBB68_9:                               ; =>This Inner Loop Header: Depth=1
	v_ashrrev_i32_e32 v8, 31, v7
	v_mov_b32_e32 v9, v6
	v_lshlrev_b64 v[4:5], 2, v[7:8]
	v_add_nc_u32_e32 v7, 32, v7
	v_add_co_u32 v4, vcc_lo, s10, v4
	v_add_co_ci_u32_e64 v5, null, s11, v5, vcc_lo
	global_load_dword v8, v[4:5], off
	v_subrev_nc_u32_e32 v5, 28, v3
	v_mov_b32_e32 v4, v6
	v_lshlrev_b64 v[13:14], 2, v[5:6]
	v_subrev_nc_u32_e32 v5, 26, v3
	v_lshlrev_b64 v[15:16], 2, v[3:4]
	v_lshlrev_b64 v[4:5], 2, v[5:6]
	v_add_co_u32 v13, vcc_lo, s12, v13
	v_add_co_ci_u32_e64 v14, null, s13, v14, vcc_lo
	v_add_co_u32 v15, vcc_lo, s12, v15
	v_add_co_ci_u32_e64 v16, null, s13, v16, vcc_lo
	;; [unrolled: 2-line block ×3, first 2 shown]
	s_clause 0x1
	global_load_dwordx2 v[13:14], v[13:14], off
	global_load_dwordx2 v[17:18], v[4:5], off
	s_waitcnt vmcnt(2)
	v_subrev_nc_u32_e32 v4, s18, v8
	v_mul_lo_u32 v8, v4, 15
	v_add_nc_u32_e32 v5, 1, v8
	v_lshlrev_b64 v[19:20], 2, v[8:9]
	v_lshlrev_b64 v[21:22], 2, v[5:6]
	v_subrev_nc_u32_e32 v5, 24, v3
	v_add_co_u32 v19, vcc_lo, s14, v19
	v_add_co_ci_u32_e64 v20, null, s15, v20, vcc_lo
	v_add_co_u32 v21, vcc_lo, s14, v21
	v_lshlrev_b64 v[23:24], 2, v[5:6]
	v_add_nc_u32_e32 v5, 2, v8
	v_add_co_ci_u32_e64 v22, null, s15, v22, vcc_lo
	s_clause 0x1
	global_load_dword v47, v[19:20], off
	global_load_dword v48, v[21:22], off
	v_lshlrev_b64 v[19:20], 2, v[5:6]
	v_subrev_nc_u32_e32 v5, 22, v3
	v_add_co_u32 v21, vcc_lo, s12, v23
	v_add_co_ci_u32_e64 v22, null, s13, v24, vcc_lo
	v_lshlrev_b64 v[23:24], 2, v[5:6]
	v_add_nc_u32_e32 v5, 3, v8
	v_add_co_u32 v19, vcc_lo, s14, v19
	v_add_co_ci_u32_e64 v20, null, s15, v20, vcc_lo
	v_lshlrev_b64 v[25:26], 2, v[5:6]
	v_subrev_nc_u32_e32 v5, 20, v3
	global_load_dwordx2 v[21:22], v[21:22], off
	global_load_dword v49, v[19:20], off
	v_add_co_u32 v19, vcc_lo, s12, v23
	v_add_co_ci_u32_e64 v20, null, s13, v24, vcc_lo
	v_lshlrev_b64 v[23:24], 2, v[5:6]
	v_add_nc_u32_e32 v5, 4, v8
	v_add_co_u32 v25, vcc_lo, s14, v25
	v_add_co_ci_u32_e64 v26, null, s15, v26, vcc_lo
	v_lshlrev_b64 v[27:28], 2, v[5:6]
	v_add_co_u32 v23, vcc_lo, s12, v23
	v_add_co_ci_u32_e64 v24, null, s13, v24, vcc_lo
	v_subrev_nc_u32_e32 v5, 18, v3
	v_add_co_u32 v27, vcc_lo, s14, v27
	v_add_co_ci_u32_e64 v28, null, s15, v28, vcc_lo
	global_load_dword v50, v[25:26], off
	s_clause 0x1
	global_load_dwordx2 v[23:24], v[23:24], off
	global_load_dwordx2 v[19:20], v[19:20], off
	global_load_dword v51, v[27:28], off
	v_lshlrev_b64 v[25:26], 2, v[5:6]
	v_add_nc_u32_e32 v5, 5, v8
	v_lshlrev_b64 v[29:30], 2, v[5:6]
	v_add_nc_u32_e32 v5, -16, v3
	v_add_co_u32 v25, vcc_lo, s12, v25
	v_add_co_ci_u32_e64 v26, null, s13, v26, vcc_lo
	v_lshlrev_b64 v[27:28], 2, v[5:6]
	v_add_nc_u32_e32 v5, 6, v8
	v_add_co_u32 v29, vcc_lo, s14, v29
	v_add_co_ci_u32_e64 v30, null, s15, v30, vcc_lo
	v_lshlrev_b64 v[31:32], 2, v[5:6]
	v_add_co_u32 v27, vcc_lo, s12, v27
	v_add_co_ci_u32_e64 v28, null, s13, v28, vcc_lo
	v_add_nc_u32_e32 v5, -14, v3
	v_add_co_u32 v31, vcc_lo, s14, v31
	v_add_co_ci_u32_e64 v32, null, s15, v32, vcc_lo
	global_load_dword v52, v[29:30], off
	s_clause 0x1
	global_load_dwordx2 v[25:26], v[25:26], off
	global_load_dwordx2 v[27:28], v[27:28], off
	global_load_dword v53, v[31:32], off
	v_lshlrev_b64 v[29:30], 2, v[5:6]
	v_add_nc_u32_e32 v5, 7, v8
	v_lshlrev_b64 v[33:34], 2, v[5:6]
	v_add_nc_u32_e32 v5, -12, v3
	v_add_co_u32 v29, vcc_lo, s12, v29
	v_add_co_ci_u32_e64 v30, null, s13, v30, vcc_lo
	v_lshlrev_b64 v[31:32], 2, v[5:6]
	v_add_nc_u32_e32 v5, 8, v8
	v_add_co_u32 v33, vcc_lo, s14, v33
	v_add_co_ci_u32_e64 v34, null, s15, v34, vcc_lo
	v_lshlrev_b64 v[35:36], 2, v[5:6]
	v_add_co_u32 v31, vcc_lo, s12, v31
	v_add_co_ci_u32_e64 v32, null, s13, v32, vcc_lo
	v_add_nc_u32_e32 v5, -10, v3
	;; [unrolled: 21-line block ×4, first 2 shown]
	v_add_co_u32 v43, vcc_lo, s14, v43
	v_add_co_ci_u32_e64 v44, null, s15, v44, vcc_lo
	global_load_dword v58, v[41:42], off
	s_clause 0x1
	global_load_dwordx2 v[37:38], v[37:38], off
	global_load_dwordx2 v[39:40], v[39:40], off
	global_load_dword v43, v[43:44], off
	v_lshlrev_b64 v[41:42], 2, v[5:6]
	v_add_nc_u32_e32 v5, 13, v8
	v_add_nc_u32_e32 v3, 0x3c0, v3
	v_lshlrev_b64 v[45:46], 2, v[5:6]
	v_add_nc_u32_e32 v5, 14, v8
	v_add_co_u32 v8, vcc_lo, s12, v41
	v_add_co_ci_u32_e64 v9, null, s13, v42, vcc_lo
	v_lshlrev_b64 v[4:5], 2, v[5:6]
	v_add_co_u32 v41, vcc_lo, s14, v45
	v_add_co_ci_u32_e64 v42, null, s15, v46, vcc_lo
	global_load_dwordx2 v[8:9], v[8:9], off
	global_load_dword v41, v[41:42], off
	v_add_co_u32 v4, vcc_lo, s14, v4
	v_add_co_ci_u32_e64 v5, null, s15, v5, vcc_lo
	global_load_dwordx2 v[15:16], v[15:16], off
	global_load_dword v4, v[4:5], off
	v_cmp_ge_i32_e32 vcc_lo, v7, v12
	s_or_b32 s3, vcc_lo, s3
	s_waitcnt vmcnt(27)
	v_fmac_f32_e32 v10, v13, v47
	v_fmac_f32_e32 v11, v14, v47
	s_waitcnt vmcnt(26)
	v_fmac_f32_e32 v10, v17, v48
	v_fmac_f32_e32 v11, v18, v48
	s_waitcnt vmcnt(24)
	v_fmac_f32_e32 v10, v21, v49
	v_fmac_f32_e32 v11, v22, v49
	s_waitcnt vmcnt(21)
	v_fmac_f32_e32 v10, v19, v50
	v_fmac_f32_e32 v11, v20, v50
	s_waitcnt vmcnt(20)
	v_fmac_f32_e32 v10, v23, v51
	v_fmac_f32_e32 v11, v24, v51
	s_waitcnt vmcnt(18)
	v_fmac_f32_e32 v10, v25, v52
	v_fmac_f32_e32 v11, v26, v52
	s_waitcnt vmcnt(16)
	v_fmac_f32_e32 v10, v27, v53
	v_fmac_f32_e32 v11, v28, v53
	s_waitcnt vmcnt(14)
	v_fmac_f32_e32 v10, v29, v54
	v_fmac_f32_e32 v11, v30, v54
	s_waitcnt vmcnt(12)
	v_fmac_f32_e32 v10, v31, v55
	v_fmac_f32_e32 v11, v32, v55
	s_waitcnt vmcnt(10)
	v_fmac_f32_e32 v10, v33, v56
	v_fmac_f32_e32 v11, v34, v56
	s_waitcnt vmcnt(8)
	v_fmac_f32_e32 v10, v35, v57
	v_fmac_f32_e32 v11, v36, v57
	s_waitcnt vmcnt(6)
	v_fmac_f32_e32 v10, v37, v58
	v_fmac_f32_e32 v11, v38, v58
	s_waitcnt vmcnt(4)
	v_fmac_f32_e32 v10, v39, v43
	v_fmac_f32_e32 v11, v40, v43
	s_waitcnt vmcnt(2)
	v_fmac_f32_e32 v10, v8, v41
	v_fmac_f32_e32 v11, v9, v41
	s_waitcnt vmcnt(0)
	v_fmac_f32_e32 v10, v15, v4
	v_fmac_f32_e32 v11, v16, v4
	s_andn2_b32 exec_lo, exec_lo, s3
	s_cbranch_execnz .LBB68_9
; %bb.10:
	s_or_b32 exec_lo, exec_lo, s3
.LBB68_11:
	s_or_b32 exec_lo, exec_lo, s1
	s_cbranch_execz .LBB68_13
	s_branch .LBB68_18
.LBB68_12:
                                        ; implicit-def: $vgpr10
                                        ; implicit-def: $vgpr11
.LBB68_13:
	v_mov_b32_e32 v10, 0
	v_mov_b32_e32 v11, 0
	s_and_saveexec_b32 s1, s0
	s_cbranch_execz .LBB68_17
; %bb.14:
	v_mad_u64_u32 v[4:5], null, v2, 30, 29
	v_mov_b32_e32 v7, 0
	v_mov_b32_e32 v10, 0
	;; [unrolled: 1-line block ×3, first 2 shown]
	s_mov_b32 s0, 0
.LBB68_15:                              ; =>This Inner Loop Header: Depth=1
	v_ashrrev_i32_e32 v3, 31, v2
	v_add_nc_u32_e32 v13, -14, v4
	v_mov_b32_e32 v14, v7
	v_mov_b32_e32 v9, v7
	v_lshlrev_b64 v[5:6], 2, v[2:3]
	v_add_nc_u32_e32 v2, 32, v2
	v_lshlrev_b64 v[13:14], 2, v[13:14]
	v_add_co_u32 v5, vcc_lo, s10, v5
	v_add_co_ci_u32_e64 v6, null, s11, v6, vcc_lo
	global_load_dword v3, v[5:6], off
	v_subrev_nc_u32_e32 v6, 29, v4
	v_mov_b32_e32 v5, v7
	v_lshlrev_b64 v[15:16], 2, v[6:7]
	v_lshlrev_b64 v[5:6], 2, v[4:5]
	v_add_co_u32 v15, vcc_lo, s12, v15
	v_add_co_ci_u32_e64 v16, null, s13, v16, vcc_lo
	v_add_co_u32 v13, vcc_lo, s12, v13
	v_add_co_ci_u32_e64 v14, null, s13, v14, vcc_lo
	;; [unrolled: 2-line block ×3, first 2 shown]
	s_clause 0x1
	global_load_dwordx2 v[15:16], v[15:16], off
	global_load_dword v23, v[13:14], off
	s_waitcnt vmcnt(2)
	v_subrev_nc_u32_e32 v3, s18, v3
	v_mul_lo_u32 v8, v3, 15
	v_add_nc_u32_e32 v6, 1, v8
	v_lshlrev_b64 v[13:14], 2, v[8:9]
	v_lshlrev_b64 v[19:20], 2, v[6:7]
	v_add_nc_u32_e32 v6, -13, v4
	v_add_co_u32 v13, vcc_lo, s14, v13
	v_add_co_ci_u32_e64 v14, null, s15, v14, vcc_lo
	v_lshlrev_b64 v[21:22], 2, v[6:7]
	v_subrev_nc_u32_e32 v6, 27, v4
	global_load_dword v3, v[13:14], off
	v_add_co_u32 v13, vcc_lo, s14, v19
	v_add_co_ci_u32_e64 v14, null, s15, v20, vcc_lo
	v_lshlrev_b64 v[19:20], 2, v[6:7]
	v_add_nc_u32_e32 v6, 2, v8
	v_add_co_u32 v21, vcc_lo, s12, v21
	v_add_co_ci_u32_e64 v22, null, s13, v22, vcc_lo
	global_load_dword v24, v[13:14], off
	v_lshlrev_b64 v[13:14], 2, v[6:7]
	v_add_co_u32 v19, vcc_lo, s12, v19
	v_add_nc_u32_e32 v6, -12, v4
	v_add_co_ci_u32_e64 v20, null, s13, v20, vcc_lo
	v_add_co_u32 v13, vcc_lo, s14, v13
	s_clause 0x1
	global_load_dword v25, v[21:22], off
	global_load_dword v26, v[19:20], off
	v_lshlrev_b64 v[21:22], 2, v[6:7]
	v_add_co_ci_u32_e64 v14, null, s15, v14, vcc_lo
	v_subrev_nc_u32_e32 v6, 26, v4
	global_load_dword v27, v[13:14], off
	v_add_co_u32 v13, vcc_lo, s12, v21
	v_add_co_ci_u32_e64 v14, null, s13, v22, vcc_lo
	global_load_dword v28, v[13:14], off
	v_lshlrev_b64 v[19:20], 2, v[6:7]
	v_add_nc_u32_e32 v6, 3, v8
	v_lshlrev_b64 v[21:22], 2, v[6:7]
	v_add_nc_u32_e32 v6, -11, v4
	v_add_co_u32 v19, vcc_lo, s12, v19
	v_add_co_ci_u32_e64 v20, null, s13, v20, vcc_lo
	v_lshlrev_b64 v[13:14], 2, v[6:7]
	v_subrev_nc_u32_e32 v6, 25, v4
	global_load_dword v29, v[19:20], off
	v_add_co_u32 v19, vcc_lo, s14, v21
	v_add_co_ci_u32_e64 v20, null, s15, v22, vcc_lo
	v_lshlrev_b64 v[21:22], 2, v[6:7]
	v_add_nc_u32_e32 v6, 4, v8
	v_add_co_u32 v13, vcc_lo, s12, v13
	v_add_co_ci_u32_e64 v14, null, s13, v14, vcc_lo
	global_load_dword v30, v[19:20], off
	v_lshlrev_b64 v[19:20], 2, v[6:7]
	v_add_nc_u32_e32 v6, -10, v4
	global_load_dword v31, v[13:14], off
	v_add_co_u32 v13, vcc_lo, s12, v21
	v_add_co_ci_u32_e64 v14, null, s13, v22, vcc_lo
	v_lshlrev_b64 v[21:22], 2, v[6:7]
	v_subrev_nc_u32_e32 v6, 24, v4
	v_add_co_u32 v19, vcc_lo, s14, v19
	v_add_co_ci_u32_e64 v20, null, s15, v20, vcc_lo
	global_load_dword v32, v[13:14], off
	v_lshlrev_b64 v[13:14], 2, v[6:7]
	v_add_nc_u32_e32 v6, 5, v8
	global_load_dword v33, v[19:20], off
	v_add_co_u32 v19, vcc_lo, s12, v21
	v_add_co_ci_u32_e64 v20, null, s13, v22, vcc_lo
	v_add_co_u32 v13, vcc_lo, s12, v13
	v_lshlrev_b64 v[21:22], 2, v[6:7]
	v_add_nc_u32_e32 v6, -9, v4
	v_add_co_ci_u32_e64 v14, null, s13, v14, vcc_lo
	s_clause 0x1
	global_load_dword v34, v[19:20], off
	global_load_dword v35, v[13:14], off
	v_lshlrev_b64 v[19:20], 2, v[6:7]
	v_subrev_nc_u32_e32 v6, 23, v4
	v_add_co_u32 v13, vcc_lo, s14, v21
	v_add_co_ci_u32_e64 v14, null, s15, v22, vcc_lo
	v_lshlrev_b64 v[21:22], 2, v[6:7]
	v_add_nc_u32_e32 v6, 6, v8
	v_add_co_u32 v19, vcc_lo, s12, v19
	v_add_co_ci_u32_e64 v20, null, s13, v20, vcc_lo
	global_load_dword v36, v[13:14], off
	v_lshlrev_b64 v[13:14], 2, v[6:7]
	v_add_nc_u32_e32 v6, -8, v4
	global_load_dword v37, v[19:20], off
	v_add_co_u32 v19, vcc_lo, s12, v21
	v_add_co_ci_u32_e64 v20, null, s13, v22, vcc_lo
	v_add_co_u32 v13, vcc_lo, s14, v13
	v_lshlrev_b64 v[21:22], 2, v[6:7]
	v_add_co_ci_u32_e64 v14, null, s15, v14, vcc_lo
	v_subrev_nc_u32_e32 v6, 22, v4
	global_load_dword v38, v[19:20], off
	global_load_dword v39, v[13:14], off
	v_add_co_u32 v13, vcc_lo, s12, v21
	v_add_co_ci_u32_e64 v14, null, s13, v22, vcc_lo
	global_load_dword v40, v[13:14], off
	v_lshlrev_b64 v[19:20], 2, v[6:7]
	v_add_nc_u32_e32 v6, 7, v8
	v_lshlrev_b64 v[21:22], 2, v[6:7]
	v_add_nc_u32_e32 v6, -7, v4
	v_add_co_u32 v19, vcc_lo, s12, v19
	v_add_co_ci_u32_e64 v20, null, s13, v20, vcc_lo
	v_lshlrev_b64 v[13:14], 2, v[6:7]
	v_subrev_nc_u32_e32 v6, 21, v4
	global_load_dword v41, v[19:20], off
	v_add_co_u32 v19, vcc_lo, s14, v21
	v_add_co_ci_u32_e64 v20, null, s15, v22, vcc_lo
	v_lshlrev_b64 v[21:22], 2, v[6:7]
	v_add_nc_u32_e32 v6, 8, v8
	v_add_co_u32 v13, vcc_lo, s12, v13
	v_add_co_ci_u32_e64 v14, null, s13, v14, vcc_lo
	global_load_dword v42, v[19:20], off
	v_lshlrev_b64 v[19:20], 2, v[6:7]
	v_add_nc_u32_e32 v6, -6, v4
	global_load_dword v43, v[13:14], off
	v_add_co_u32 v13, vcc_lo, s12, v21
	v_add_co_ci_u32_e64 v14, null, s13, v22, vcc_lo
	v_lshlrev_b64 v[21:22], 2, v[6:7]
	v_subrev_nc_u32_e32 v6, 20, v4
	v_add_co_u32 v19, vcc_lo, s14, v19
	v_add_co_ci_u32_e64 v20, null, s15, v20, vcc_lo
	global_load_dword v44, v[13:14], off
	v_lshlrev_b64 v[13:14], 2, v[6:7]
	v_add_nc_u32_e32 v6, 9, v8
	global_load_dword v45, v[19:20], off
	v_add_co_u32 v19, vcc_lo, s12, v21
	v_add_co_ci_u32_e64 v20, null, s13, v22, vcc_lo
	v_add_co_u32 v13, vcc_lo, s12, v13
	v_lshlrev_b64 v[21:22], 2, v[6:7]
	v_add_nc_u32_e32 v6, -5, v4
	v_add_co_ci_u32_e64 v14, null, s13, v14, vcc_lo
	s_clause 0x1
	global_load_dword v46, v[19:20], off
	global_load_dword v47, v[13:14], off
	v_lshlrev_b64 v[19:20], 2, v[6:7]
	v_subrev_nc_u32_e32 v6, 19, v4
	v_add_co_u32 v13, vcc_lo, s14, v21
	v_add_co_ci_u32_e64 v14, null, s15, v22, vcc_lo
	v_lshlrev_b64 v[21:22], 2, v[6:7]
	v_add_nc_u32_e32 v6, 10, v8
	v_add_co_u32 v19, vcc_lo, s12, v19
	v_add_co_ci_u32_e64 v20, null, s13, v20, vcc_lo
	global_load_dword v48, v[13:14], off
	v_lshlrev_b64 v[13:14], 2, v[6:7]
	v_add_nc_u32_e32 v6, -4, v4
	global_load_dword v49, v[19:20], off
	v_add_co_u32 v19, vcc_lo, s12, v21
	v_add_co_ci_u32_e64 v20, null, s13, v22, vcc_lo
	v_add_co_u32 v13, vcc_lo, s14, v13
	v_lshlrev_b64 v[21:22], 2, v[6:7]
	v_add_co_ci_u32_e64 v14, null, s15, v14, vcc_lo
	v_subrev_nc_u32_e32 v6, 18, v4
	global_load_dword v50, v[19:20], off
	global_load_dword v51, v[13:14], off
	v_add_co_u32 v13, vcc_lo, s12, v21
	v_add_co_ci_u32_e64 v14, null, s13, v22, vcc_lo
	global_load_dword v52, v[13:14], off
	v_lshlrev_b64 v[19:20], 2, v[6:7]
	v_add_nc_u32_e32 v6, 11, v8
	v_lshlrev_b64 v[21:22], 2, v[6:7]
	v_add_nc_u32_e32 v6, -3, v4
	v_add_co_u32 v19, vcc_lo, s12, v19
	v_add_co_ci_u32_e64 v20, null, s13, v20, vcc_lo
	v_lshlrev_b64 v[13:14], 2, v[6:7]
	v_subrev_nc_u32_e32 v6, 17, v4
	global_load_dword v53, v[19:20], off
	v_add_co_u32 v19, vcc_lo, s14, v21
	v_add_co_ci_u32_e64 v20, null, s15, v22, vcc_lo
	v_lshlrev_b64 v[21:22], 2, v[6:7]
	v_add_nc_u32_e32 v6, 12, v8
	v_add_co_u32 v13, vcc_lo, s12, v13
	v_add_co_ci_u32_e64 v14, null, s13, v14, vcc_lo
	global_load_dword v54, v[19:20], off
	v_lshlrev_b64 v[19:20], 2, v[6:7]
	v_add_nc_u32_e32 v6, -2, v4
	global_load_dword v55, v[13:14], off
	v_add_co_u32 v13, vcc_lo, s12, v21
	v_add_co_ci_u32_e64 v14, null, s13, v22, vcc_lo
	v_lshlrev_b64 v[21:22], 2, v[6:7]
	v_add_nc_u32_e32 v6, -16, v4
	v_add_co_u32 v19, vcc_lo, s14, v19
	v_add_co_ci_u32_e64 v20, null, s15, v20, vcc_lo
	global_load_dword v56, v[13:14], off
	v_lshlrev_b64 v[13:14], 2, v[6:7]
	v_add_nc_u32_e32 v6, 13, v8
	global_load_dword v57, v[19:20], off
	v_add_co_u32 v19, vcc_lo, s12, v21
	v_add_co_ci_u32_e64 v20, null, s13, v22, vcc_lo
	v_add_co_u32 v13, vcc_lo, s12, v13
	v_lshlrev_b64 v[21:22], 2, v[6:7]
	v_add_nc_u32_e32 v6, -1, v4
	v_add_co_ci_u32_e64 v14, null, s13, v14, vcc_lo
	s_clause 0x1
	global_load_dword v58, v[19:20], off
	global_load_dword v59, v[13:14], off
	v_lshlrev_b64 v[19:20], 2, v[6:7]
	v_add_nc_u32_e32 v6, -15, v4
	v_add_co_u32 v13, vcc_lo, s14, v21
	v_add_co_ci_u32_e64 v14, null, s15, v22, vcc_lo
	v_lshlrev_b64 v[21:22], 2, v[6:7]
	v_add_nc_u32_e32 v6, 14, v8
	v_add_co_u32 v8, vcc_lo, s12, v19
	v_add_co_ci_u32_e64 v9, null, s13, v20, vcc_lo
	v_lshlrev_b64 v[5:6], 2, v[6:7]
	global_load_dword v13, v[13:14], off
	v_add_nc_u32_e32 v4, 0x3c0, v4
	global_load_dword v14, v[8:9], off
	v_add_co_u32 v8, vcc_lo, s12, v21
	v_add_co_ci_u32_e64 v9, null, s13, v22, vcc_lo
	v_add_co_u32 v5, vcc_lo, s14, v5
	v_add_co_ci_u32_e64 v6, null, s15, v6, vcc_lo
	s_clause 0x1
	global_load_dword v17, v[17:18], off
	global_load_dword v8, v[8:9], off
	;; [unrolled: 1-line block ×3, first 2 shown]
	v_cmp_ge_i32_e32 vcc_lo, v2, v12
	s_or_b32 s0, vcc_lo, s0
	s_waitcnt vmcnt(41)
	v_fmac_f32_e32 v10, v15, v3
	v_fmac_f32_e32 v11, v23, v3
	s_waitcnt vmcnt(40)
	v_fmac_f32_e32 v10, v16, v24
	s_waitcnt vmcnt(39)
	;; [unrolled: 2-line block ×27, first 2 shown]
	v_fmac_f32_e32 v10, v8, v5
	v_fmac_f32_e32 v11, v17, v5
	s_andn2_b32 exec_lo, exec_lo, s0
	s_cbranch_execnz .LBB68_15
; %bb.16:
	s_or_b32 exec_lo, exec_lo, s0
.LBB68_17:
	s_or_b32 exec_lo, exec_lo, s1
.LBB68_18:
	v_mbcnt_lo_u32_b32 v2, -1, 0
	s_mov_b32 s3, -1
	v_xor_b32_e32 v3, 16, v2
	v_xor_b32_e32 v5, 8, v2
	;; [unrolled: 1-line block ×3, first 2 shown]
	v_cmp_gt_i32_e32 vcc_lo, 32, v3
	v_cndmask_b32_e32 v3, v2, v3, vcc_lo
	v_cmp_gt_i32_e32 vcc_lo, 32, v5
	v_lshlrev_b32_e32 v3, 2, v3
	v_cndmask_b32_e32 v5, v2, v5, vcc_lo
	v_cmp_gt_i32_e32 vcc_lo, 32, v7
	ds_bpermute_b32 v4, v3, v10
	ds_bpermute_b32 v3, v3, v11
	v_lshlrev_b32_e32 v5, 2, v5
	v_cndmask_b32_e32 v7, v2, v7, vcc_lo
	v_lshlrev_b32_e32 v7, 2, v7
	s_waitcnt lgkmcnt(1)
	v_add_f32_e32 v4, v10, v4
	s_waitcnt lgkmcnt(0)
	v_add_f32_e32 v3, v11, v3
	ds_bpermute_b32 v6, v5, v4
	ds_bpermute_b32 v5, v5, v3
	s_waitcnt lgkmcnt(1)
	v_add_f32_e32 v4, v4, v6
	s_waitcnt lgkmcnt(0)
	v_add_f32_e32 v3, v3, v5
	ds_bpermute_b32 v5, v7, v4
	ds_bpermute_b32 v6, v7, v3
	v_xor_b32_e32 v7, 2, v2
	v_cmp_gt_i32_e32 vcc_lo, 32, v7
	v_cndmask_b32_e32 v7, v2, v7, vcc_lo
	v_lshlrev_b32_e32 v7, 2, v7
	s_waitcnt lgkmcnt(1)
	v_add_f32_e32 v4, v4, v5
	s_waitcnt lgkmcnt(0)
	v_add_f32_e32 v3, v3, v6
	ds_bpermute_b32 v5, v7, v4
	ds_bpermute_b32 v6, v7, v3
	v_xor_b32_e32 v7, 1, v2
	v_cmp_gt_i32_e32 vcc_lo, 32, v7
	v_cndmask_b32_e32 v2, v2, v7, vcc_lo
	v_cmp_eq_u32_e32 vcc_lo, 31, v0
	v_lshlrev_b32_e32 v7, 2, v2
	s_waitcnt lgkmcnt(1)
	v_add_f32_e32 v2, v4, v5
	s_waitcnt lgkmcnt(0)
	v_add_f32_e32 v3, v3, v6
	ds_bpermute_b32 v4, v7, v2
	ds_bpermute_b32 v5, v7, v3
	s_and_b32 exec_lo, exec_lo, vcc_lo
	s_cbranch_execz .LBB68_23
; %bb.19:
	s_load_dwordx2 s[0:1], s[4:5], 0x38
	s_waitcnt lgkmcnt(0)
	v_add_f32_e32 v0, v2, v4
	v_add_f32_e32 v3, v3, v5
	v_cmp_eq_f32_e64 s4, s2, 0
	v_mul_f32_e32 v2, s16, v0
	v_mul_f32_e32 v3, s16, v3
	v_lshlrev_b32_e32 v0, 1, v1
	s_and_b32 vcc_lo, exec_lo, s4
	s_cbranch_vccz .LBB68_21
; %bb.20:
	v_ashrrev_i32_e32 v1, 31, v0
	s_mov_b32 s3, 0
	v_lshlrev_b64 v[4:5], 2, v[0:1]
	v_add_co_u32 v4, vcc_lo, s0, v4
	v_add_co_ci_u32_e64 v5, null, s1, v5, vcc_lo
	global_store_dwordx2 v[4:5], v[2:3], off
.LBB68_21:
	s_andn2_b32 vcc_lo, exec_lo, s3
	s_cbranch_vccnz .LBB68_23
; %bb.22:
	v_ashrrev_i32_e32 v1, 31, v0
	v_lshlrev_b64 v[0:1], 2, v[0:1]
	v_add_co_u32 v0, vcc_lo, s0, v0
	v_add_co_ci_u32_e64 v1, null, s1, v1, vcc_lo
	global_load_dwordx2 v[4:5], v[0:1], off
	s_waitcnt vmcnt(0)
	v_fmac_f32_e32 v2, s2, v4
	v_fmac_f32_e32 v3, s2, v5
	global_store_dwordx2 v[0:1], v[2:3], off
.LBB68_23:
	s_endpgm
	.section	.rodata,"a",@progbits
	.p2align	6, 0x0
	.amdhsa_kernel _ZN9rocsparseL19gebsrmvn_2xn_kernelILj128ELj15ELj32EfEEvi20rocsparse_direction_NS_24const_host_device_scalarIT2_EEPKiS6_PKS3_S8_S4_PS3_21rocsparse_index_base_b
		.amdhsa_group_segment_fixed_size 0
		.amdhsa_private_segment_fixed_size 0
		.amdhsa_kernarg_size 72
		.amdhsa_user_sgpr_count 6
		.amdhsa_user_sgpr_private_segment_buffer 1
		.amdhsa_user_sgpr_dispatch_ptr 0
		.amdhsa_user_sgpr_queue_ptr 0
		.amdhsa_user_sgpr_kernarg_segment_ptr 1
		.amdhsa_user_sgpr_dispatch_id 0
		.amdhsa_user_sgpr_flat_scratch_init 0
		.amdhsa_user_sgpr_private_segment_size 0
		.amdhsa_wavefront_size32 1
		.amdhsa_uses_dynamic_stack 0
		.amdhsa_system_sgpr_private_segment_wavefront_offset 0
		.amdhsa_system_sgpr_workgroup_id_x 1
		.amdhsa_system_sgpr_workgroup_id_y 0
		.amdhsa_system_sgpr_workgroup_id_z 0
		.amdhsa_system_sgpr_workgroup_info 0
		.amdhsa_system_vgpr_workitem_id 0
		.amdhsa_next_free_vgpr 60
		.amdhsa_next_free_sgpr 20
		.amdhsa_reserve_vcc 1
		.amdhsa_reserve_flat_scratch 0
		.amdhsa_float_round_mode_32 0
		.amdhsa_float_round_mode_16_64 0
		.amdhsa_float_denorm_mode_32 3
		.amdhsa_float_denorm_mode_16_64 3
		.amdhsa_dx10_clamp 1
		.amdhsa_ieee_mode 1
		.amdhsa_fp16_overflow 0
		.amdhsa_workgroup_processor_mode 1
		.amdhsa_memory_ordered 1
		.amdhsa_forward_progress 1
		.amdhsa_shared_vgpr_count 0
		.amdhsa_exception_fp_ieee_invalid_op 0
		.amdhsa_exception_fp_denorm_src 0
		.amdhsa_exception_fp_ieee_div_zero 0
		.amdhsa_exception_fp_ieee_overflow 0
		.amdhsa_exception_fp_ieee_underflow 0
		.amdhsa_exception_fp_ieee_inexact 0
		.amdhsa_exception_int_div_zero 0
	.end_amdhsa_kernel
	.section	.text._ZN9rocsparseL19gebsrmvn_2xn_kernelILj128ELj15ELj32EfEEvi20rocsparse_direction_NS_24const_host_device_scalarIT2_EEPKiS6_PKS3_S8_S4_PS3_21rocsparse_index_base_b,"axG",@progbits,_ZN9rocsparseL19gebsrmvn_2xn_kernelILj128ELj15ELj32EfEEvi20rocsparse_direction_NS_24const_host_device_scalarIT2_EEPKiS6_PKS3_S8_S4_PS3_21rocsparse_index_base_b,comdat
.Lfunc_end68:
	.size	_ZN9rocsparseL19gebsrmvn_2xn_kernelILj128ELj15ELj32EfEEvi20rocsparse_direction_NS_24const_host_device_scalarIT2_EEPKiS6_PKS3_S8_S4_PS3_21rocsparse_index_base_b, .Lfunc_end68-_ZN9rocsparseL19gebsrmvn_2xn_kernelILj128ELj15ELj32EfEEvi20rocsparse_direction_NS_24const_host_device_scalarIT2_EEPKiS6_PKS3_S8_S4_PS3_21rocsparse_index_base_b
                                        ; -- End function
	.set _ZN9rocsparseL19gebsrmvn_2xn_kernelILj128ELj15ELj32EfEEvi20rocsparse_direction_NS_24const_host_device_scalarIT2_EEPKiS6_PKS3_S8_S4_PS3_21rocsparse_index_base_b.num_vgpr, 60
	.set _ZN9rocsparseL19gebsrmvn_2xn_kernelILj128ELj15ELj32EfEEvi20rocsparse_direction_NS_24const_host_device_scalarIT2_EEPKiS6_PKS3_S8_S4_PS3_21rocsparse_index_base_b.num_agpr, 0
	.set _ZN9rocsparseL19gebsrmvn_2xn_kernelILj128ELj15ELj32EfEEvi20rocsparse_direction_NS_24const_host_device_scalarIT2_EEPKiS6_PKS3_S8_S4_PS3_21rocsparse_index_base_b.numbered_sgpr, 20
	.set _ZN9rocsparseL19gebsrmvn_2xn_kernelILj128ELj15ELj32EfEEvi20rocsparse_direction_NS_24const_host_device_scalarIT2_EEPKiS6_PKS3_S8_S4_PS3_21rocsparse_index_base_b.num_named_barrier, 0
	.set _ZN9rocsparseL19gebsrmvn_2xn_kernelILj128ELj15ELj32EfEEvi20rocsparse_direction_NS_24const_host_device_scalarIT2_EEPKiS6_PKS3_S8_S4_PS3_21rocsparse_index_base_b.private_seg_size, 0
	.set _ZN9rocsparseL19gebsrmvn_2xn_kernelILj128ELj15ELj32EfEEvi20rocsparse_direction_NS_24const_host_device_scalarIT2_EEPKiS6_PKS3_S8_S4_PS3_21rocsparse_index_base_b.uses_vcc, 1
	.set _ZN9rocsparseL19gebsrmvn_2xn_kernelILj128ELj15ELj32EfEEvi20rocsparse_direction_NS_24const_host_device_scalarIT2_EEPKiS6_PKS3_S8_S4_PS3_21rocsparse_index_base_b.uses_flat_scratch, 0
	.set _ZN9rocsparseL19gebsrmvn_2xn_kernelILj128ELj15ELj32EfEEvi20rocsparse_direction_NS_24const_host_device_scalarIT2_EEPKiS6_PKS3_S8_S4_PS3_21rocsparse_index_base_b.has_dyn_sized_stack, 0
	.set _ZN9rocsparseL19gebsrmvn_2xn_kernelILj128ELj15ELj32EfEEvi20rocsparse_direction_NS_24const_host_device_scalarIT2_EEPKiS6_PKS3_S8_S4_PS3_21rocsparse_index_base_b.has_recursion, 0
	.set _ZN9rocsparseL19gebsrmvn_2xn_kernelILj128ELj15ELj32EfEEvi20rocsparse_direction_NS_24const_host_device_scalarIT2_EEPKiS6_PKS3_S8_S4_PS3_21rocsparse_index_base_b.has_indirect_call, 0
	.section	.AMDGPU.csdata,"",@progbits
; Kernel info:
; codeLenInByte = 4032
; TotalNumSgprs: 22
; NumVgprs: 60
; ScratchSize: 0
; MemoryBound: 0
; FloatMode: 240
; IeeeMode: 1
; LDSByteSize: 0 bytes/workgroup (compile time only)
; SGPRBlocks: 0
; VGPRBlocks: 7
; NumSGPRsForWavesPerEU: 22
; NumVGPRsForWavesPerEU: 60
; Occupancy: 16
; WaveLimiterHint : 1
; COMPUTE_PGM_RSRC2:SCRATCH_EN: 0
; COMPUTE_PGM_RSRC2:USER_SGPR: 6
; COMPUTE_PGM_RSRC2:TRAP_HANDLER: 0
; COMPUTE_PGM_RSRC2:TGID_X_EN: 1
; COMPUTE_PGM_RSRC2:TGID_Y_EN: 0
; COMPUTE_PGM_RSRC2:TGID_Z_EN: 0
; COMPUTE_PGM_RSRC2:TIDIG_COMP_CNT: 0
	.section	.text._ZN9rocsparseL19gebsrmvn_2xn_kernelILj128ELj15ELj64EfEEvi20rocsparse_direction_NS_24const_host_device_scalarIT2_EEPKiS6_PKS3_S8_S4_PS3_21rocsparse_index_base_b,"axG",@progbits,_ZN9rocsparseL19gebsrmvn_2xn_kernelILj128ELj15ELj64EfEEvi20rocsparse_direction_NS_24const_host_device_scalarIT2_EEPKiS6_PKS3_S8_S4_PS3_21rocsparse_index_base_b,comdat
	.globl	_ZN9rocsparseL19gebsrmvn_2xn_kernelILj128ELj15ELj64EfEEvi20rocsparse_direction_NS_24const_host_device_scalarIT2_EEPKiS6_PKS3_S8_S4_PS3_21rocsparse_index_base_b ; -- Begin function _ZN9rocsparseL19gebsrmvn_2xn_kernelILj128ELj15ELj64EfEEvi20rocsparse_direction_NS_24const_host_device_scalarIT2_EEPKiS6_PKS3_S8_S4_PS3_21rocsparse_index_base_b
	.p2align	8
	.type	_ZN9rocsparseL19gebsrmvn_2xn_kernelILj128ELj15ELj64EfEEvi20rocsparse_direction_NS_24const_host_device_scalarIT2_EEPKiS6_PKS3_S8_S4_PS3_21rocsparse_index_base_b,@function
_ZN9rocsparseL19gebsrmvn_2xn_kernelILj128ELj15ELj64EfEEvi20rocsparse_direction_NS_24const_host_device_scalarIT2_EEPKiS6_PKS3_S8_S4_PS3_21rocsparse_index_base_b: ; @_ZN9rocsparseL19gebsrmvn_2xn_kernelILj128ELj15ELj64EfEEvi20rocsparse_direction_NS_24const_host_device_scalarIT2_EEPKiS6_PKS3_S8_S4_PS3_21rocsparse_index_base_b
; %bb.0:
	s_clause 0x2
	s_load_dwordx2 s[18:19], s[4:5], 0x40
	s_load_dwordx2 s[16:17], s[4:5], 0x8
	;; [unrolled: 1-line block ×3, first 2 shown]
	s_waitcnt lgkmcnt(0)
	s_bitcmp1_b32 s19, 0
	s_cselect_b32 s0, -1, 0
	s_and_b32 vcc_lo, exec_lo, s0
	s_xor_b32 s0, s0, -1
	s_cbranch_vccnz .LBB69_2
; %bb.1:
	s_load_dword s16, s[16:17], 0x0
.LBB69_2:
	s_andn2_b32 vcc_lo, exec_lo, s0
	s_cbranch_vccnz .LBB69_4
; %bb.3:
	s_load_dword s2, s[2:3], 0x0
.LBB69_4:
	s_waitcnt lgkmcnt(0)
	v_cmp_eq_f32_e64 s0, s16, 0
	v_cmp_eq_f32_e64 s1, s2, 1.0
	s_and_b32 s0, s0, s1
	s_and_b32 vcc_lo, exec_lo, s0
	s_cbranch_vccnz .LBB69_23
; %bb.5:
	s_load_dwordx2 s[0:1], s[4:5], 0x0
	v_lshrrev_b32_e32 v1, 6, v0
	v_lshl_or_b32 v1, s6, 1, v1
	s_waitcnt lgkmcnt(0)
	v_cmp_gt_i32_e32 vcc_lo, s0, v1
	s_and_saveexec_b32 s0, vcc_lo
	s_cbranch_execz .LBB69_23
; %bb.6:
	s_load_dwordx8 s[8:15], s[4:5], 0x10
	v_ashrrev_i32_e32 v2, 31, v1
	v_and_b32_e32 v0, 63, v0
	s_cmp_lg_u32 s1, 0
	v_lshlrev_b64 v[2:3], 2, v[1:2]
	s_waitcnt lgkmcnt(0)
	v_add_co_u32 v2, vcc_lo, s8, v2
	v_add_co_ci_u32_e64 v3, null, s9, v3, vcc_lo
	global_load_dwordx2 v[2:3], v[2:3], off
	s_waitcnt vmcnt(0)
	v_subrev_nc_u32_e32 v2, s18, v2
	v_subrev_nc_u32_e32 v12, s18, v3
	v_add_nc_u32_e32 v2, v2, v0
	v_cmp_lt_i32_e64 s0, v2, v12
	s_cbranch_scc0 .LBB69_12
; %bb.7:
	v_mov_b32_e32 v10, 0
	v_mov_b32_e32 v11, 0
	s_and_saveexec_b32 s1, s0
	s_cbranch_execz .LBB69_11
; %bb.8:
	v_mad_u64_u32 v[3:4], null, v2, 30, 28
	v_mov_b32_e32 v6, 0
	v_mov_b32_e32 v7, v2
	;; [unrolled: 1-line block ×4, first 2 shown]
	s_mov_b32 s3, 0
.LBB69_9:                               ; =>This Inner Loop Header: Depth=1
	v_ashrrev_i32_e32 v8, 31, v7
	v_mov_b32_e32 v9, v6
	v_lshlrev_b64 v[4:5], 2, v[7:8]
	v_add_nc_u32_e32 v7, 64, v7
	v_add_co_u32 v4, vcc_lo, s10, v4
	v_add_co_ci_u32_e64 v5, null, s11, v5, vcc_lo
	global_load_dword v8, v[4:5], off
	v_subrev_nc_u32_e32 v5, 28, v3
	v_mov_b32_e32 v4, v6
	v_lshlrev_b64 v[13:14], 2, v[5:6]
	v_subrev_nc_u32_e32 v5, 26, v3
	v_lshlrev_b64 v[15:16], 2, v[3:4]
	v_lshlrev_b64 v[4:5], 2, v[5:6]
	v_add_co_u32 v13, vcc_lo, s12, v13
	v_add_co_ci_u32_e64 v14, null, s13, v14, vcc_lo
	v_add_co_u32 v15, vcc_lo, s12, v15
	v_add_co_ci_u32_e64 v16, null, s13, v16, vcc_lo
	;; [unrolled: 2-line block ×3, first 2 shown]
	s_clause 0x1
	global_load_dwordx2 v[13:14], v[13:14], off
	global_load_dwordx2 v[17:18], v[4:5], off
	s_waitcnt vmcnt(2)
	v_subrev_nc_u32_e32 v4, s18, v8
	v_mul_lo_u32 v8, v4, 15
	v_add_nc_u32_e32 v5, 1, v8
	v_lshlrev_b64 v[19:20], 2, v[8:9]
	v_lshlrev_b64 v[21:22], 2, v[5:6]
	v_subrev_nc_u32_e32 v5, 24, v3
	v_add_co_u32 v19, vcc_lo, s14, v19
	v_add_co_ci_u32_e64 v20, null, s15, v20, vcc_lo
	v_add_co_u32 v21, vcc_lo, s14, v21
	v_lshlrev_b64 v[23:24], 2, v[5:6]
	v_add_nc_u32_e32 v5, 2, v8
	v_add_co_ci_u32_e64 v22, null, s15, v22, vcc_lo
	s_clause 0x1
	global_load_dword v47, v[19:20], off
	global_load_dword v48, v[21:22], off
	v_lshlrev_b64 v[19:20], 2, v[5:6]
	v_subrev_nc_u32_e32 v5, 22, v3
	v_add_co_u32 v21, vcc_lo, s12, v23
	v_add_co_ci_u32_e64 v22, null, s13, v24, vcc_lo
	v_lshlrev_b64 v[23:24], 2, v[5:6]
	v_add_nc_u32_e32 v5, 3, v8
	v_add_co_u32 v19, vcc_lo, s14, v19
	v_add_co_ci_u32_e64 v20, null, s15, v20, vcc_lo
	v_lshlrev_b64 v[25:26], 2, v[5:6]
	v_subrev_nc_u32_e32 v5, 20, v3
	global_load_dwordx2 v[21:22], v[21:22], off
	global_load_dword v49, v[19:20], off
	v_add_co_u32 v19, vcc_lo, s12, v23
	v_add_co_ci_u32_e64 v20, null, s13, v24, vcc_lo
	v_lshlrev_b64 v[23:24], 2, v[5:6]
	v_add_nc_u32_e32 v5, 4, v8
	v_add_co_u32 v25, vcc_lo, s14, v25
	v_add_co_ci_u32_e64 v26, null, s15, v26, vcc_lo
	v_lshlrev_b64 v[27:28], 2, v[5:6]
	v_add_co_u32 v23, vcc_lo, s12, v23
	v_add_co_ci_u32_e64 v24, null, s13, v24, vcc_lo
	v_subrev_nc_u32_e32 v5, 18, v3
	v_add_co_u32 v27, vcc_lo, s14, v27
	v_add_co_ci_u32_e64 v28, null, s15, v28, vcc_lo
	global_load_dword v50, v[25:26], off
	s_clause 0x1
	global_load_dwordx2 v[23:24], v[23:24], off
	global_load_dwordx2 v[19:20], v[19:20], off
	global_load_dword v51, v[27:28], off
	v_lshlrev_b64 v[25:26], 2, v[5:6]
	v_add_nc_u32_e32 v5, 5, v8
	v_lshlrev_b64 v[29:30], 2, v[5:6]
	v_add_nc_u32_e32 v5, -16, v3
	v_add_co_u32 v25, vcc_lo, s12, v25
	v_add_co_ci_u32_e64 v26, null, s13, v26, vcc_lo
	v_lshlrev_b64 v[27:28], 2, v[5:6]
	v_add_nc_u32_e32 v5, 6, v8
	v_add_co_u32 v29, vcc_lo, s14, v29
	v_add_co_ci_u32_e64 v30, null, s15, v30, vcc_lo
	v_lshlrev_b64 v[31:32], 2, v[5:6]
	v_add_co_u32 v27, vcc_lo, s12, v27
	v_add_co_ci_u32_e64 v28, null, s13, v28, vcc_lo
	v_add_nc_u32_e32 v5, -14, v3
	v_add_co_u32 v31, vcc_lo, s14, v31
	v_add_co_ci_u32_e64 v32, null, s15, v32, vcc_lo
	global_load_dword v52, v[29:30], off
	s_clause 0x1
	global_load_dwordx2 v[25:26], v[25:26], off
	global_load_dwordx2 v[27:28], v[27:28], off
	global_load_dword v53, v[31:32], off
	v_lshlrev_b64 v[29:30], 2, v[5:6]
	v_add_nc_u32_e32 v5, 7, v8
	v_lshlrev_b64 v[33:34], 2, v[5:6]
	v_add_nc_u32_e32 v5, -12, v3
	v_add_co_u32 v29, vcc_lo, s12, v29
	v_add_co_ci_u32_e64 v30, null, s13, v30, vcc_lo
	v_lshlrev_b64 v[31:32], 2, v[5:6]
	v_add_nc_u32_e32 v5, 8, v8
	v_add_co_u32 v33, vcc_lo, s14, v33
	v_add_co_ci_u32_e64 v34, null, s15, v34, vcc_lo
	v_lshlrev_b64 v[35:36], 2, v[5:6]
	v_add_co_u32 v31, vcc_lo, s12, v31
	v_add_co_ci_u32_e64 v32, null, s13, v32, vcc_lo
	v_add_nc_u32_e32 v5, -10, v3
	;; [unrolled: 21-line block ×4, first 2 shown]
	v_add_co_u32 v43, vcc_lo, s14, v43
	v_add_co_ci_u32_e64 v44, null, s15, v44, vcc_lo
	global_load_dword v58, v[41:42], off
	s_clause 0x1
	global_load_dwordx2 v[37:38], v[37:38], off
	global_load_dwordx2 v[39:40], v[39:40], off
	global_load_dword v43, v[43:44], off
	v_lshlrev_b64 v[41:42], 2, v[5:6]
	v_add_nc_u32_e32 v5, 13, v8
	v_add_nc_u32_e32 v3, 0x780, v3
	v_lshlrev_b64 v[45:46], 2, v[5:6]
	v_add_nc_u32_e32 v5, 14, v8
	v_add_co_u32 v8, vcc_lo, s12, v41
	v_add_co_ci_u32_e64 v9, null, s13, v42, vcc_lo
	v_lshlrev_b64 v[4:5], 2, v[5:6]
	v_add_co_u32 v41, vcc_lo, s14, v45
	v_add_co_ci_u32_e64 v42, null, s15, v46, vcc_lo
	global_load_dwordx2 v[8:9], v[8:9], off
	global_load_dword v41, v[41:42], off
	v_add_co_u32 v4, vcc_lo, s14, v4
	v_add_co_ci_u32_e64 v5, null, s15, v5, vcc_lo
	global_load_dwordx2 v[15:16], v[15:16], off
	global_load_dword v4, v[4:5], off
	v_cmp_ge_i32_e32 vcc_lo, v7, v12
	s_or_b32 s3, vcc_lo, s3
	s_waitcnt vmcnt(27)
	v_fmac_f32_e32 v10, v13, v47
	v_fmac_f32_e32 v11, v14, v47
	s_waitcnt vmcnt(26)
	v_fmac_f32_e32 v10, v17, v48
	v_fmac_f32_e32 v11, v18, v48
	;; [unrolled: 3-line block ×15, first 2 shown]
	s_andn2_b32 exec_lo, exec_lo, s3
	s_cbranch_execnz .LBB69_9
; %bb.10:
	s_or_b32 exec_lo, exec_lo, s3
.LBB69_11:
	s_or_b32 exec_lo, exec_lo, s1
	s_cbranch_execz .LBB69_13
	s_branch .LBB69_18
.LBB69_12:
                                        ; implicit-def: $vgpr10
                                        ; implicit-def: $vgpr11
.LBB69_13:
	v_mov_b32_e32 v10, 0
	v_mov_b32_e32 v11, 0
	s_and_saveexec_b32 s1, s0
	s_cbranch_execz .LBB69_17
; %bb.14:
	v_mad_u64_u32 v[4:5], null, v2, 30, 29
	v_mov_b32_e32 v7, 0
	v_mov_b32_e32 v10, 0
	;; [unrolled: 1-line block ×3, first 2 shown]
	s_mov_b32 s0, 0
.LBB69_15:                              ; =>This Inner Loop Header: Depth=1
	v_ashrrev_i32_e32 v3, 31, v2
	v_add_nc_u32_e32 v13, -14, v4
	v_mov_b32_e32 v14, v7
	v_mov_b32_e32 v9, v7
	v_lshlrev_b64 v[5:6], 2, v[2:3]
	v_add_nc_u32_e32 v2, 64, v2
	v_lshlrev_b64 v[13:14], 2, v[13:14]
	v_add_co_u32 v5, vcc_lo, s10, v5
	v_add_co_ci_u32_e64 v6, null, s11, v6, vcc_lo
	global_load_dword v3, v[5:6], off
	v_subrev_nc_u32_e32 v6, 29, v4
	v_mov_b32_e32 v5, v7
	v_lshlrev_b64 v[15:16], 2, v[6:7]
	v_lshlrev_b64 v[5:6], 2, v[4:5]
	v_add_co_u32 v15, vcc_lo, s12, v15
	v_add_co_ci_u32_e64 v16, null, s13, v16, vcc_lo
	v_add_co_u32 v13, vcc_lo, s12, v13
	v_add_co_ci_u32_e64 v14, null, s13, v14, vcc_lo
	;; [unrolled: 2-line block ×3, first 2 shown]
	s_clause 0x1
	global_load_dwordx2 v[15:16], v[15:16], off
	global_load_dword v23, v[13:14], off
	s_waitcnt vmcnt(2)
	v_subrev_nc_u32_e32 v3, s18, v3
	v_mul_lo_u32 v8, v3, 15
	v_add_nc_u32_e32 v6, 1, v8
	v_lshlrev_b64 v[13:14], 2, v[8:9]
	v_lshlrev_b64 v[19:20], 2, v[6:7]
	v_add_nc_u32_e32 v6, -13, v4
	v_add_co_u32 v13, vcc_lo, s14, v13
	v_add_co_ci_u32_e64 v14, null, s15, v14, vcc_lo
	v_lshlrev_b64 v[21:22], 2, v[6:7]
	v_subrev_nc_u32_e32 v6, 27, v4
	global_load_dword v3, v[13:14], off
	v_add_co_u32 v13, vcc_lo, s14, v19
	v_add_co_ci_u32_e64 v14, null, s15, v20, vcc_lo
	v_lshlrev_b64 v[19:20], 2, v[6:7]
	v_add_nc_u32_e32 v6, 2, v8
	v_add_co_u32 v21, vcc_lo, s12, v21
	v_add_co_ci_u32_e64 v22, null, s13, v22, vcc_lo
	global_load_dword v24, v[13:14], off
	v_lshlrev_b64 v[13:14], 2, v[6:7]
	v_add_co_u32 v19, vcc_lo, s12, v19
	v_add_nc_u32_e32 v6, -12, v4
	v_add_co_ci_u32_e64 v20, null, s13, v20, vcc_lo
	v_add_co_u32 v13, vcc_lo, s14, v13
	s_clause 0x1
	global_load_dword v25, v[21:22], off
	global_load_dword v26, v[19:20], off
	v_lshlrev_b64 v[21:22], 2, v[6:7]
	v_add_co_ci_u32_e64 v14, null, s15, v14, vcc_lo
	v_subrev_nc_u32_e32 v6, 26, v4
	global_load_dword v27, v[13:14], off
	v_add_co_u32 v13, vcc_lo, s12, v21
	v_add_co_ci_u32_e64 v14, null, s13, v22, vcc_lo
	global_load_dword v28, v[13:14], off
	v_lshlrev_b64 v[19:20], 2, v[6:7]
	v_add_nc_u32_e32 v6, 3, v8
	v_lshlrev_b64 v[21:22], 2, v[6:7]
	v_add_nc_u32_e32 v6, -11, v4
	v_add_co_u32 v19, vcc_lo, s12, v19
	v_add_co_ci_u32_e64 v20, null, s13, v20, vcc_lo
	v_lshlrev_b64 v[13:14], 2, v[6:7]
	v_subrev_nc_u32_e32 v6, 25, v4
	global_load_dword v29, v[19:20], off
	v_add_co_u32 v19, vcc_lo, s14, v21
	v_add_co_ci_u32_e64 v20, null, s15, v22, vcc_lo
	v_lshlrev_b64 v[21:22], 2, v[6:7]
	v_add_nc_u32_e32 v6, 4, v8
	v_add_co_u32 v13, vcc_lo, s12, v13
	v_add_co_ci_u32_e64 v14, null, s13, v14, vcc_lo
	global_load_dword v30, v[19:20], off
	v_lshlrev_b64 v[19:20], 2, v[6:7]
	v_add_nc_u32_e32 v6, -10, v4
	global_load_dword v31, v[13:14], off
	v_add_co_u32 v13, vcc_lo, s12, v21
	v_add_co_ci_u32_e64 v14, null, s13, v22, vcc_lo
	v_lshlrev_b64 v[21:22], 2, v[6:7]
	v_subrev_nc_u32_e32 v6, 24, v4
	v_add_co_u32 v19, vcc_lo, s14, v19
	v_add_co_ci_u32_e64 v20, null, s15, v20, vcc_lo
	global_load_dword v32, v[13:14], off
	v_lshlrev_b64 v[13:14], 2, v[6:7]
	v_add_nc_u32_e32 v6, 5, v8
	global_load_dword v33, v[19:20], off
	v_add_co_u32 v19, vcc_lo, s12, v21
	v_add_co_ci_u32_e64 v20, null, s13, v22, vcc_lo
	v_add_co_u32 v13, vcc_lo, s12, v13
	v_lshlrev_b64 v[21:22], 2, v[6:7]
	v_add_nc_u32_e32 v6, -9, v4
	v_add_co_ci_u32_e64 v14, null, s13, v14, vcc_lo
	s_clause 0x1
	global_load_dword v34, v[19:20], off
	global_load_dword v35, v[13:14], off
	v_lshlrev_b64 v[19:20], 2, v[6:7]
	v_subrev_nc_u32_e32 v6, 23, v4
	v_add_co_u32 v13, vcc_lo, s14, v21
	v_add_co_ci_u32_e64 v14, null, s15, v22, vcc_lo
	v_lshlrev_b64 v[21:22], 2, v[6:7]
	v_add_nc_u32_e32 v6, 6, v8
	v_add_co_u32 v19, vcc_lo, s12, v19
	v_add_co_ci_u32_e64 v20, null, s13, v20, vcc_lo
	global_load_dword v36, v[13:14], off
	v_lshlrev_b64 v[13:14], 2, v[6:7]
	v_add_nc_u32_e32 v6, -8, v4
	global_load_dword v37, v[19:20], off
	v_add_co_u32 v19, vcc_lo, s12, v21
	v_add_co_ci_u32_e64 v20, null, s13, v22, vcc_lo
	v_add_co_u32 v13, vcc_lo, s14, v13
	v_lshlrev_b64 v[21:22], 2, v[6:7]
	v_add_co_ci_u32_e64 v14, null, s15, v14, vcc_lo
	v_subrev_nc_u32_e32 v6, 22, v4
	global_load_dword v38, v[19:20], off
	global_load_dword v39, v[13:14], off
	v_add_co_u32 v13, vcc_lo, s12, v21
	v_add_co_ci_u32_e64 v14, null, s13, v22, vcc_lo
	global_load_dword v40, v[13:14], off
	v_lshlrev_b64 v[19:20], 2, v[6:7]
	v_add_nc_u32_e32 v6, 7, v8
	v_lshlrev_b64 v[21:22], 2, v[6:7]
	v_add_nc_u32_e32 v6, -7, v4
	v_add_co_u32 v19, vcc_lo, s12, v19
	v_add_co_ci_u32_e64 v20, null, s13, v20, vcc_lo
	v_lshlrev_b64 v[13:14], 2, v[6:7]
	v_subrev_nc_u32_e32 v6, 21, v4
	global_load_dword v41, v[19:20], off
	v_add_co_u32 v19, vcc_lo, s14, v21
	v_add_co_ci_u32_e64 v20, null, s15, v22, vcc_lo
	v_lshlrev_b64 v[21:22], 2, v[6:7]
	v_add_nc_u32_e32 v6, 8, v8
	v_add_co_u32 v13, vcc_lo, s12, v13
	v_add_co_ci_u32_e64 v14, null, s13, v14, vcc_lo
	global_load_dword v42, v[19:20], off
	v_lshlrev_b64 v[19:20], 2, v[6:7]
	v_add_nc_u32_e32 v6, -6, v4
	global_load_dword v43, v[13:14], off
	v_add_co_u32 v13, vcc_lo, s12, v21
	v_add_co_ci_u32_e64 v14, null, s13, v22, vcc_lo
	v_lshlrev_b64 v[21:22], 2, v[6:7]
	v_subrev_nc_u32_e32 v6, 20, v4
	v_add_co_u32 v19, vcc_lo, s14, v19
	v_add_co_ci_u32_e64 v20, null, s15, v20, vcc_lo
	global_load_dword v44, v[13:14], off
	v_lshlrev_b64 v[13:14], 2, v[6:7]
	v_add_nc_u32_e32 v6, 9, v8
	global_load_dword v45, v[19:20], off
	v_add_co_u32 v19, vcc_lo, s12, v21
	v_add_co_ci_u32_e64 v20, null, s13, v22, vcc_lo
	v_add_co_u32 v13, vcc_lo, s12, v13
	v_lshlrev_b64 v[21:22], 2, v[6:7]
	v_add_nc_u32_e32 v6, -5, v4
	v_add_co_ci_u32_e64 v14, null, s13, v14, vcc_lo
	s_clause 0x1
	global_load_dword v46, v[19:20], off
	global_load_dword v47, v[13:14], off
	v_lshlrev_b64 v[19:20], 2, v[6:7]
	v_subrev_nc_u32_e32 v6, 19, v4
	v_add_co_u32 v13, vcc_lo, s14, v21
	v_add_co_ci_u32_e64 v14, null, s15, v22, vcc_lo
	v_lshlrev_b64 v[21:22], 2, v[6:7]
	v_add_nc_u32_e32 v6, 10, v8
	v_add_co_u32 v19, vcc_lo, s12, v19
	v_add_co_ci_u32_e64 v20, null, s13, v20, vcc_lo
	global_load_dword v48, v[13:14], off
	v_lshlrev_b64 v[13:14], 2, v[6:7]
	v_add_nc_u32_e32 v6, -4, v4
	global_load_dword v49, v[19:20], off
	v_add_co_u32 v19, vcc_lo, s12, v21
	v_add_co_ci_u32_e64 v20, null, s13, v22, vcc_lo
	v_add_co_u32 v13, vcc_lo, s14, v13
	v_lshlrev_b64 v[21:22], 2, v[6:7]
	v_add_co_ci_u32_e64 v14, null, s15, v14, vcc_lo
	v_subrev_nc_u32_e32 v6, 18, v4
	global_load_dword v50, v[19:20], off
	global_load_dword v51, v[13:14], off
	v_add_co_u32 v13, vcc_lo, s12, v21
	v_add_co_ci_u32_e64 v14, null, s13, v22, vcc_lo
	global_load_dword v52, v[13:14], off
	v_lshlrev_b64 v[19:20], 2, v[6:7]
	v_add_nc_u32_e32 v6, 11, v8
	v_lshlrev_b64 v[21:22], 2, v[6:7]
	v_add_nc_u32_e32 v6, -3, v4
	v_add_co_u32 v19, vcc_lo, s12, v19
	v_add_co_ci_u32_e64 v20, null, s13, v20, vcc_lo
	v_lshlrev_b64 v[13:14], 2, v[6:7]
	v_subrev_nc_u32_e32 v6, 17, v4
	global_load_dword v53, v[19:20], off
	v_add_co_u32 v19, vcc_lo, s14, v21
	v_add_co_ci_u32_e64 v20, null, s15, v22, vcc_lo
	v_lshlrev_b64 v[21:22], 2, v[6:7]
	v_add_nc_u32_e32 v6, 12, v8
	v_add_co_u32 v13, vcc_lo, s12, v13
	v_add_co_ci_u32_e64 v14, null, s13, v14, vcc_lo
	global_load_dword v54, v[19:20], off
	v_lshlrev_b64 v[19:20], 2, v[6:7]
	v_add_nc_u32_e32 v6, -2, v4
	global_load_dword v55, v[13:14], off
	v_add_co_u32 v13, vcc_lo, s12, v21
	v_add_co_ci_u32_e64 v14, null, s13, v22, vcc_lo
	v_lshlrev_b64 v[21:22], 2, v[6:7]
	v_add_nc_u32_e32 v6, -16, v4
	v_add_co_u32 v19, vcc_lo, s14, v19
	v_add_co_ci_u32_e64 v20, null, s15, v20, vcc_lo
	global_load_dword v56, v[13:14], off
	v_lshlrev_b64 v[13:14], 2, v[6:7]
	v_add_nc_u32_e32 v6, 13, v8
	global_load_dword v57, v[19:20], off
	v_add_co_u32 v19, vcc_lo, s12, v21
	v_add_co_ci_u32_e64 v20, null, s13, v22, vcc_lo
	v_add_co_u32 v13, vcc_lo, s12, v13
	v_lshlrev_b64 v[21:22], 2, v[6:7]
	v_add_nc_u32_e32 v6, -1, v4
	v_add_co_ci_u32_e64 v14, null, s13, v14, vcc_lo
	s_clause 0x1
	global_load_dword v58, v[19:20], off
	global_load_dword v59, v[13:14], off
	v_lshlrev_b64 v[19:20], 2, v[6:7]
	v_add_nc_u32_e32 v6, -15, v4
	v_add_co_u32 v13, vcc_lo, s14, v21
	v_add_co_ci_u32_e64 v14, null, s15, v22, vcc_lo
	v_lshlrev_b64 v[21:22], 2, v[6:7]
	v_add_nc_u32_e32 v6, 14, v8
	v_add_co_u32 v8, vcc_lo, s12, v19
	v_add_co_ci_u32_e64 v9, null, s13, v20, vcc_lo
	v_lshlrev_b64 v[5:6], 2, v[6:7]
	global_load_dword v13, v[13:14], off
	v_add_nc_u32_e32 v4, 0x780, v4
	global_load_dword v14, v[8:9], off
	v_add_co_u32 v8, vcc_lo, s12, v21
	v_add_co_ci_u32_e64 v9, null, s13, v22, vcc_lo
	v_add_co_u32 v5, vcc_lo, s14, v5
	v_add_co_ci_u32_e64 v6, null, s15, v6, vcc_lo
	s_clause 0x1
	global_load_dword v17, v[17:18], off
	global_load_dword v8, v[8:9], off
	;; [unrolled: 1-line block ×3, first 2 shown]
	v_cmp_ge_i32_e32 vcc_lo, v2, v12
	s_or_b32 s0, vcc_lo, s0
	s_waitcnt vmcnt(41)
	v_fmac_f32_e32 v10, v15, v3
	v_fmac_f32_e32 v11, v23, v3
	s_waitcnt vmcnt(40)
	v_fmac_f32_e32 v10, v16, v24
	s_waitcnt vmcnt(39)
	;; [unrolled: 2-line block ×27, first 2 shown]
	v_fmac_f32_e32 v10, v8, v5
	v_fmac_f32_e32 v11, v17, v5
	s_andn2_b32 exec_lo, exec_lo, s0
	s_cbranch_execnz .LBB69_15
; %bb.16:
	s_or_b32 exec_lo, exec_lo, s0
.LBB69_17:
	s_or_b32 exec_lo, exec_lo, s1
.LBB69_18:
	v_mbcnt_lo_u32_b32 v2, -1, 0
	s_mov_b32 s3, -1
	v_or_b32_e32 v3, 32, v2
	v_xor_b32_e32 v5, 16, v2
	v_xor_b32_e32 v7, 8, v2
	v_cmp_gt_i32_e32 vcc_lo, 32, v3
	v_cndmask_b32_e32 v3, v2, v3, vcc_lo
	v_cmp_gt_i32_e32 vcc_lo, 32, v5
	v_lshlrev_b32_e32 v3, 2, v3
	v_cndmask_b32_e32 v5, v2, v5, vcc_lo
	v_cmp_gt_i32_e32 vcc_lo, 32, v7
	ds_bpermute_b32 v4, v3, v10
	ds_bpermute_b32 v3, v3, v11
	v_lshlrev_b32_e32 v5, 2, v5
	v_cndmask_b32_e32 v7, v2, v7, vcc_lo
	v_lshlrev_b32_e32 v7, 2, v7
	s_waitcnt lgkmcnt(1)
	v_add_f32_e32 v4, v10, v4
	s_waitcnt lgkmcnt(0)
	v_add_f32_e32 v3, v11, v3
	ds_bpermute_b32 v6, v5, v4
	ds_bpermute_b32 v5, v5, v3
	s_waitcnt lgkmcnt(1)
	v_add_f32_e32 v4, v4, v6
	s_waitcnt lgkmcnt(0)
	v_add_f32_e32 v3, v3, v5
	ds_bpermute_b32 v5, v7, v4
	ds_bpermute_b32 v6, v7, v3
	v_xor_b32_e32 v7, 4, v2
	v_cmp_gt_i32_e32 vcc_lo, 32, v7
	v_cndmask_b32_e32 v7, v2, v7, vcc_lo
	v_lshlrev_b32_e32 v7, 2, v7
	s_waitcnt lgkmcnt(1)
	v_add_f32_e32 v4, v4, v5
	s_waitcnt lgkmcnt(0)
	v_add_f32_e32 v3, v3, v6
	ds_bpermute_b32 v5, v7, v4
	ds_bpermute_b32 v6, v7, v3
	v_xor_b32_e32 v7, 2, v2
	v_cmp_gt_i32_e32 vcc_lo, 32, v7
	v_cndmask_b32_e32 v7, v2, v7, vcc_lo
	v_lshlrev_b32_e32 v7, 2, v7
	s_waitcnt lgkmcnt(1)
	v_add_f32_e32 v4, v4, v5
	s_waitcnt lgkmcnt(0)
	v_add_f32_e32 v3, v3, v6
	ds_bpermute_b32 v5, v7, v4
	ds_bpermute_b32 v6, v7, v3
	v_xor_b32_e32 v7, 1, v2
	v_cmp_gt_i32_e32 vcc_lo, 32, v7
	v_cndmask_b32_e32 v2, v2, v7, vcc_lo
	v_cmp_eq_u32_e32 vcc_lo, 63, v0
	v_lshlrev_b32_e32 v7, 2, v2
	s_waitcnt lgkmcnt(1)
	v_add_f32_e32 v2, v4, v5
	s_waitcnt lgkmcnt(0)
	v_add_f32_e32 v3, v3, v6
	ds_bpermute_b32 v4, v7, v2
	ds_bpermute_b32 v5, v7, v3
	s_and_b32 exec_lo, exec_lo, vcc_lo
	s_cbranch_execz .LBB69_23
; %bb.19:
	s_load_dwordx2 s[0:1], s[4:5], 0x38
	s_waitcnt lgkmcnt(0)
	v_add_f32_e32 v0, v2, v4
	v_add_f32_e32 v3, v3, v5
	v_cmp_eq_f32_e64 s4, s2, 0
	v_mul_f32_e32 v2, s16, v0
	v_mul_f32_e32 v3, s16, v3
	v_lshlrev_b32_e32 v0, 1, v1
	s_and_b32 vcc_lo, exec_lo, s4
	s_cbranch_vccz .LBB69_21
; %bb.20:
	v_ashrrev_i32_e32 v1, 31, v0
	s_mov_b32 s3, 0
	v_lshlrev_b64 v[4:5], 2, v[0:1]
	v_add_co_u32 v4, vcc_lo, s0, v4
	v_add_co_ci_u32_e64 v5, null, s1, v5, vcc_lo
	global_store_dwordx2 v[4:5], v[2:3], off
.LBB69_21:
	s_andn2_b32 vcc_lo, exec_lo, s3
	s_cbranch_vccnz .LBB69_23
; %bb.22:
	v_ashrrev_i32_e32 v1, 31, v0
	v_lshlrev_b64 v[0:1], 2, v[0:1]
	v_add_co_u32 v0, vcc_lo, s0, v0
	v_add_co_ci_u32_e64 v1, null, s1, v1, vcc_lo
	global_load_dwordx2 v[4:5], v[0:1], off
	s_waitcnt vmcnt(0)
	v_fmac_f32_e32 v2, s2, v4
	v_fmac_f32_e32 v3, s2, v5
	global_store_dwordx2 v[0:1], v[2:3], off
.LBB69_23:
	s_endpgm
	.section	.rodata,"a",@progbits
	.p2align	6, 0x0
	.amdhsa_kernel _ZN9rocsparseL19gebsrmvn_2xn_kernelILj128ELj15ELj64EfEEvi20rocsparse_direction_NS_24const_host_device_scalarIT2_EEPKiS6_PKS3_S8_S4_PS3_21rocsparse_index_base_b
		.amdhsa_group_segment_fixed_size 0
		.amdhsa_private_segment_fixed_size 0
		.amdhsa_kernarg_size 72
		.amdhsa_user_sgpr_count 6
		.amdhsa_user_sgpr_private_segment_buffer 1
		.amdhsa_user_sgpr_dispatch_ptr 0
		.amdhsa_user_sgpr_queue_ptr 0
		.amdhsa_user_sgpr_kernarg_segment_ptr 1
		.amdhsa_user_sgpr_dispatch_id 0
		.amdhsa_user_sgpr_flat_scratch_init 0
		.amdhsa_user_sgpr_private_segment_size 0
		.amdhsa_wavefront_size32 1
		.amdhsa_uses_dynamic_stack 0
		.amdhsa_system_sgpr_private_segment_wavefront_offset 0
		.amdhsa_system_sgpr_workgroup_id_x 1
		.amdhsa_system_sgpr_workgroup_id_y 0
		.amdhsa_system_sgpr_workgroup_id_z 0
		.amdhsa_system_sgpr_workgroup_info 0
		.amdhsa_system_vgpr_workitem_id 0
		.amdhsa_next_free_vgpr 60
		.amdhsa_next_free_sgpr 20
		.amdhsa_reserve_vcc 1
		.amdhsa_reserve_flat_scratch 0
		.amdhsa_float_round_mode_32 0
		.amdhsa_float_round_mode_16_64 0
		.amdhsa_float_denorm_mode_32 3
		.amdhsa_float_denorm_mode_16_64 3
		.amdhsa_dx10_clamp 1
		.amdhsa_ieee_mode 1
		.amdhsa_fp16_overflow 0
		.amdhsa_workgroup_processor_mode 1
		.amdhsa_memory_ordered 1
		.amdhsa_forward_progress 1
		.amdhsa_shared_vgpr_count 0
		.amdhsa_exception_fp_ieee_invalid_op 0
		.amdhsa_exception_fp_denorm_src 0
		.amdhsa_exception_fp_ieee_div_zero 0
		.amdhsa_exception_fp_ieee_overflow 0
		.amdhsa_exception_fp_ieee_underflow 0
		.amdhsa_exception_fp_ieee_inexact 0
		.amdhsa_exception_int_div_zero 0
	.end_amdhsa_kernel
	.section	.text._ZN9rocsparseL19gebsrmvn_2xn_kernelILj128ELj15ELj64EfEEvi20rocsparse_direction_NS_24const_host_device_scalarIT2_EEPKiS6_PKS3_S8_S4_PS3_21rocsparse_index_base_b,"axG",@progbits,_ZN9rocsparseL19gebsrmvn_2xn_kernelILj128ELj15ELj64EfEEvi20rocsparse_direction_NS_24const_host_device_scalarIT2_EEPKiS6_PKS3_S8_S4_PS3_21rocsparse_index_base_b,comdat
.Lfunc_end69:
	.size	_ZN9rocsparseL19gebsrmvn_2xn_kernelILj128ELj15ELj64EfEEvi20rocsparse_direction_NS_24const_host_device_scalarIT2_EEPKiS6_PKS3_S8_S4_PS3_21rocsparse_index_base_b, .Lfunc_end69-_ZN9rocsparseL19gebsrmvn_2xn_kernelILj128ELj15ELj64EfEEvi20rocsparse_direction_NS_24const_host_device_scalarIT2_EEPKiS6_PKS3_S8_S4_PS3_21rocsparse_index_base_b
                                        ; -- End function
	.set _ZN9rocsparseL19gebsrmvn_2xn_kernelILj128ELj15ELj64EfEEvi20rocsparse_direction_NS_24const_host_device_scalarIT2_EEPKiS6_PKS3_S8_S4_PS3_21rocsparse_index_base_b.num_vgpr, 60
	.set _ZN9rocsparseL19gebsrmvn_2xn_kernelILj128ELj15ELj64EfEEvi20rocsparse_direction_NS_24const_host_device_scalarIT2_EEPKiS6_PKS3_S8_S4_PS3_21rocsparse_index_base_b.num_agpr, 0
	.set _ZN9rocsparseL19gebsrmvn_2xn_kernelILj128ELj15ELj64EfEEvi20rocsparse_direction_NS_24const_host_device_scalarIT2_EEPKiS6_PKS3_S8_S4_PS3_21rocsparse_index_base_b.numbered_sgpr, 20
	.set _ZN9rocsparseL19gebsrmvn_2xn_kernelILj128ELj15ELj64EfEEvi20rocsparse_direction_NS_24const_host_device_scalarIT2_EEPKiS6_PKS3_S8_S4_PS3_21rocsparse_index_base_b.num_named_barrier, 0
	.set _ZN9rocsparseL19gebsrmvn_2xn_kernelILj128ELj15ELj64EfEEvi20rocsparse_direction_NS_24const_host_device_scalarIT2_EEPKiS6_PKS3_S8_S4_PS3_21rocsparse_index_base_b.private_seg_size, 0
	.set _ZN9rocsparseL19gebsrmvn_2xn_kernelILj128ELj15ELj64EfEEvi20rocsparse_direction_NS_24const_host_device_scalarIT2_EEPKiS6_PKS3_S8_S4_PS3_21rocsparse_index_base_b.uses_vcc, 1
	.set _ZN9rocsparseL19gebsrmvn_2xn_kernelILj128ELj15ELj64EfEEvi20rocsparse_direction_NS_24const_host_device_scalarIT2_EEPKiS6_PKS3_S8_S4_PS3_21rocsparse_index_base_b.uses_flat_scratch, 0
	.set _ZN9rocsparseL19gebsrmvn_2xn_kernelILj128ELj15ELj64EfEEvi20rocsparse_direction_NS_24const_host_device_scalarIT2_EEPKiS6_PKS3_S8_S4_PS3_21rocsparse_index_base_b.has_dyn_sized_stack, 0
	.set _ZN9rocsparseL19gebsrmvn_2xn_kernelILj128ELj15ELj64EfEEvi20rocsparse_direction_NS_24const_host_device_scalarIT2_EEPKiS6_PKS3_S8_S4_PS3_21rocsparse_index_base_b.has_recursion, 0
	.set _ZN9rocsparseL19gebsrmvn_2xn_kernelILj128ELj15ELj64EfEEvi20rocsparse_direction_NS_24const_host_device_scalarIT2_EEPKiS6_PKS3_S8_S4_PS3_21rocsparse_index_base_b.has_indirect_call, 0
	.section	.AMDGPU.csdata,"",@progbits
; Kernel info:
; codeLenInByte = 4080
; TotalNumSgprs: 22
; NumVgprs: 60
; ScratchSize: 0
; MemoryBound: 0
; FloatMode: 240
; IeeeMode: 1
; LDSByteSize: 0 bytes/workgroup (compile time only)
; SGPRBlocks: 0
; VGPRBlocks: 7
; NumSGPRsForWavesPerEU: 22
; NumVGPRsForWavesPerEU: 60
; Occupancy: 16
; WaveLimiterHint : 1
; COMPUTE_PGM_RSRC2:SCRATCH_EN: 0
; COMPUTE_PGM_RSRC2:USER_SGPR: 6
; COMPUTE_PGM_RSRC2:TRAP_HANDLER: 0
; COMPUTE_PGM_RSRC2:TGID_X_EN: 1
; COMPUTE_PGM_RSRC2:TGID_Y_EN: 0
; COMPUTE_PGM_RSRC2:TGID_Z_EN: 0
; COMPUTE_PGM_RSRC2:TIDIG_COMP_CNT: 0
	.section	.text._ZN9rocsparseL19gebsrmvn_2xn_kernelILj128ELj16ELj4EfEEvi20rocsparse_direction_NS_24const_host_device_scalarIT2_EEPKiS6_PKS3_S8_S4_PS3_21rocsparse_index_base_b,"axG",@progbits,_ZN9rocsparseL19gebsrmvn_2xn_kernelILj128ELj16ELj4EfEEvi20rocsparse_direction_NS_24const_host_device_scalarIT2_EEPKiS6_PKS3_S8_S4_PS3_21rocsparse_index_base_b,comdat
	.globl	_ZN9rocsparseL19gebsrmvn_2xn_kernelILj128ELj16ELj4EfEEvi20rocsparse_direction_NS_24const_host_device_scalarIT2_EEPKiS6_PKS3_S8_S4_PS3_21rocsparse_index_base_b ; -- Begin function _ZN9rocsparseL19gebsrmvn_2xn_kernelILj128ELj16ELj4EfEEvi20rocsparse_direction_NS_24const_host_device_scalarIT2_EEPKiS6_PKS3_S8_S4_PS3_21rocsparse_index_base_b
	.p2align	8
	.type	_ZN9rocsparseL19gebsrmvn_2xn_kernelILj128ELj16ELj4EfEEvi20rocsparse_direction_NS_24const_host_device_scalarIT2_EEPKiS6_PKS3_S8_S4_PS3_21rocsparse_index_base_b,@function
_ZN9rocsparseL19gebsrmvn_2xn_kernelILj128ELj16ELj4EfEEvi20rocsparse_direction_NS_24const_host_device_scalarIT2_EEPKiS6_PKS3_S8_S4_PS3_21rocsparse_index_base_b: ; @_ZN9rocsparseL19gebsrmvn_2xn_kernelILj128ELj16ELj4EfEEvi20rocsparse_direction_NS_24const_host_device_scalarIT2_EEPKiS6_PKS3_S8_S4_PS3_21rocsparse_index_base_b
; %bb.0:
	s_clause 0x2
	s_load_dwordx2 s[18:19], s[4:5], 0x40
	s_load_dwordx2 s[16:17], s[4:5], 0x8
	;; [unrolled: 1-line block ×3, first 2 shown]
	s_waitcnt lgkmcnt(0)
	s_bitcmp1_b32 s19, 0
	s_cselect_b32 s0, -1, 0
	s_and_b32 vcc_lo, exec_lo, s0
	s_xor_b32 s0, s0, -1
	s_cbranch_vccnz .LBB70_2
; %bb.1:
	s_load_dword s16, s[16:17], 0x0
.LBB70_2:
	s_andn2_b32 vcc_lo, exec_lo, s0
	s_cbranch_vccnz .LBB70_4
; %bb.3:
	s_load_dword s2, s[2:3], 0x0
.LBB70_4:
	s_waitcnt lgkmcnt(0)
	v_cmp_eq_f32_e64 s0, s16, 0
	v_cmp_eq_f32_e64 s1, s2, 1.0
	s_and_b32 s0, s0, s1
	s_and_b32 vcc_lo, exec_lo, s0
	s_cbranch_vccnz .LBB70_23
; %bb.5:
	s_load_dwordx2 s[0:1], s[4:5], 0x0
	v_lshrrev_b32_e32 v1, 2, v0
	v_lshl_or_b32 v1, s6, 5, v1
	s_waitcnt lgkmcnt(0)
	v_cmp_gt_i32_e32 vcc_lo, s0, v1
	s_and_saveexec_b32 s0, vcc_lo
	s_cbranch_execz .LBB70_23
; %bb.6:
	s_load_dwordx8 s[8:15], s[4:5], 0x10
	v_ashrrev_i32_e32 v2, 31, v1
	v_and_b32_e32 v0, 3, v0
	s_cmp_lg_u32 s1, 0
	v_lshlrev_b64 v[2:3], 2, v[1:2]
	s_waitcnt lgkmcnt(0)
	v_add_co_u32 v2, vcc_lo, s8, v2
	v_add_co_ci_u32_e64 v3, null, s9, v3, vcc_lo
	global_load_dwordx2 v[2:3], v[2:3], off
	s_waitcnt vmcnt(0)
	v_subrev_nc_u32_e32 v2, s18, v2
	v_subrev_nc_u32_e32 v9, s18, v3
	v_add_nc_u32_e32 v2, v2, v0
	v_cmp_lt_i32_e64 s0, v2, v9
	s_cbranch_scc0 .LBB70_12
; %bb.7:
	v_mov_b32_e32 v7, 0
	v_mov_b32_e32 v8, 0
	s_and_saveexec_b32 s1, s0
	s_cbranch_execz .LBB70_11
; %bb.8:
	v_mov_b32_e32 v4, 0
	v_lshlrev_b32_e32 v3, 5, v2
	v_mov_b32_e32 v5, v2
	s_mov_b32 s3, 0
	v_mov_b32_e32 v7, v4
	v_mov_b32_e32 v8, v4
.LBB70_9:                               ; =>This Inner Loop Header: Depth=1
	v_ashrrev_i32_e32 v6, 31, v5
	v_mov_b32_e32 v13, v4
	v_lshlrev_b64 v[10:11], 2, v[5:6]
	v_add_nc_u32_e32 v5, 4, v5
	v_add_co_u32 v10, vcc_lo, s10, v10
	v_add_co_ci_u32_e64 v11, null, s11, v11, vcc_lo
	global_load_dword v6, v[10:11], off
	v_lshlrev_b64 v[10:11], 2, v[3:4]
	v_add_nc_u32_e32 v3, 0x80, v3
	v_add_co_u32 v54, vcc_lo, s12, v10
	v_add_co_ci_u32_e64 v55, null, s13, v11, vcc_lo
	s_waitcnt vmcnt(0)
	v_subrev_nc_u32_e32 v6, s18, v6
	v_lshlrev_b32_e32 v12, 4, v6
	v_lshlrev_b64 v[12:13], 2, v[12:13]
	v_add_co_u32 v46, vcc_lo, s14, v12
	v_add_co_ci_u32_e64 v47, null, s15, v13, vcc_lo
	v_cmp_ge_i32_e32 vcc_lo, v5, v9
	s_clause 0x1
	global_load_dwordx4 v[10:13], v[54:55], off offset:16
	global_load_dwordx4 v[14:17], v[54:55], off
	s_clause 0x1
	global_load_dwordx4 v[18:21], v[46:47], off
	global_load_dwordx4 v[22:25], v[46:47], off offset:16
	s_clause 0x3
	global_load_dwordx4 v[26:29], v[54:55], off offset:32
	global_load_dwordx4 v[30:33], v[54:55], off offset:48
	;; [unrolled: 1-line block ×4, first 2 shown]
	s_clause 0x1
	global_load_dwordx4 v[42:45], v[46:47], off offset:32
	global_load_dwordx4 v[46:49], v[46:47], off offset:48
	s_clause 0x1
	global_load_dwordx4 v[50:53], v[54:55], off offset:96
	global_load_dwordx4 v[54:57], v[54:55], off offset:112
	s_or_b32 s3, vcc_lo, s3
	s_waitcnt vmcnt(9)
	v_fmac_f32_e32 v7, v14, v18
	v_fmac_f32_e32 v8, v15, v18
	v_fmac_f32_e32 v7, v16, v19
	v_fmac_f32_e32 v8, v17, v19
	v_fmac_f32_e32 v7, v10, v20
	v_fmac_f32_e32 v8, v11, v20
	v_fmac_f32_e32 v7, v12, v21
	v_fmac_f32_e32 v8, v13, v21
	s_waitcnt vmcnt(7)
	v_fmac_f32_e32 v7, v26, v22
	v_fmac_f32_e32 v8, v27, v22
	v_fmac_f32_e32 v7, v28, v23
	v_fmac_f32_e32 v8, v29, v23
	s_waitcnt vmcnt(6)
	v_fmac_f32_e32 v7, v30, v24
	v_fmac_f32_e32 v8, v31, v24
	v_fmac_f32_e32 v7, v32, v25
	v_fmac_f32_e32 v8, v33, v25
	;; [unrolled: 5-line block ×3, first 2 shown]
	v_fmac_f32_e32 v7, v34, v44
	v_fmac_f32_e32 v8, v35, v44
	;; [unrolled: 1-line block ×4, first 2 shown]
	s_waitcnt vmcnt(1)
	v_fmac_f32_e32 v7, v50, v46
	v_fmac_f32_e32 v8, v51, v46
	v_fmac_f32_e32 v7, v52, v47
	v_fmac_f32_e32 v8, v53, v47
	s_waitcnt vmcnt(0)
	v_fmac_f32_e32 v7, v54, v48
	v_fmac_f32_e32 v8, v55, v48
	;; [unrolled: 1-line block ×4, first 2 shown]
	s_andn2_b32 exec_lo, exec_lo, s3
	s_cbranch_execnz .LBB70_9
; %bb.10:
	s_or_b32 exec_lo, exec_lo, s3
.LBB70_11:
	s_or_b32 exec_lo, exec_lo, s1
	s_cbranch_execz .LBB70_13
	s_branch .LBB70_18
.LBB70_12:
                                        ; implicit-def: $vgpr7
                                        ; implicit-def: $vgpr8
.LBB70_13:
	v_mov_b32_e32 v7, 0
	v_mov_b32_e32 v8, 0
	s_and_saveexec_b32 s1, s0
	s_cbranch_execz .LBB70_17
; %bb.14:
	v_mov_b32_e32 v5, 0
	v_lshlrev_b32_e32 v4, 5, v2
	s_mov_b32 s0, 0
	v_mov_b32_e32 v7, v5
	v_mov_b32_e32 v8, v5
.LBB70_15:                              ; =>This Inner Loop Header: Depth=1
	v_ashrrev_i32_e32 v3, 31, v2
	v_mov_b32_e32 v13, v5
	v_lshlrev_b64 v[10:11], 2, v[2:3]
	v_add_nc_u32_e32 v2, 4, v2
	v_add_co_u32 v10, vcc_lo, s10, v10
	v_add_co_ci_u32_e64 v11, null, s11, v11, vcc_lo
	global_load_dword v3, v[10:11], off
	v_lshlrev_b64 v[10:11], 2, v[4:5]
	v_add_nc_u32_e32 v4, 0x80, v4
	v_add_co_u32 v46, vcc_lo, s12, v10
	v_add_co_ci_u32_e64 v47, null, s13, v11, vcc_lo
	s_waitcnt vmcnt(0)
	v_subrev_nc_u32_e32 v3, s18, v3
	v_lshlrev_b32_e32 v12, 4, v3
	v_lshlrev_b64 v[14:15], 2, v[12:13]
	global_load_dwordx4 v[10:13], v[46:47], off offset:16
	v_add_co_u32 v54, vcc_lo, s14, v14
	v_add_co_ci_u32_e64 v55, null, s15, v15, vcc_lo
	s_clause 0x2
	global_load_dwordx4 v[14:17], v[46:47], off
	global_load_dwordx4 v[18:21], v[46:47], off offset:80
	global_load_dwordx4 v[22:25], v[46:47], off offset:64
	s_clause 0x1
	global_load_dwordx4 v[26:29], v[54:55], off
	global_load_dwordx4 v[30:33], v[54:55], off offset:16
	s_clause 0x3
	global_load_dwordx4 v[34:37], v[46:47], off offset:48
	global_load_dwordx4 v[38:41], v[46:47], off offset:32
	;; [unrolled: 1-line block ×4, first 2 shown]
	s_clause 0x1
	global_load_dwordx4 v[50:53], v[54:55], off offset:32
	global_load_dwordx4 v[54:57], v[54:55], off offset:48
	v_cmp_ge_i32_e32 vcc_lo, v2, v9
	s_or_b32 s0, vcc_lo, s0
	s_waitcnt vmcnt(7)
	v_fmac_f32_e32 v7, v14, v26
	v_fmac_f32_e32 v8, v22, v26
	v_fmac_f32_e32 v7, v15, v27
	v_fmac_f32_e32 v8, v23, v27
	v_fmac_f32_e32 v7, v16, v28
	v_fmac_f32_e32 v8, v24, v28
	v_fmac_f32_e32 v7, v17, v29
	v_fmac_f32_e32 v8, v25, v29
	s_waitcnt vmcnt(6)
	v_fmac_f32_e32 v7, v10, v30
	v_fmac_f32_e32 v8, v18, v30
	v_fmac_f32_e32 v7, v11, v31
	v_fmac_f32_e32 v8, v19, v31
	v_fmac_f32_e32 v7, v12, v32
	v_fmac_f32_e32 v8, v20, v32
	v_fmac_f32_e32 v7, v13, v33
	v_fmac_f32_e32 v8, v21, v33
	;; [unrolled: 9-line block ×4, first 2 shown]
	s_andn2_b32 exec_lo, exec_lo, s0
	s_cbranch_execnz .LBB70_15
; %bb.16:
	s_or_b32 exec_lo, exec_lo, s0
.LBB70_17:
	s_or_b32 exec_lo, exec_lo, s1
.LBB70_18:
	v_mbcnt_lo_u32_b32 v2, -1, 0
	s_mov_b32 s3, -1
	v_xor_b32_e32 v3, 2, v2
	v_xor_b32_e32 v5, 1, v2
	v_cmp_gt_i32_e32 vcc_lo, 32, v3
	v_cndmask_b32_e32 v3, v2, v3, vcc_lo
	v_cmp_gt_i32_e32 vcc_lo, 32, v5
	v_lshlrev_b32_e32 v3, 2, v3
	v_cndmask_b32_e32 v2, v2, v5, vcc_lo
	v_cmp_eq_u32_e32 vcc_lo, 3, v0
	ds_bpermute_b32 v4, v3, v7
	ds_bpermute_b32 v3, v3, v8
	v_lshlrev_b32_e32 v5, 2, v2
	s_waitcnt lgkmcnt(1)
	v_add_f32_e32 v2, v7, v4
	s_waitcnt lgkmcnt(0)
	v_add_f32_e32 v3, v8, v3
	ds_bpermute_b32 v4, v5, v2
	ds_bpermute_b32 v5, v5, v3
	s_and_b32 exec_lo, exec_lo, vcc_lo
	s_cbranch_execz .LBB70_23
; %bb.19:
	s_load_dwordx2 s[0:1], s[4:5], 0x38
	s_waitcnt lgkmcnt(0)
	v_add_f32_e32 v0, v2, v4
	v_add_f32_e32 v3, v3, v5
	v_cmp_eq_f32_e64 s4, s2, 0
	v_mul_f32_e32 v2, s16, v0
	v_mul_f32_e32 v3, s16, v3
	v_lshlrev_b32_e32 v0, 1, v1
	s_and_b32 vcc_lo, exec_lo, s4
	s_cbranch_vccz .LBB70_21
; %bb.20:
	v_ashrrev_i32_e32 v1, 31, v0
	s_mov_b32 s3, 0
	v_lshlrev_b64 v[4:5], 2, v[0:1]
	v_add_co_u32 v4, vcc_lo, s0, v4
	v_add_co_ci_u32_e64 v5, null, s1, v5, vcc_lo
	global_store_dwordx2 v[4:5], v[2:3], off
.LBB70_21:
	s_andn2_b32 vcc_lo, exec_lo, s3
	s_cbranch_vccnz .LBB70_23
; %bb.22:
	v_ashrrev_i32_e32 v1, 31, v0
	v_lshlrev_b64 v[0:1], 2, v[0:1]
	v_add_co_u32 v0, vcc_lo, s0, v0
	v_add_co_ci_u32_e64 v1, null, s1, v1, vcc_lo
	global_load_dwordx2 v[4:5], v[0:1], off
	s_waitcnt vmcnt(0)
	v_fmac_f32_e32 v2, s2, v4
	v_fmac_f32_e32 v3, s2, v5
	global_store_dwordx2 v[0:1], v[2:3], off
.LBB70_23:
	s_endpgm
	.section	.rodata,"a",@progbits
	.p2align	6, 0x0
	.amdhsa_kernel _ZN9rocsparseL19gebsrmvn_2xn_kernelILj128ELj16ELj4EfEEvi20rocsparse_direction_NS_24const_host_device_scalarIT2_EEPKiS6_PKS3_S8_S4_PS3_21rocsparse_index_base_b
		.amdhsa_group_segment_fixed_size 0
		.amdhsa_private_segment_fixed_size 0
		.amdhsa_kernarg_size 72
		.amdhsa_user_sgpr_count 6
		.amdhsa_user_sgpr_private_segment_buffer 1
		.amdhsa_user_sgpr_dispatch_ptr 0
		.amdhsa_user_sgpr_queue_ptr 0
		.amdhsa_user_sgpr_kernarg_segment_ptr 1
		.amdhsa_user_sgpr_dispatch_id 0
		.amdhsa_user_sgpr_flat_scratch_init 0
		.amdhsa_user_sgpr_private_segment_size 0
		.amdhsa_wavefront_size32 1
		.amdhsa_uses_dynamic_stack 0
		.amdhsa_system_sgpr_private_segment_wavefront_offset 0
		.amdhsa_system_sgpr_workgroup_id_x 1
		.amdhsa_system_sgpr_workgroup_id_y 0
		.amdhsa_system_sgpr_workgroup_id_z 0
		.amdhsa_system_sgpr_workgroup_info 0
		.amdhsa_system_vgpr_workitem_id 0
		.amdhsa_next_free_vgpr 58
		.amdhsa_next_free_sgpr 20
		.amdhsa_reserve_vcc 1
		.amdhsa_reserve_flat_scratch 0
		.amdhsa_float_round_mode_32 0
		.amdhsa_float_round_mode_16_64 0
		.amdhsa_float_denorm_mode_32 3
		.amdhsa_float_denorm_mode_16_64 3
		.amdhsa_dx10_clamp 1
		.amdhsa_ieee_mode 1
		.amdhsa_fp16_overflow 0
		.amdhsa_workgroup_processor_mode 1
		.amdhsa_memory_ordered 1
		.amdhsa_forward_progress 1
		.amdhsa_shared_vgpr_count 0
		.amdhsa_exception_fp_ieee_invalid_op 0
		.amdhsa_exception_fp_denorm_src 0
		.amdhsa_exception_fp_ieee_div_zero 0
		.amdhsa_exception_fp_ieee_overflow 0
		.amdhsa_exception_fp_ieee_underflow 0
		.amdhsa_exception_fp_ieee_inexact 0
		.amdhsa_exception_int_div_zero 0
	.end_amdhsa_kernel
	.section	.text._ZN9rocsparseL19gebsrmvn_2xn_kernelILj128ELj16ELj4EfEEvi20rocsparse_direction_NS_24const_host_device_scalarIT2_EEPKiS6_PKS3_S8_S4_PS3_21rocsparse_index_base_b,"axG",@progbits,_ZN9rocsparseL19gebsrmvn_2xn_kernelILj128ELj16ELj4EfEEvi20rocsparse_direction_NS_24const_host_device_scalarIT2_EEPKiS6_PKS3_S8_S4_PS3_21rocsparse_index_base_b,comdat
.Lfunc_end70:
	.size	_ZN9rocsparseL19gebsrmvn_2xn_kernelILj128ELj16ELj4EfEEvi20rocsparse_direction_NS_24const_host_device_scalarIT2_EEPKiS6_PKS3_S8_S4_PS3_21rocsparse_index_base_b, .Lfunc_end70-_ZN9rocsparseL19gebsrmvn_2xn_kernelILj128ELj16ELj4EfEEvi20rocsparse_direction_NS_24const_host_device_scalarIT2_EEPKiS6_PKS3_S8_S4_PS3_21rocsparse_index_base_b
                                        ; -- End function
	.set _ZN9rocsparseL19gebsrmvn_2xn_kernelILj128ELj16ELj4EfEEvi20rocsparse_direction_NS_24const_host_device_scalarIT2_EEPKiS6_PKS3_S8_S4_PS3_21rocsparse_index_base_b.num_vgpr, 58
	.set _ZN9rocsparseL19gebsrmvn_2xn_kernelILj128ELj16ELj4EfEEvi20rocsparse_direction_NS_24const_host_device_scalarIT2_EEPKiS6_PKS3_S8_S4_PS3_21rocsparse_index_base_b.num_agpr, 0
	.set _ZN9rocsparseL19gebsrmvn_2xn_kernelILj128ELj16ELj4EfEEvi20rocsparse_direction_NS_24const_host_device_scalarIT2_EEPKiS6_PKS3_S8_S4_PS3_21rocsparse_index_base_b.numbered_sgpr, 20
	.set _ZN9rocsparseL19gebsrmvn_2xn_kernelILj128ELj16ELj4EfEEvi20rocsparse_direction_NS_24const_host_device_scalarIT2_EEPKiS6_PKS3_S8_S4_PS3_21rocsparse_index_base_b.num_named_barrier, 0
	.set _ZN9rocsparseL19gebsrmvn_2xn_kernelILj128ELj16ELj4EfEEvi20rocsparse_direction_NS_24const_host_device_scalarIT2_EEPKiS6_PKS3_S8_S4_PS3_21rocsparse_index_base_b.private_seg_size, 0
	.set _ZN9rocsparseL19gebsrmvn_2xn_kernelILj128ELj16ELj4EfEEvi20rocsparse_direction_NS_24const_host_device_scalarIT2_EEPKiS6_PKS3_S8_S4_PS3_21rocsparse_index_base_b.uses_vcc, 1
	.set _ZN9rocsparseL19gebsrmvn_2xn_kernelILj128ELj16ELj4EfEEvi20rocsparse_direction_NS_24const_host_device_scalarIT2_EEPKiS6_PKS3_S8_S4_PS3_21rocsparse_index_base_b.uses_flat_scratch, 0
	.set _ZN9rocsparseL19gebsrmvn_2xn_kernelILj128ELj16ELj4EfEEvi20rocsparse_direction_NS_24const_host_device_scalarIT2_EEPKiS6_PKS3_S8_S4_PS3_21rocsparse_index_base_b.has_dyn_sized_stack, 0
	.set _ZN9rocsparseL19gebsrmvn_2xn_kernelILj128ELj16ELj4EfEEvi20rocsparse_direction_NS_24const_host_device_scalarIT2_EEPKiS6_PKS3_S8_S4_PS3_21rocsparse_index_base_b.has_recursion, 0
	.set _ZN9rocsparseL19gebsrmvn_2xn_kernelILj128ELj16ELj4EfEEvi20rocsparse_direction_NS_24const_host_device_scalarIT2_EEPKiS6_PKS3_S8_S4_PS3_21rocsparse_index_base_b.has_indirect_call, 0
	.section	.AMDGPU.csdata,"",@progbits
; Kernel info:
; codeLenInByte = 1368
; TotalNumSgprs: 22
; NumVgprs: 58
; ScratchSize: 0
; MemoryBound: 0
; FloatMode: 240
; IeeeMode: 1
; LDSByteSize: 0 bytes/workgroup (compile time only)
; SGPRBlocks: 0
; VGPRBlocks: 7
; NumSGPRsForWavesPerEU: 22
; NumVGPRsForWavesPerEU: 58
; Occupancy: 16
; WaveLimiterHint : 1
; COMPUTE_PGM_RSRC2:SCRATCH_EN: 0
; COMPUTE_PGM_RSRC2:USER_SGPR: 6
; COMPUTE_PGM_RSRC2:TRAP_HANDLER: 0
; COMPUTE_PGM_RSRC2:TGID_X_EN: 1
; COMPUTE_PGM_RSRC2:TGID_Y_EN: 0
; COMPUTE_PGM_RSRC2:TGID_Z_EN: 0
; COMPUTE_PGM_RSRC2:TIDIG_COMP_CNT: 0
	.section	.text._ZN9rocsparseL19gebsrmvn_2xn_kernelILj128ELj16ELj8EfEEvi20rocsparse_direction_NS_24const_host_device_scalarIT2_EEPKiS6_PKS3_S8_S4_PS3_21rocsparse_index_base_b,"axG",@progbits,_ZN9rocsparseL19gebsrmvn_2xn_kernelILj128ELj16ELj8EfEEvi20rocsparse_direction_NS_24const_host_device_scalarIT2_EEPKiS6_PKS3_S8_S4_PS3_21rocsparse_index_base_b,comdat
	.globl	_ZN9rocsparseL19gebsrmvn_2xn_kernelILj128ELj16ELj8EfEEvi20rocsparse_direction_NS_24const_host_device_scalarIT2_EEPKiS6_PKS3_S8_S4_PS3_21rocsparse_index_base_b ; -- Begin function _ZN9rocsparseL19gebsrmvn_2xn_kernelILj128ELj16ELj8EfEEvi20rocsparse_direction_NS_24const_host_device_scalarIT2_EEPKiS6_PKS3_S8_S4_PS3_21rocsparse_index_base_b
	.p2align	8
	.type	_ZN9rocsparseL19gebsrmvn_2xn_kernelILj128ELj16ELj8EfEEvi20rocsparse_direction_NS_24const_host_device_scalarIT2_EEPKiS6_PKS3_S8_S4_PS3_21rocsparse_index_base_b,@function
_ZN9rocsparseL19gebsrmvn_2xn_kernelILj128ELj16ELj8EfEEvi20rocsparse_direction_NS_24const_host_device_scalarIT2_EEPKiS6_PKS3_S8_S4_PS3_21rocsparse_index_base_b: ; @_ZN9rocsparseL19gebsrmvn_2xn_kernelILj128ELj16ELj8EfEEvi20rocsparse_direction_NS_24const_host_device_scalarIT2_EEPKiS6_PKS3_S8_S4_PS3_21rocsparse_index_base_b
; %bb.0:
	s_clause 0x2
	s_load_dwordx2 s[18:19], s[4:5], 0x40
	s_load_dwordx2 s[16:17], s[4:5], 0x8
	;; [unrolled: 1-line block ×3, first 2 shown]
	s_waitcnt lgkmcnt(0)
	s_bitcmp1_b32 s19, 0
	s_cselect_b32 s0, -1, 0
	s_and_b32 vcc_lo, exec_lo, s0
	s_xor_b32 s0, s0, -1
	s_cbranch_vccnz .LBB71_2
; %bb.1:
	s_load_dword s16, s[16:17], 0x0
.LBB71_2:
	s_andn2_b32 vcc_lo, exec_lo, s0
	s_cbranch_vccnz .LBB71_4
; %bb.3:
	s_load_dword s2, s[2:3], 0x0
.LBB71_4:
	s_waitcnt lgkmcnt(0)
	v_cmp_eq_f32_e64 s0, s16, 0
	v_cmp_eq_f32_e64 s1, s2, 1.0
	s_and_b32 s0, s0, s1
	s_and_b32 vcc_lo, exec_lo, s0
	s_cbranch_vccnz .LBB71_23
; %bb.5:
	s_load_dwordx2 s[0:1], s[4:5], 0x0
	v_lshrrev_b32_e32 v1, 3, v0
	v_lshl_or_b32 v1, s6, 4, v1
	s_waitcnt lgkmcnt(0)
	v_cmp_gt_i32_e32 vcc_lo, s0, v1
	s_and_saveexec_b32 s0, vcc_lo
	s_cbranch_execz .LBB71_23
; %bb.6:
	s_load_dwordx8 s[8:15], s[4:5], 0x10
	v_ashrrev_i32_e32 v2, 31, v1
	v_and_b32_e32 v0, 7, v0
	s_cmp_lg_u32 s1, 0
	v_lshlrev_b64 v[2:3], 2, v[1:2]
	s_waitcnt lgkmcnt(0)
	v_add_co_u32 v2, vcc_lo, s8, v2
	v_add_co_ci_u32_e64 v3, null, s9, v3, vcc_lo
	global_load_dwordx2 v[2:3], v[2:3], off
	s_waitcnt vmcnt(0)
	v_subrev_nc_u32_e32 v2, s18, v2
	v_subrev_nc_u32_e32 v9, s18, v3
	v_add_nc_u32_e32 v2, v2, v0
	v_cmp_lt_i32_e64 s0, v2, v9
	s_cbranch_scc0 .LBB71_12
; %bb.7:
	v_mov_b32_e32 v7, 0
	v_mov_b32_e32 v8, 0
	s_and_saveexec_b32 s1, s0
	s_cbranch_execz .LBB71_11
; %bb.8:
	v_mov_b32_e32 v4, 0
	v_lshlrev_b32_e32 v3, 5, v2
	v_mov_b32_e32 v5, v2
	s_mov_b32 s3, 0
	v_mov_b32_e32 v7, v4
	v_mov_b32_e32 v8, v4
.LBB71_9:                               ; =>This Inner Loop Header: Depth=1
	v_ashrrev_i32_e32 v6, 31, v5
	v_mov_b32_e32 v13, v4
	v_lshlrev_b64 v[10:11], 2, v[5:6]
	v_add_nc_u32_e32 v5, 8, v5
	v_add_co_u32 v10, vcc_lo, s10, v10
	v_add_co_ci_u32_e64 v11, null, s11, v11, vcc_lo
	global_load_dword v6, v[10:11], off
	v_lshlrev_b64 v[10:11], 2, v[3:4]
	v_add_nc_u32_e32 v3, 0x100, v3
	v_add_co_u32 v54, vcc_lo, s12, v10
	v_add_co_ci_u32_e64 v55, null, s13, v11, vcc_lo
	s_waitcnt vmcnt(0)
	v_subrev_nc_u32_e32 v6, s18, v6
	v_lshlrev_b32_e32 v12, 4, v6
	v_lshlrev_b64 v[12:13], 2, v[12:13]
	v_add_co_u32 v46, vcc_lo, s14, v12
	v_add_co_ci_u32_e64 v47, null, s15, v13, vcc_lo
	v_cmp_ge_i32_e32 vcc_lo, v5, v9
	s_clause 0x1
	global_load_dwordx4 v[10:13], v[54:55], off offset:16
	global_load_dwordx4 v[14:17], v[54:55], off
	s_clause 0x1
	global_load_dwordx4 v[18:21], v[46:47], off
	global_load_dwordx4 v[22:25], v[46:47], off offset:16
	s_clause 0x3
	global_load_dwordx4 v[26:29], v[54:55], off offset:32
	global_load_dwordx4 v[30:33], v[54:55], off offset:48
	;; [unrolled: 1-line block ×4, first 2 shown]
	s_clause 0x1
	global_load_dwordx4 v[42:45], v[46:47], off offset:32
	global_load_dwordx4 v[46:49], v[46:47], off offset:48
	s_clause 0x1
	global_load_dwordx4 v[50:53], v[54:55], off offset:96
	global_load_dwordx4 v[54:57], v[54:55], off offset:112
	s_or_b32 s3, vcc_lo, s3
	s_waitcnt vmcnt(9)
	v_fmac_f32_e32 v7, v14, v18
	v_fmac_f32_e32 v8, v15, v18
	;; [unrolled: 1-line block ×8, first 2 shown]
	s_waitcnt vmcnt(7)
	v_fmac_f32_e32 v7, v26, v22
	v_fmac_f32_e32 v8, v27, v22
	v_fmac_f32_e32 v7, v28, v23
	v_fmac_f32_e32 v8, v29, v23
	s_waitcnt vmcnt(6)
	v_fmac_f32_e32 v7, v30, v24
	v_fmac_f32_e32 v8, v31, v24
	v_fmac_f32_e32 v7, v32, v25
	v_fmac_f32_e32 v8, v33, v25
	;; [unrolled: 5-line block ×3, first 2 shown]
	v_fmac_f32_e32 v7, v34, v44
	v_fmac_f32_e32 v8, v35, v44
	;; [unrolled: 1-line block ×4, first 2 shown]
	s_waitcnt vmcnt(1)
	v_fmac_f32_e32 v7, v50, v46
	v_fmac_f32_e32 v8, v51, v46
	;; [unrolled: 1-line block ×4, first 2 shown]
	s_waitcnt vmcnt(0)
	v_fmac_f32_e32 v7, v54, v48
	v_fmac_f32_e32 v8, v55, v48
	;; [unrolled: 1-line block ×4, first 2 shown]
	s_andn2_b32 exec_lo, exec_lo, s3
	s_cbranch_execnz .LBB71_9
; %bb.10:
	s_or_b32 exec_lo, exec_lo, s3
.LBB71_11:
	s_or_b32 exec_lo, exec_lo, s1
	s_cbranch_execz .LBB71_13
	s_branch .LBB71_18
.LBB71_12:
                                        ; implicit-def: $vgpr7
                                        ; implicit-def: $vgpr8
.LBB71_13:
	v_mov_b32_e32 v7, 0
	v_mov_b32_e32 v8, 0
	s_and_saveexec_b32 s1, s0
	s_cbranch_execz .LBB71_17
; %bb.14:
	v_mov_b32_e32 v5, 0
	v_lshlrev_b32_e32 v4, 5, v2
	s_mov_b32 s0, 0
	v_mov_b32_e32 v7, v5
	v_mov_b32_e32 v8, v5
.LBB71_15:                              ; =>This Inner Loop Header: Depth=1
	v_ashrrev_i32_e32 v3, 31, v2
	v_mov_b32_e32 v13, v5
	v_lshlrev_b64 v[10:11], 2, v[2:3]
	v_add_nc_u32_e32 v2, 8, v2
	v_add_co_u32 v10, vcc_lo, s10, v10
	v_add_co_ci_u32_e64 v11, null, s11, v11, vcc_lo
	global_load_dword v3, v[10:11], off
	v_lshlrev_b64 v[10:11], 2, v[4:5]
	v_add_nc_u32_e32 v4, 0x100, v4
	v_add_co_u32 v46, vcc_lo, s12, v10
	v_add_co_ci_u32_e64 v47, null, s13, v11, vcc_lo
	s_waitcnt vmcnt(0)
	v_subrev_nc_u32_e32 v3, s18, v3
	v_lshlrev_b32_e32 v12, 4, v3
	v_lshlrev_b64 v[14:15], 2, v[12:13]
	global_load_dwordx4 v[10:13], v[46:47], off offset:16
	v_add_co_u32 v54, vcc_lo, s14, v14
	v_add_co_ci_u32_e64 v55, null, s15, v15, vcc_lo
	s_clause 0x2
	global_load_dwordx4 v[14:17], v[46:47], off
	global_load_dwordx4 v[18:21], v[46:47], off offset:80
	global_load_dwordx4 v[22:25], v[46:47], off offset:64
	s_clause 0x1
	global_load_dwordx4 v[26:29], v[54:55], off
	global_load_dwordx4 v[30:33], v[54:55], off offset:16
	s_clause 0x3
	global_load_dwordx4 v[34:37], v[46:47], off offset:48
	global_load_dwordx4 v[38:41], v[46:47], off offset:32
	;; [unrolled: 1-line block ×4, first 2 shown]
	s_clause 0x1
	global_load_dwordx4 v[50:53], v[54:55], off offset:32
	global_load_dwordx4 v[54:57], v[54:55], off offset:48
	v_cmp_ge_i32_e32 vcc_lo, v2, v9
	s_or_b32 s0, vcc_lo, s0
	s_waitcnt vmcnt(7)
	v_fmac_f32_e32 v7, v14, v26
	v_fmac_f32_e32 v8, v22, v26
	v_fmac_f32_e32 v7, v15, v27
	v_fmac_f32_e32 v8, v23, v27
	v_fmac_f32_e32 v7, v16, v28
	v_fmac_f32_e32 v8, v24, v28
	v_fmac_f32_e32 v7, v17, v29
	v_fmac_f32_e32 v8, v25, v29
	s_waitcnt vmcnt(6)
	v_fmac_f32_e32 v7, v10, v30
	v_fmac_f32_e32 v8, v18, v30
	v_fmac_f32_e32 v7, v11, v31
	v_fmac_f32_e32 v8, v19, v31
	v_fmac_f32_e32 v7, v12, v32
	v_fmac_f32_e32 v8, v20, v32
	v_fmac_f32_e32 v7, v13, v33
	v_fmac_f32_e32 v8, v21, v33
	;; [unrolled: 9-line block ×4, first 2 shown]
	s_andn2_b32 exec_lo, exec_lo, s0
	s_cbranch_execnz .LBB71_15
; %bb.16:
	s_or_b32 exec_lo, exec_lo, s0
.LBB71_17:
	s_or_b32 exec_lo, exec_lo, s1
.LBB71_18:
	v_mbcnt_lo_u32_b32 v2, -1, 0
	s_mov_b32 s3, -1
	v_xor_b32_e32 v3, 4, v2
	v_xor_b32_e32 v5, 2, v2
	v_cmp_gt_i32_e32 vcc_lo, 32, v3
	v_cndmask_b32_e32 v3, v2, v3, vcc_lo
	v_cmp_gt_i32_e32 vcc_lo, 32, v5
	v_lshlrev_b32_e32 v3, 2, v3
	v_cndmask_b32_e32 v5, v2, v5, vcc_lo
	ds_bpermute_b32 v4, v3, v7
	ds_bpermute_b32 v3, v3, v8
	v_lshlrev_b32_e32 v5, 2, v5
	s_waitcnt lgkmcnt(1)
	v_add_f32_e32 v4, v7, v4
	s_waitcnt lgkmcnt(0)
	v_add_f32_e32 v3, v8, v3
	v_xor_b32_e32 v7, 1, v2
	ds_bpermute_b32 v6, v5, v4
	ds_bpermute_b32 v5, v5, v3
	v_cmp_gt_i32_e32 vcc_lo, 32, v7
	v_cndmask_b32_e32 v2, v2, v7, vcc_lo
	v_cmp_eq_u32_e32 vcc_lo, 7, v0
	v_lshlrev_b32_e32 v7, 2, v2
	s_waitcnt lgkmcnt(1)
	v_add_f32_e32 v2, v4, v6
	s_waitcnt lgkmcnt(0)
	v_add_f32_e32 v3, v3, v5
	ds_bpermute_b32 v4, v7, v2
	ds_bpermute_b32 v5, v7, v3
	s_and_b32 exec_lo, exec_lo, vcc_lo
	s_cbranch_execz .LBB71_23
; %bb.19:
	s_load_dwordx2 s[0:1], s[4:5], 0x38
	s_waitcnt lgkmcnt(0)
	v_add_f32_e32 v0, v2, v4
	v_add_f32_e32 v3, v3, v5
	v_cmp_eq_f32_e64 s4, s2, 0
	v_mul_f32_e32 v2, s16, v0
	v_mul_f32_e32 v3, s16, v3
	v_lshlrev_b32_e32 v0, 1, v1
	s_and_b32 vcc_lo, exec_lo, s4
	s_cbranch_vccz .LBB71_21
; %bb.20:
	v_ashrrev_i32_e32 v1, 31, v0
	s_mov_b32 s3, 0
	v_lshlrev_b64 v[4:5], 2, v[0:1]
	v_add_co_u32 v4, vcc_lo, s0, v4
	v_add_co_ci_u32_e64 v5, null, s1, v5, vcc_lo
	global_store_dwordx2 v[4:5], v[2:3], off
.LBB71_21:
	s_andn2_b32 vcc_lo, exec_lo, s3
	s_cbranch_vccnz .LBB71_23
; %bb.22:
	v_ashrrev_i32_e32 v1, 31, v0
	v_lshlrev_b64 v[0:1], 2, v[0:1]
	v_add_co_u32 v0, vcc_lo, s0, v0
	v_add_co_ci_u32_e64 v1, null, s1, v1, vcc_lo
	global_load_dwordx2 v[4:5], v[0:1], off
	s_waitcnt vmcnt(0)
	v_fmac_f32_e32 v2, s2, v4
	v_fmac_f32_e32 v3, s2, v5
	global_store_dwordx2 v[0:1], v[2:3], off
.LBB71_23:
	s_endpgm
	.section	.rodata,"a",@progbits
	.p2align	6, 0x0
	.amdhsa_kernel _ZN9rocsparseL19gebsrmvn_2xn_kernelILj128ELj16ELj8EfEEvi20rocsparse_direction_NS_24const_host_device_scalarIT2_EEPKiS6_PKS3_S8_S4_PS3_21rocsparse_index_base_b
		.amdhsa_group_segment_fixed_size 0
		.amdhsa_private_segment_fixed_size 0
		.amdhsa_kernarg_size 72
		.amdhsa_user_sgpr_count 6
		.amdhsa_user_sgpr_private_segment_buffer 1
		.amdhsa_user_sgpr_dispatch_ptr 0
		.amdhsa_user_sgpr_queue_ptr 0
		.amdhsa_user_sgpr_kernarg_segment_ptr 1
		.amdhsa_user_sgpr_dispatch_id 0
		.amdhsa_user_sgpr_flat_scratch_init 0
		.amdhsa_user_sgpr_private_segment_size 0
		.amdhsa_wavefront_size32 1
		.amdhsa_uses_dynamic_stack 0
		.amdhsa_system_sgpr_private_segment_wavefront_offset 0
		.amdhsa_system_sgpr_workgroup_id_x 1
		.amdhsa_system_sgpr_workgroup_id_y 0
		.amdhsa_system_sgpr_workgroup_id_z 0
		.amdhsa_system_sgpr_workgroup_info 0
		.amdhsa_system_vgpr_workitem_id 0
		.amdhsa_next_free_vgpr 58
		.amdhsa_next_free_sgpr 20
		.amdhsa_reserve_vcc 1
		.amdhsa_reserve_flat_scratch 0
		.amdhsa_float_round_mode_32 0
		.amdhsa_float_round_mode_16_64 0
		.amdhsa_float_denorm_mode_32 3
		.amdhsa_float_denorm_mode_16_64 3
		.amdhsa_dx10_clamp 1
		.amdhsa_ieee_mode 1
		.amdhsa_fp16_overflow 0
		.amdhsa_workgroup_processor_mode 1
		.amdhsa_memory_ordered 1
		.amdhsa_forward_progress 1
		.amdhsa_shared_vgpr_count 0
		.amdhsa_exception_fp_ieee_invalid_op 0
		.amdhsa_exception_fp_denorm_src 0
		.amdhsa_exception_fp_ieee_div_zero 0
		.amdhsa_exception_fp_ieee_overflow 0
		.amdhsa_exception_fp_ieee_underflow 0
		.amdhsa_exception_fp_ieee_inexact 0
		.amdhsa_exception_int_div_zero 0
	.end_amdhsa_kernel
	.section	.text._ZN9rocsparseL19gebsrmvn_2xn_kernelILj128ELj16ELj8EfEEvi20rocsparse_direction_NS_24const_host_device_scalarIT2_EEPKiS6_PKS3_S8_S4_PS3_21rocsparse_index_base_b,"axG",@progbits,_ZN9rocsparseL19gebsrmvn_2xn_kernelILj128ELj16ELj8EfEEvi20rocsparse_direction_NS_24const_host_device_scalarIT2_EEPKiS6_PKS3_S8_S4_PS3_21rocsparse_index_base_b,comdat
.Lfunc_end71:
	.size	_ZN9rocsparseL19gebsrmvn_2xn_kernelILj128ELj16ELj8EfEEvi20rocsparse_direction_NS_24const_host_device_scalarIT2_EEPKiS6_PKS3_S8_S4_PS3_21rocsparse_index_base_b, .Lfunc_end71-_ZN9rocsparseL19gebsrmvn_2xn_kernelILj128ELj16ELj8EfEEvi20rocsparse_direction_NS_24const_host_device_scalarIT2_EEPKiS6_PKS3_S8_S4_PS3_21rocsparse_index_base_b
                                        ; -- End function
	.set _ZN9rocsparseL19gebsrmvn_2xn_kernelILj128ELj16ELj8EfEEvi20rocsparse_direction_NS_24const_host_device_scalarIT2_EEPKiS6_PKS3_S8_S4_PS3_21rocsparse_index_base_b.num_vgpr, 58
	.set _ZN9rocsparseL19gebsrmvn_2xn_kernelILj128ELj16ELj8EfEEvi20rocsparse_direction_NS_24const_host_device_scalarIT2_EEPKiS6_PKS3_S8_S4_PS3_21rocsparse_index_base_b.num_agpr, 0
	.set _ZN9rocsparseL19gebsrmvn_2xn_kernelILj128ELj16ELj8EfEEvi20rocsparse_direction_NS_24const_host_device_scalarIT2_EEPKiS6_PKS3_S8_S4_PS3_21rocsparse_index_base_b.numbered_sgpr, 20
	.set _ZN9rocsparseL19gebsrmvn_2xn_kernelILj128ELj16ELj8EfEEvi20rocsparse_direction_NS_24const_host_device_scalarIT2_EEPKiS6_PKS3_S8_S4_PS3_21rocsparse_index_base_b.num_named_barrier, 0
	.set _ZN9rocsparseL19gebsrmvn_2xn_kernelILj128ELj16ELj8EfEEvi20rocsparse_direction_NS_24const_host_device_scalarIT2_EEPKiS6_PKS3_S8_S4_PS3_21rocsparse_index_base_b.private_seg_size, 0
	.set _ZN9rocsparseL19gebsrmvn_2xn_kernelILj128ELj16ELj8EfEEvi20rocsparse_direction_NS_24const_host_device_scalarIT2_EEPKiS6_PKS3_S8_S4_PS3_21rocsparse_index_base_b.uses_vcc, 1
	.set _ZN9rocsparseL19gebsrmvn_2xn_kernelILj128ELj16ELj8EfEEvi20rocsparse_direction_NS_24const_host_device_scalarIT2_EEPKiS6_PKS3_S8_S4_PS3_21rocsparse_index_base_b.uses_flat_scratch, 0
	.set _ZN9rocsparseL19gebsrmvn_2xn_kernelILj128ELj16ELj8EfEEvi20rocsparse_direction_NS_24const_host_device_scalarIT2_EEPKiS6_PKS3_S8_S4_PS3_21rocsparse_index_base_b.has_dyn_sized_stack, 0
	.set _ZN9rocsparseL19gebsrmvn_2xn_kernelILj128ELj16ELj8EfEEvi20rocsparse_direction_NS_24const_host_device_scalarIT2_EEPKiS6_PKS3_S8_S4_PS3_21rocsparse_index_base_b.has_recursion, 0
	.set _ZN9rocsparseL19gebsrmvn_2xn_kernelILj128ELj16ELj8EfEEvi20rocsparse_direction_NS_24const_host_device_scalarIT2_EEPKiS6_PKS3_S8_S4_PS3_21rocsparse_index_base_b.has_indirect_call, 0
	.section	.AMDGPU.csdata,"",@progbits
; Kernel info:
; codeLenInByte = 1416
; TotalNumSgprs: 22
; NumVgprs: 58
; ScratchSize: 0
; MemoryBound: 0
; FloatMode: 240
; IeeeMode: 1
; LDSByteSize: 0 bytes/workgroup (compile time only)
; SGPRBlocks: 0
; VGPRBlocks: 7
; NumSGPRsForWavesPerEU: 22
; NumVGPRsForWavesPerEU: 58
; Occupancy: 16
; WaveLimiterHint : 1
; COMPUTE_PGM_RSRC2:SCRATCH_EN: 0
; COMPUTE_PGM_RSRC2:USER_SGPR: 6
; COMPUTE_PGM_RSRC2:TRAP_HANDLER: 0
; COMPUTE_PGM_RSRC2:TGID_X_EN: 1
; COMPUTE_PGM_RSRC2:TGID_Y_EN: 0
; COMPUTE_PGM_RSRC2:TGID_Z_EN: 0
; COMPUTE_PGM_RSRC2:TIDIG_COMP_CNT: 0
	.section	.text._ZN9rocsparseL19gebsrmvn_2xn_kernelILj128ELj16ELj16EfEEvi20rocsparse_direction_NS_24const_host_device_scalarIT2_EEPKiS6_PKS3_S8_S4_PS3_21rocsparse_index_base_b,"axG",@progbits,_ZN9rocsparseL19gebsrmvn_2xn_kernelILj128ELj16ELj16EfEEvi20rocsparse_direction_NS_24const_host_device_scalarIT2_EEPKiS6_PKS3_S8_S4_PS3_21rocsparse_index_base_b,comdat
	.globl	_ZN9rocsparseL19gebsrmvn_2xn_kernelILj128ELj16ELj16EfEEvi20rocsparse_direction_NS_24const_host_device_scalarIT2_EEPKiS6_PKS3_S8_S4_PS3_21rocsparse_index_base_b ; -- Begin function _ZN9rocsparseL19gebsrmvn_2xn_kernelILj128ELj16ELj16EfEEvi20rocsparse_direction_NS_24const_host_device_scalarIT2_EEPKiS6_PKS3_S8_S4_PS3_21rocsparse_index_base_b
	.p2align	8
	.type	_ZN9rocsparseL19gebsrmvn_2xn_kernelILj128ELj16ELj16EfEEvi20rocsparse_direction_NS_24const_host_device_scalarIT2_EEPKiS6_PKS3_S8_S4_PS3_21rocsparse_index_base_b,@function
_ZN9rocsparseL19gebsrmvn_2xn_kernelILj128ELj16ELj16EfEEvi20rocsparse_direction_NS_24const_host_device_scalarIT2_EEPKiS6_PKS3_S8_S4_PS3_21rocsparse_index_base_b: ; @_ZN9rocsparseL19gebsrmvn_2xn_kernelILj128ELj16ELj16EfEEvi20rocsparse_direction_NS_24const_host_device_scalarIT2_EEPKiS6_PKS3_S8_S4_PS3_21rocsparse_index_base_b
; %bb.0:
	s_clause 0x2
	s_load_dwordx2 s[18:19], s[4:5], 0x40
	s_load_dwordx2 s[16:17], s[4:5], 0x8
	;; [unrolled: 1-line block ×3, first 2 shown]
	s_waitcnt lgkmcnt(0)
	s_bitcmp1_b32 s19, 0
	s_cselect_b32 s0, -1, 0
	s_and_b32 vcc_lo, exec_lo, s0
	s_xor_b32 s0, s0, -1
	s_cbranch_vccnz .LBB72_2
; %bb.1:
	s_load_dword s16, s[16:17], 0x0
.LBB72_2:
	s_andn2_b32 vcc_lo, exec_lo, s0
	s_cbranch_vccnz .LBB72_4
; %bb.3:
	s_load_dword s2, s[2:3], 0x0
.LBB72_4:
	s_waitcnt lgkmcnt(0)
	v_cmp_eq_f32_e64 s0, s16, 0
	v_cmp_eq_f32_e64 s1, s2, 1.0
	s_and_b32 s0, s0, s1
	s_and_b32 vcc_lo, exec_lo, s0
	s_cbranch_vccnz .LBB72_23
; %bb.5:
	s_load_dwordx2 s[0:1], s[4:5], 0x0
	v_lshrrev_b32_e32 v1, 4, v0
	v_lshl_or_b32 v1, s6, 3, v1
	s_waitcnt lgkmcnt(0)
	v_cmp_gt_i32_e32 vcc_lo, s0, v1
	s_and_saveexec_b32 s0, vcc_lo
	s_cbranch_execz .LBB72_23
; %bb.6:
	s_load_dwordx8 s[8:15], s[4:5], 0x10
	v_ashrrev_i32_e32 v2, 31, v1
	v_and_b32_e32 v0, 15, v0
	s_cmp_lg_u32 s1, 0
	v_lshlrev_b64 v[2:3], 2, v[1:2]
	s_waitcnt lgkmcnt(0)
	v_add_co_u32 v2, vcc_lo, s8, v2
	v_add_co_ci_u32_e64 v3, null, s9, v3, vcc_lo
	global_load_dwordx2 v[2:3], v[2:3], off
	s_waitcnt vmcnt(0)
	v_subrev_nc_u32_e32 v2, s18, v2
	v_subrev_nc_u32_e32 v9, s18, v3
	v_add_nc_u32_e32 v2, v2, v0
	v_cmp_lt_i32_e64 s0, v2, v9
	s_cbranch_scc0 .LBB72_12
; %bb.7:
	v_mov_b32_e32 v7, 0
	v_mov_b32_e32 v8, 0
	s_and_saveexec_b32 s1, s0
	s_cbranch_execz .LBB72_11
; %bb.8:
	v_mov_b32_e32 v4, 0
	v_lshlrev_b32_e32 v3, 5, v2
	v_mov_b32_e32 v5, v2
	s_mov_b32 s3, 0
	v_mov_b32_e32 v7, v4
	v_mov_b32_e32 v8, v4
.LBB72_9:                               ; =>This Inner Loop Header: Depth=1
	v_ashrrev_i32_e32 v6, 31, v5
	v_mov_b32_e32 v13, v4
	v_lshlrev_b64 v[10:11], 2, v[5:6]
	v_add_nc_u32_e32 v5, 16, v5
	v_add_co_u32 v10, vcc_lo, s10, v10
	v_add_co_ci_u32_e64 v11, null, s11, v11, vcc_lo
	global_load_dword v6, v[10:11], off
	v_lshlrev_b64 v[10:11], 2, v[3:4]
	v_add_nc_u32_e32 v3, 0x200, v3
	v_add_co_u32 v54, vcc_lo, s12, v10
	v_add_co_ci_u32_e64 v55, null, s13, v11, vcc_lo
	s_waitcnt vmcnt(0)
	v_subrev_nc_u32_e32 v6, s18, v6
	v_lshlrev_b32_e32 v12, 4, v6
	v_lshlrev_b64 v[12:13], 2, v[12:13]
	v_add_co_u32 v46, vcc_lo, s14, v12
	v_add_co_ci_u32_e64 v47, null, s15, v13, vcc_lo
	v_cmp_ge_i32_e32 vcc_lo, v5, v9
	s_clause 0x1
	global_load_dwordx4 v[10:13], v[54:55], off offset:16
	global_load_dwordx4 v[14:17], v[54:55], off
	s_clause 0x1
	global_load_dwordx4 v[18:21], v[46:47], off
	global_load_dwordx4 v[22:25], v[46:47], off offset:16
	s_clause 0x3
	global_load_dwordx4 v[26:29], v[54:55], off offset:32
	global_load_dwordx4 v[30:33], v[54:55], off offset:48
	;; [unrolled: 1-line block ×4, first 2 shown]
	s_clause 0x1
	global_load_dwordx4 v[42:45], v[46:47], off offset:32
	global_load_dwordx4 v[46:49], v[46:47], off offset:48
	s_clause 0x1
	global_load_dwordx4 v[50:53], v[54:55], off offset:96
	global_load_dwordx4 v[54:57], v[54:55], off offset:112
	s_or_b32 s3, vcc_lo, s3
	s_waitcnt vmcnt(9)
	v_fmac_f32_e32 v7, v14, v18
	v_fmac_f32_e32 v8, v15, v18
	;; [unrolled: 1-line block ×8, first 2 shown]
	s_waitcnt vmcnt(7)
	v_fmac_f32_e32 v7, v26, v22
	v_fmac_f32_e32 v8, v27, v22
	v_fmac_f32_e32 v7, v28, v23
	v_fmac_f32_e32 v8, v29, v23
	s_waitcnt vmcnt(6)
	v_fmac_f32_e32 v7, v30, v24
	v_fmac_f32_e32 v8, v31, v24
	v_fmac_f32_e32 v7, v32, v25
	v_fmac_f32_e32 v8, v33, v25
	;; [unrolled: 5-line block ×3, first 2 shown]
	v_fmac_f32_e32 v7, v34, v44
	v_fmac_f32_e32 v8, v35, v44
	;; [unrolled: 1-line block ×4, first 2 shown]
	s_waitcnt vmcnt(1)
	v_fmac_f32_e32 v7, v50, v46
	v_fmac_f32_e32 v8, v51, v46
	;; [unrolled: 1-line block ×4, first 2 shown]
	s_waitcnt vmcnt(0)
	v_fmac_f32_e32 v7, v54, v48
	v_fmac_f32_e32 v8, v55, v48
	;; [unrolled: 1-line block ×4, first 2 shown]
	s_andn2_b32 exec_lo, exec_lo, s3
	s_cbranch_execnz .LBB72_9
; %bb.10:
	s_or_b32 exec_lo, exec_lo, s3
.LBB72_11:
	s_or_b32 exec_lo, exec_lo, s1
	s_cbranch_execz .LBB72_13
	s_branch .LBB72_18
.LBB72_12:
                                        ; implicit-def: $vgpr7
                                        ; implicit-def: $vgpr8
.LBB72_13:
	v_mov_b32_e32 v7, 0
	v_mov_b32_e32 v8, 0
	s_and_saveexec_b32 s1, s0
	s_cbranch_execz .LBB72_17
; %bb.14:
	v_mov_b32_e32 v5, 0
	v_lshlrev_b32_e32 v4, 5, v2
	s_mov_b32 s0, 0
	v_mov_b32_e32 v7, v5
	v_mov_b32_e32 v8, v5
.LBB72_15:                              ; =>This Inner Loop Header: Depth=1
	v_ashrrev_i32_e32 v3, 31, v2
	v_mov_b32_e32 v13, v5
	v_lshlrev_b64 v[10:11], 2, v[2:3]
	v_add_nc_u32_e32 v2, 16, v2
	v_add_co_u32 v10, vcc_lo, s10, v10
	v_add_co_ci_u32_e64 v11, null, s11, v11, vcc_lo
	global_load_dword v3, v[10:11], off
	v_lshlrev_b64 v[10:11], 2, v[4:5]
	v_add_nc_u32_e32 v4, 0x200, v4
	v_add_co_u32 v46, vcc_lo, s12, v10
	v_add_co_ci_u32_e64 v47, null, s13, v11, vcc_lo
	s_waitcnt vmcnt(0)
	v_subrev_nc_u32_e32 v3, s18, v3
	v_lshlrev_b32_e32 v12, 4, v3
	v_lshlrev_b64 v[14:15], 2, v[12:13]
	global_load_dwordx4 v[10:13], v[46:47], off offset:16
	v_add_co_u32 v54, vcc_lo, s14, v14
	v_add_co_ci_u32_e64 v55, null, s15, v15, vcc_lo
	s_clause 0x2
	global_load_dwordx4 v[14:17], v[46:47], off
	global_load_dwordx4 v[18:21], v[46:47], off offset:80
	global_load_dwordx4 v[22:25], v[46:47], off offset:64
	s_clause 0x1
	global_load_dwordx4 v[26:29], v[54:55], off
	global_load_dwordx4 v[30:33], v[54:55], off offset:16
	s_clause 0x3
	global_load_dwordx4 v[34:37], v[46:47], off offset:48
	global_load_dwordx4 v[38:41], v[46:47], off offset:32
	;; [unrolled: 1-line block ×4, first 2 shown]
	s_clause 0x1
	global_load_dwordx4 v[50:53], v[54:55], off offset:32
	global_load_dwordx4 v[54:57], v[54:55], off offset:48
	v_cmp_ge_i32_e32 vcc_lo, v2, v9
	s_or_b32 s0, vcc_lo, s0
	s_waitcnt vmcnt(7)
	v_fmac_f32_e32 v7, v14, v26
	v_fmac_f32_e32 v8, v22, v26
	v_fmac_f32_e32 v7, v15, v27
	v_fmac_f32_e32 v8, v23, v27
	v_fmac_f32_e32 v7, v16, v28
	v_fmac_f32_e32 v8, v24, v28
	v_fmac_f32_e32 v7, v17, v29
	v_fmac_f32_e32 v8, v25, v29
	s_waitcnt vmcnt(6)
	v_fmac_f32_e32 v7, v10, v30
	v_fmac_f32_e32 v8, v18, v30
	v_fmac_f32_e32 v7, v11, v31
	v_fmac_f32_e32 v8, v19, v31
	v_fmac_f32_e32 v7, v12, v32
	v_fmac_f32_e32 v8, v20, v32
	v_fmac_f32_e32 v7, v13, v33
	v_fmac_f32_e32 v8, v21, v33
	;; [unrolled: 9-line block ×4, first 2 shown]
	s_andn2_b32 exec_lo, exec_lo, s0
	s_cbranch_execnz .LBB72_15
; %bb.16:
	s_or_b32 exec_lo, exec_lo, s0
.LBB72_17:
	s_or_b32 exec_lo, exec_lo, s1
.LBB72_18:
	v_mbcnt_lo_u32_b32 v2, -1, 0
	s_mov_b32 s3, -1
	v_xor_b32_e32 v3, 8, v2
	v_xor_b32_e32 v5, 4, v2
	v_cmp_gt_i32_e32 vcc_lo, 32, v3
	v_cndmask_b32_e32 v3, v2, v3, vcc_lo
	v_cmp_gt_i32_e32 vcc_lo, 32, v5
	v_lshlrev_b32_e32 v3, 2, v3
	v_cndmask_b32_e32 v5, v2, v5, vcc_lo
	ds_bpermute_b32 v4, v3, v7
	ds_bpermute_b32 v3, v3, v8
	v_lshlrev_b32_e32 v5, 2, v5
	s_waitcnt lgkmcnt(1)
	v_add_f32_e32 v4, v7, v4
	s_waitcnt lgkmcnt(0)
	v_add_f32_e32 v3, v8, v3
	v_xor_b32_e32 v7, 2, v2
	ds_bpermute_b32 v6, v5, v4
	ds_bpermute_b32 v5, v5, v3
	v_cmp_gt_i32_e32 vcc_lo, 32, v7
	v_cndmask_b32_e32 v7, v2, v7, vcc_lo
	v_lshlrev_b32_e32 v7, 2, v7
	s_waitcnt lgkmcnt(1)
	v_add_f32_e32 v4, v4, v6
	s_waitcnt lgkmcnt(0)
	v_add_f32_e32 v3, v3, v5
	ds_bpermute_b32 v5, v7, v4
	ds_bpermute_b32 v6, v7, v3
	v_xor_b32_e32 v7, 1, v2
	v_cmp_gt_i32_e32 vcc_lo, 32, v7
	v_cndmask_b32_e32 v2, v2, v7, vcc_lo
	v_cmp_eq_u32_e32 vcc_lo, 15, v0
	v_lshlrev_b32_e32 v7, 2, v2
	s_waitcnt lgkmcnt(1)
	v_add_f32_e32 v2, v4, v5
	s_waitcnt lgkmcnt(0)
	v_add_f32_e32 v3, v3, v6
	ds_bpermute_b32 v4, v7, v2
	ds_bpermute_b32 v5, v7, v3
	s_and_b32 exec_lo, exec_lo, vcc_lo
	s_cbranch_execz .LBB72_23
; %bb.19:
	s_load_dwordx2 s[0:1], s[4:5], 0x38
	s_waitcnt lgkmcnt(0)
	v_add_f32_e32 v0, v2, v4
	v_add_f32_e32 v3, v3, v5
	v_cmp_eq_f32_e64 s4, s2, 0
	v_mul_f32_e32 v2, s16, v0
	v_mul_f32_e32 v3, s16, v3
	v_lshlrev_b32_e32 v0, 1, v1
	s_and_b32 vcc_lo, exec_lo, s4
	s_cbranch_vccz .LBB72_21
; %bb.20:
	v_ashrrev_i32_e32 v1, 31, v0
	s_mov_b32 s3, 0
	v_lshlrev_b64 v[4:5], 2, v[0:1]
	v_add_co_u32 v4, vcc_lo, s0, v4
	v_add_co_ci_u32_e64 v5, null, s1, v5, vcc_lo
	global_store_dwordx2 v[4:5], v[2:3], off
.LBB72_21:
	s_andn2_b32 vcc_lo, exec_lo, s3
	s_cbranch_vccnz .LBB72_23
; %bb.22:
	v_ashrrev_i32_e32 v1, 31, v0
	v_lshlrev_b64 v[0:1], 2, v[0:1]
	v_add_co_u32 v0, vcc_lo, s0, v0
	v_add_co_ci_u32_e64 v1, null, s1, v1, vcc_lo
	global_load_dwordx2 v[4:5], v[0:1], off
	s_waitcnt vmcnt(0)
	v_fmac_f32_e32 v2, s2, v4
	v_fmac_f32_e32 v3, s2, v5
	global_store_dwordx2 v[0:1], v[2:3], off
.LBB72_23:
	s_endpgm
	.section	.rodata,"a",@progbits
	.p2align	6, 0x0
	.amdhsa_kernel _ZN9rocsparseL19gebsrmvn_2xn_kernelILj128ELj16ELj16EfEEvi20rocsparse_direction_NS_24const_host_device_scalarIT2_EEPKiS6_PKS3_S8_S4_PS3_21rocsparse_index_base_b
		.amdhsa_group_segment_fixed_size 0
		.amdhsa_private_segment_fixed_size 0
		.amdhsa_kernarg_size 72
		.amdhsa_user_sgpr_count 6
		.amdhsa_user_sgpr_private_segment_buffer 1
		.amdhsa_user_sgpr_dispatch_ptr 0
		.amdhsa_user_sgpr_queue_ptr 0
		.amdhsa_user_sgpr_kernarg_segment_ptr 1
		.amdhsa_user_sgpr_dispatch_id 0
		.amdhsa_user_sgpr_flat_scratch_init 0
		.amdhsa_user_sgpr_private_segment_size 0
		.amdhsa_wavefront_size32 1
		.amdhsa_uses_dynamic_stack 0
		.amdhsa_system_sgpr_private_segment_wavefront_offset 0
		.amdhsa_system_sgpr_workgroup_id_x 1
		.amdhsa_system_sgpr_workgroup_id_y 0
		.amdhsa_system_sgpr_workgroup_id_z 0
		.amdhsa_system_sgpr_workgroup_info 0
		.amdhsa_system_vgpr_workitem_id 0
		.amdhsa_next_free_vgpr 58
		.amdhsa_next_free_sgpr 20
		.amdhsa_reserve_vcc 1
		.amdhsa_reserve_flat_scratch 0
		.amdhsa_float_round_mode_32 0
		.amdhsa_float_round_mode_16_64 0
		.amdhsa_float_denorm_mode_32 3
		.amdhsa_float_denorm_mode_16_64 3
		.amdhsa_dx10_clamp 1
		.amdhsa_ieee_mode 1
		.amdhsa_fp16_overflow 0
		.amdhsa_workgroup_processor_mode 1
		.amdhsa_memory_ordered 1
		.amdhsa_forward_progress 1
		.amdhsa_shared_vgpr_count 0
		.amdhsa_exception_fp_ieee_invalid_op 0
		.amdhsa_exception_fp_denorm_src 0
		.amdhsa_exception_fp_ieee_div_zero 0
		.amdhsa_exception_fp_ieee_overflow 0
		.amdhsa_exception_fp_ieee_underflow 0
		.amdhsa_exception_fp_ieee_inexact 0
		.amdhsa_exception_int_div_zero 0
	.end_amdhsa_kernel
	.section	.text._ZN9rocsparseL19gebsrmvn_2xn_kernelILj128ELj16ELj16EfEEvi20rocsparse_direction_NS_24const_host_device_scalarIT2_EEPKiS6_PKS3_S8_S4_PS3_21rocsparse_index_base_b,"axG",@progbits,_ZN9rocsparseL19gebsrmvn_2xn_kernelILj128ELj16ELj16EfEEvi20rocsparse_direction_NS_24const_host_device_scalarIT2_EEPKiS6_PKS3_S8_S4_PS3_21rocsparse_index_base_b,comdat
.Lfunc_end72:
	.size	_ZN9rocsparseL19gebsrmvn_2xn_kernelILj128ELj16ELj16EfEEvi20rocsparse_direction_NS_24const_host_device_scalarIT2_EEPKiS6_PKS3_S8_S4_PS3_21rocsparse_index_base_b, .Lfunc_end72-_ZN9rocsparseL19gebsrmvn_2xn_kernelILj128ELj16ELj16EfEEvi20rocsparse_direction_NS_24const_host_device_scalarIT2_EEPKiS6_PKS3_S8_S4_PS3_21rocsparse_index_base_b
                                        ; -- End function
	.set _ZN9rocsparseL19gebsrmvn_2xn_kernelILj128ELj16ELj16EfEEvi20rocsparse_direction_NS_24const_host_device_scalarIT2_EEPKiS6_PKS3_S8_S4_PS3_21rocsparse_index_base_b.num_vgpr, 58
	.set _ZN9rocsparseL19gebsrmvn_2xn_kernelILj128ELj16ELj16EfEEvi20rocsparse_direction_NS_24const_host_device_scalarIT2_EEPKiS6_PKS3_S8_S4_PS3_21rocsparse_index_base_b.num_agpr, 0
	.set _ZN9rocsparseL19gebsrmvn_2xn_kernelILj128ELj16ELj16EfEEvi20rocsparse_direction_NS_24const_host_device_scalarIT2_EEPKiS6_PKS3_S8_S4_PS3_21rocsparse_index_base_b.numbered_sgpr, 20
	.set _ZN9rocsparseL19gebsrmvn_2xn_kernelILj128ELj16ELj16EfEEvi20rocsparse_direction_NS_24const_host_device_scalarIT2_EEPKiS6_PKS3_S8_S4_PS3_21rocsparse_index_base_b.num_named_barrier, 0
	.set _ZN9rocsparseL19gebsrmvn_2xn_kernelILj128ELj16ELj16EfEEvi20rocsparse_direction_NS_24const_host_device_scalarIT2_EEPKiS6_PKS3_S8_S4_PS3_21rocsparse_index_base_b.private_seg_size, 0
	.set _ZN9rocsparseL19gebsrmvn_2xn_kernelILj128ELj16ELj16EfEEvi20rocsparse_direction_NS_24const_host_device_scalarIT2_EEPKiS6_PKS3_S8_S4_PS3_21rocsparse_index_base_b.uses_vcc, 1
	.set _ZN9rocsparseL19gebsrmvn_2xn_kernelILj128ELj16ELj16EfEEvi20rocsparse_direction_NS_24const_host_device_scalarIT2_EEPKiS6_PKS3_S8_S4_PS3_21rocsparse_index_base_b.uses_flat_scratch, 0
	.set _ZN9rocsparseL19gebsrmvn_2xn_kernelILj128ELj16ELj16EfEEvi20rocsparse_direction_NS_24const_host_device_scalarIT2_EEPKiS6_PKS3_S8_S4_PS3_21rocsparse_index_base_b.has_dyn_sized_stack, 0
	.set _ZN9rocsparseL19gebsrmvn_2xn_kernelILj128ELj16ELj16EfEEvi20rocsparse_direction_NS_24const_host_device_scalarIT2_EEPKiS6_PKS3_S8_S4_PS3_21rocsparse_index_base_b.has_recursion, 0
	.set _ZN9rocsparseL19gebsrmvn_2xn_kernelILj128ELj16ELj16EfEEvi20rocsparse_direction_NS_24const_host_device_scalarIT2_EEPKiS6_PKS3_S8_S4_PS3_21rocsparse_index_base_b.has_indirect_call, 0
	.section	.AMDGPU.csdata,"",@progbits
; Kernel info:
; codeLenInByte = 1464
; TotalNumSgprs: 22
; NumVgprs: 58
; ScratchSize: 0
; MemoryBound: 0
; FloatMode: 240
; IeeeMode: 1
; LDSByteSize: 0 bytes/workgroup (compile time only)
; SGPRBlocks: 0
; VGPRBlocks: 7
; NumSGPRsForWavesPerEU: 22
; NumVGPRsForWavesPerEU: 58
; Occupancy: 16
; WaveLimiterHint : 1
; COMPUTE_PGM_RSRC2:SCRATCH_EN: 0
; COMPUTE_PGM_RSRC2:USER_SGPR: 6
; COMPUTE_PGM_RSRC2:TRAP_HANDLER: 0
; COMPUTE_PGM_RSRC2:TGID_X_EN: 1
; COMPUTE_PGM_RSRC2:TGID_Y_EN: 0
; COMPUTE_PGM_RSRC2:TGID_Z_EN: 0
; COMPUTE_PGM_RSRC2:TIDIG_COMP_CNT: 0
	.section	.text._ZN9rocsparseL19gebsrmvn_2xn_kernelILj128ELj16ELj32EfEEvi20rocsparse_direction_NS_24const_host_device_scalarIT2_EEPKiS6_PKS3_S8_S4_PS3_21rocsparse_index_base_b,"axG",@progbits,_ZN9rocsparseL19gebsrmvn_2xn_kernelILj128ELj16ELj32EfEEvi20rocsparse_direction_NS_24const_host_device_scalarIT2_EEPKiS6_PKS3_S8_S4_PS3_21rocsparse_index_base_b,comdat
	.globl	_ZN9rocsparseL19gebsrmvn_2xn_kernelILj128ELj16ELj32EfEEvi20rocsparse_direction_NS_24const_host_device_scalarIT2_EEPKiS6_PKS3_S8_S4_PS3_21rocsparse_index_base_b ; -- Begin function _ZN9rocsparseL19gebsrmvn_2xn_kernelILj128ELj16ELj32EfEEvi20rocsparse_direction_NS_24const_host_device_scalarIT2_EEPKiS6_PKS3_S8_S4_PS3_21rocsparse_index_base_b
	.p2align	8
	.type	_ZN9rocsparseL19gebsrmvn_2xn_kernelILj128ELj16ELj32EfEEvi20rocsparse_direction_NS_24const_host_device_scalarIT2_EEPKiS6_PKS3_S8_S4_PS3_21rocsparse_index_base_b,@function
_ZN9rocsparseL19gebsrmvn_2xn_kernelILj128ELj16ELj32EfEEvi20rocsparse_direction_NS_24const_host_device_scalarIT2_EEPKiS6_PKS3_S8_S4_PS3_21rocsparse_index_base_b: ; @_ZN9rocsparseL19gebsrmvn_2xn_kernelILj128ELj16ELj32EfEEvi20rocsparse_direction_NS_24const_host_device_scalarIT2_EEPKiS6_PKS3_S8_S4_PS3_21rocsparse_index_base_b
; %bb.0:
	s_clause 0x2
	s_load_dwordx2 s[18:19], s[4:5], 0x40
	s_load_dwordx2 s[16:17], s[4:5], 0x8
	;; [unrolled: 1-line block ×3, first 2 shown]
	s_waitcnt lgkmcnt(0)
	s_bitcmp1_b32 s19, 0
	s_cselect_b32 s0, -1, 0
	s_and_b32 vcc_lo, exec_lo, s0
	s_xor_b32 s0, s0, -1
	s_cbranch_vccnz .LBB73_2
; %bb.1:
	s_load_dword s16, s[16:17], 0x0
.LBB73_2:
	s_andn2_b32 vcc_lo, exec_lo, s0
	s_cbranch_vccnz .LBB73_4
; %bb.3:
	s_load_dword s2, s[2:3], 0x0
.LBB73_4:
	s_waitcnt lgkmcnt(0)
	v_cmp_eq_f32_e64 s0, s16, 0
	v_cmp_eq_f32_e64 s1, s2, 1.0
	s_and_b32 s0, s0, s1
	s_and_b32 vcc_lo, exec_lo, s0
	s_cbranch_vccnz .LBB73_23
; %bb.5:
	s_load_dwordx2 s[0:1], s[4:5], 0x0
	v_lshrrev_b32_e32 v1, 5, v0
	v_lshl_or_b32 v1, s6, 2, v1
	s_waitcnt lgkmcnt(0)
	v_cmp_gt_i32_e32 vcc_lo, s0, v1
	s_and_saveexec_b32 s0, vcc_lo
	s_cbranch_execz .LBB73_23
; %bb.6:
	s_load_dwordx8 s[8:15], s[4:5], 0x10
	v_ashrrev_i32_e32 v2, 31, v1
	v_and_b32_e32 v0, 31, v0
	s_cmp_lg_u32 s1, 0
	v_lshlrev_b64 v[2:3], 2, v[1:2]
	s_waitcnt lgkmcnt(0)
	v_add_co_u32 v2, vcc_lo, s8, v2
	v_add_co_ci_u32_e64 v3, null, s9, v3, vcc_lo
	global_load_dwordx2 v[2:3], v[2:3], off
	s_waitcnt vmcnt(0)
	v_subrev_nc_u32_e32 v2, s18, v2
	v_subrev_nc_u32_e32 v9, s18, v3
	v_add_nc_u32_e32 v2, v2, v0
	v_cmp_lt_i32_e64 s0, v2, v9
	s_cbranch_scc0 .LBB73_12
; %bb.7:
	v_mov_b32_e32 v7, 0
	v_mov_b32_e32 v8, 0
	s_and_saveexec_b32 s1, s0
	s_cbranch_execz .LBB73_11
; %bb.8:
	v_mov_b32_e32 v4, 0
	v_lshlrev_b32_e32 v3, 5, v2
	v_mov_b32_e32 v5, v2
	s_mov_b32 s3, 0
	v_mov_b32_e32 v7, v4
	v_mov_b32_e32 v8, v4
.LBB73_9:                               ; =>This Inner Loop Header: Depth=1
	v_ashrrev_i32_e32 v6, 31, v5
	v_mov_b32_e32 v13, v4
	v_lshlrev_b64 v[10:11], 2, v[5:6]
	v_add_nc_u32_e32 v5, 32, v5
	v_add_co_u32 v10, vcc_lo, s10, v10
	v_add_co_ci_u32_e64 v11, null, s11, v11, vcc_lo
	global_load_dword v6, v[10:11], off
	v_lshlrev_b64 v[10:11], 2, v[3:4]
	v_add_nc_u32_e32 v3, 0x400, v3
	v_add_co_u32 v54, vcc_lo, s12, v10
	v_add_co_ci_u32_e64 v55, null, s13, v11, vcc_lo
	s_waitcnt vmcnt(0)
	v_subrev_nc_u32_e32 v6, s18, v6
	v_lshlrev_b32_e32 v12, 4, v6
	v_lshlrev_b64 v[12:13], 2, v[12:13]
	v_add_co_u32 v46, vcc_lo, s14, v12
	v_add_co_ci_u32_e64 v47, null, s15, v13, vcc_lo
	v_cmp_ge_i32_e32 vcc_lo, v5, v9
	s_clause 0x1
	global_load_dwordx4 v[10:13], v[54:55], off offset:16
	global_load_dwordx4 v[14:17], v[54:55], off
	s_clause 0x1
	global_load_dwordx4 v[18:21], v[46:47], off
	global_load_dwordx4 v[22:25], v[46:47], off offset:16
	s_clause 0x3
	global_load_dwordx4 v[26:29], v[54:55], off offset:32
	global_load_dwordx4 v[30:33], v[54:55], off offset:48
	;; [unrolled: 1-line block ×4, first 2 shown]
	s_clause 0x1
	global_load_dwordx4 v[42:45], v[46:47], off offset:32
	global_load_dwordx4 v[46:49], v[46:47], off offset:48
	s_clause 0x1
	global_load_dwordx4 v[50:53], v[54:55], off offset:96
	global_load_dwordx4 v[54:57], v[54:55], off offset:112
	s_or_b32 s3, vcc_lo, s3
	s_waitcnt vmcnt(9)
	v_fmac_f32_e32 v7, v14, v18
	v_fmac_f32_e32 v8, v15, v18
	;; [unrolled: 1-line block ×8, first 2 shown]
	s_waitcnt vmcnt(7)
	v_fmac_f32_e32 v7, v26, v22
	v_fmac_f32_e32 v8, v27, v22
	v_fmac_f32_e32 v7, v28, v23
	v_fmac_f32_e32 v8, v29, v23
	s_waitcnt vmcnt(6)
	v_fmac_f32_e32 v7, v30, v24
	v_fmac_f32_e32 v8, v31, v24
	v_fmac_f32_e32 v7, v32, v25
	v_fmac_f32_e32 v8, v33, v25
	;; [unrolled: 5-line block ×3, first 2 shown]
	v_fmac_f32_e32 v7, v34, v44
	v_fmac_f32_e32 v8, v35, v44
	;; [unrolled: 1-line block ×4, first 2 shown]
	s_waitcnt vmcnt(1)
	v_fmac_f32_e32 v7, v50, v46
	v_fmac_f32_e32 v8, v51, v46
	;; [unrolled: 1-line block ×4, first 2 shown]
	s_waitcnt vmcnt(0)
	v_fmac_f32_e32 v7, v54, v48
	v_fmac_f32_e32 v8, v55, v48
	;; [unrolled: 1-line block ×4, first 2 shown]
	s_andn2_b32 exec_lo, exec_lo, s3
	s_cbranch_execnz .LBB73_9
; %bb.10:
	s_or_b32 exec_lo, exec_lo, s3
.LBB73_11:
	s_or_b32 exec_lo, exec_lo, s1
	s_cbranch_execz .LBB73_13
	s_branch .LBB73_18
.LBB73_12:
                                        ; implicit-def: $vgpr7
                                        ; implicit-def: $vgpr8
.LBB73_13:
	v_mov_b32_e32 v7, 0
	v_mov_b32_e32 v8, 0
	s_and_saveexec_b32 s1, s0
	s_cbranch_execz .LBB73_17
; %bb.14:
	v_mov_b32_e32 v5, 0
	v_lshlrev_b32_e32 v4, 5, v2
	s_mov_b32 s0, 0
	v_mov_b32_e32 v7, v5
	v_mov_b32_e32 v8, v5
.LBB73_15:                              ; =>This Inner Loop Header: Depth=1
	v_ashrrev_i32_e32 v3, 31, v2
	v_mov_b32_e32 v13, v5
	v_lshlrev_b64 v[10:11], 2, v[2:3]
	v_add_nc_u32_e32 v2, 32, v2
	v_add_co_u32 v10, vcc_lo, s10, v10
	v_add_co_ci_u32_e64 v11, null, s11, v11, vcc_lo
	global_load_dword v3, v[10:11], off
	v_lshlrev_b64 v[10:11], 2, v[4:5]
	v_add_nc_u32_e32 v4, 0x400, v4
	v_add_co_u32 v46, vcc_lo, s12, v10
	v_add_co_ci_u32_e64 v47, null, s13, v11, vcc_lo
	s_waitcnt vmcnt(0)
	v_subrev_nc_u32_e32 v3, s18, v3
	v_lshlrev_b32_e32 v12, 4, v3
	v_lshlrev_b64 v[14:15], 2, v[12:13]
	global_load_dwordx4 v[10:13], v[46:47], off offset:16
	v_add_co_u32 v54, vcc_lo, s14, v14
	v_add_co_ci_u32_e64 v55, null, s15, v15, vcc_lo
	s_clause 0x2
	global_load_dwordx4 v[14:17], v[46:47], off
	global_load_dwordx4 v[18:21], v[46:47], off offset:80
	global_load_dwordx4 v[22:25], v[46:47], off offset:64
	s_clause 0x1
	global_load_dwordx4 v[26:29], v[54:55], off
	global_load_dwordx4 v[30:33], v[54:55], off offset:16
	s_clause 0x3
	global_load_dwordx4 v[34:37], v[46:47], off offset:48
	global_load_dwordx4 v[38:41], v[46:47], off offset:32
	;; [unrolled: 1-line block ×4, first 2 shown]
	s_clause 0x1
	global_load_dwordx4 v[50:53], v[54:55], off offset:32
	global_load_dwordx4 v[54:57], v[54:55], off offset:48
	v_cmp_ge_i32_e32 vcc_lo, v2, v9
	s_or_b32 s0, vcc_lo, s0
	s_waitcnt vmcnt(7)
	v_fmac_f32_e32 v7, v14, v26
	v_fmac_f32_e32 v8, v22, v26
	v_fmac_f32_e32 v7, v15, v27
	v_fmac_f32_e32 v8, v23, v27
	v_fmac_f32_e32 v7, v16, v28
	v_fmac_f32_e32 v8, v24, v28
	v_fmac_f32_e32 v7, v17, v29
	v_fmac_f32_e32 v8, v25, v29
	s_waitcnt vmcnt(6)
	v_fmac_f32_e32 v7, v10, v30
	v_fmac_f32_e32 v8, v18, v30
	v_fmac_f32_e32 v7, v11, v31
	v_fmac_f32_e32 v8, v19, v31
	v_fmac_f32_e32 v7, v12, v32
	v_fmac_f32_e32 v8, v20, v32
	v_fmac_f32_e32 v7, v13, v33
	v_fmac_f32_e32 v8, v21, v33
	;; [unrolled: 9-line block ×4, first 2 shown]
	s_andn2_b32 exec_lo, exec_lo, s0
	s_cbranch_execnz .LBB73_15
; %bb.16:
	s_or_b32 exec_lo, exec_lo, s0
.LBB73_17:
	s_or_b32 exec_lo, exec_lo, s1
.LBB73_18:
	v_mbcnt_lo_u32_b32 v2, -1, 0
	s_mov_b32 s3, -1
	v_xor_b32_e32 v3, 16, v2
	v_xor_b32_e32 v5, 8, v2
	v_cmp_gt_i32_e32 vcc_lo, 32, v3
	v_cndmask_b32_e32 v3, v2, v3, vcc_lo
	v_cmp_gt_i32_e32 vcc_lo, 32, v5
	v_lshlrev_b32_e32 v3, 2, v3
	v_cndmask_b32_e32 v5, v2, v5, vcc_lo
	ds_bpermute_b32 v4, v3, v7
	ds_bpermute_b32 v3, v3, v8
	v_lshlrev_b32_e32 v5, 2, v5
	s_waitcnt lgkmcnt(1)
	v_add_f32_e32 v4, v7, v4
	s_waitcnt lgkmcnt(0)
	v_add_f32_e32 v3, v8, v3
	v_xor_b32_e32 v7, 4, v2
	ds_bpermute_b32 v6, v5, v4
	ds_bpermute_b32 v5, v5, v3
	v_cmp_gt_i32_e32 vcc_lo, 32, v7
	v_cndmask_b32_e32 v7, v2, v7, vcc_lo
	v_lshlrev_b32_e32 v7, 2, v7
	s_waitcnt lgkmcnt(1)
	v_add_f32_e32 v4, v4, v6
	s_waitcnt lgkmcnt(0)
	v_add_f32_e32 v3, v3, v5
	ds_bpermute_b32 v5, v7, v4
	ds_bpermute_b32 v6, v7, v3
	v_xor_b32_e32 v7, 2, v2
	v_cmp_gt_i32_e32 vcc_lo, 32, v7
	v_cndmask_b32_e32 v7, v2, v7, vcc_lo
	v_lshlrev_b32_e32 v7, 2, v7
	s_waitcnt lgkmcnt(1)
	v_add_f32_e32 v4, v4, v5
	s_waitcnt lgkmcnt(0)
	v_add_f32_e32 v3, v3, v6
	ds_bpermute_b32 v5, v7, v4
	ds_bpermute_b32 v6, v7, v3
	v_xor_b32_e32 v7, 1, v2
	v_cmp_gt_i32_e32 vcc_lo, 32, v7
	v_cndmask_b32_e32 v2, v2, v7, vcc_lo
	v_cmp_eq_u32_e32 vcc_lo, 31, v0
	v_lshlrev_b32_e32 v7, 2, v2
	s_waitcnt lgkmcnt(1)
	v_add_f32_e32 v2, v4, v5
	s_waitcnt lgkmcnt(0)
	v_add_f32_e32 v3, v3, v6
	ds_bpermute_b32 v4, v7, v2
	ds_bpermute_b32 v5, v7, v3
	s_and_b32 exec_lo, exec_lo, vcc_lo
	s_cbranch_execz .LBB73_23
; %bb.19:
	s_load_dwordx2 s[0:1], s[4:5], 0x38
	s_waitcnt lgkmcnt(0)
	v_add_f32_e32 v0, v2, v4
	v_add_f32_e32 v3, v3, v5
	v_cmp_eq_f32_e64 s4, s2, 0
	v_mul_f32_e32 v2, s16, v0
	v_mul_f32_e32 v3, s16, v3
	v_lshlrev_b32_e32 v0, 1, v1
	s_and_b32 vcc_lo, exec_lo, s4
	s_cbranch_vccz .LBB73_21
; %bb.20:
	v_ashrrev_i32_e32 v1, 31, v0
	s_mov_b32 s3, 0
	v_lshlrev_b64 v[4:5], 2, v[0:1]
	v_add_co_u32 v4, vcc_lo, s0, v4
	v_add_co_ci_u32_e64 v5, null, s1, v5, vcc_lo
	global_store_dwordx2 v[4:5], v[2:3], off
.LBB73_21:
	s_andn2_b32 vcc_lo, exec_lo, s3
	s_cbranch_vccnz .LBB73_23
; %bb.22:
	v_ashrrev_i32_e32 v1, 31, v0
	v_lshlrev_b64 v[0:1], 2, v[0:1]
	v_add_co_u32 v0, vcc_lo, s0, v0
	v_add_co_ci_u32_e64 v1, null, s1, v1, vcc_lo
	global_load_dwordx2 v[4:5], v[0:1], off
	s_waitcnt vmcnt(0)
	v_fmac_f32_e32 v2, s2, v4
	v_fmac_f32_e32 v3, s2, v5
	global_store_dwordx2 v[0:1], v[2:3], off
.LBB73_23:
	s_endpgm
	.section	.rodata,"a",@progbits
	.p2align	6, 0x0
	.amdhsa_kernel _ZN9rocsparseL19gebsrmvn_2xn_kernelILj128ELj16ELj32EfEEvi20rocsparse_direction_NS_24const_host_device_scalarIT2_EEPKiS6_PKS3_S8_S4_PS3_21rocsparse_index_base_b
		.amdhsa_group_segment_fixed_size 0
		.amdhsa_private_segment_fixed_size 0
		.amdhsa_kernarg_size 72
		.amdhsa_user_sgpr_count 6
		.amdhsa_user_sgpr_private_segment_buffer 1
		.amdhsa_user_sgpr_dispatch_ptr 0
		.amdhsa_user_sgpr_queue_ptr 0
		.amdhsa_user_sgpr_kernarg_segment_ptr 1
		.amdhsa_user_sgpr_dispatch_id 0
		.amdhsa_user_sgpr_flat_scratch_init 0
		.amdhsa_user_sgpr_private_segment_size 0
		.amdhsa_wavefront_size32 1
		.amdhsa_uses_dynamic_stack 0
		.amdhsa_system_sgpr_private_segment_wavefront_offset 0
		.amdhsa_system_sgpr_workgroup_id_x 1
		.amdhsa_system_sgpr_workgroup_id_y 0
		.amdhsa_system_sgpr_workgroup_id_z 0
		.amdhsa_system_sgpr_workgroup_info 0
		.amdhsa_system_vgpr_workitem_id 0
		.amdhsa_next_free_vgpr 58
		.amdhsa_next_free_sgpr 20
		.amdhsa_reserve_vcc 1
		.amdhsa_reserve_flat_scratch 0
		.amdhsa_float_round_mode_32 0
		.amdhsa_float_round_mode_16_64 0
		.amdhsa_float_denorm_mode_32 3
		.amdhsa_float_denorm_mode_16_64 3
		.amdhsa_dx10_clamp 1
		.amdhsa_ieee_mode 1
		.amdhsa_fp16_overflow 0
		.amdhsa_workgroup_processor_mode 1
		.amdhsa_memory_ordered 1
		.amdhsa_forward_progress 1
		.amdhsa_shared_vgpr_count 0
		.amdhsa_exception_fp_ieee_invalid_op 0
		.amdhsa_exception_fp_denorm_src 0
		.amdhsa_exception_fp_ieee_div_zero 0
		.amdhsa_exception_fp_ieee_overflow 0
		.amdhsa_exception_fp_ieee_underflow 0
		.amdhsa_exception_fp_ieee_inexact 0
		.amdhsa_exception_int_div_zero 0
	.end_amdhsa_kernel
	.section	.text._ZN9rocsparseL19gebsrmvn_2xn_kernelILj128ELj16ELj32EfEEvi20rocsparse_direction_NS_24const_host_device_scalarIT2_EEPKiS6_PKS3_S8_S4_PS3_21rocsparse_index_base_b,"axG",@progbits,_ZN9rocsparseL19gebsrmvn_2xn_kernelILj128ELj16ELj32EfEEvi20rocsparse_direction_NS_24const_host_device_scalarIT2_EEPKiS6_PKS3_S8_S4_PS3_21rocsparse_index_base_b,comdat
.Lfunc_end73:
	.size	_ZN9rocsparseL19gebsrmvn_2xn_kernelILj128ELj16ELj32EfEEvi20rocsparse_direction_NS_24const_host_device_scalarIT2_EEPKiS6_PKS3_S8_S4_PS3_21rocsparse_index_base_b, .Lfunc_end73-_ZN9rocsparseL19gebsrmvn_2xn_kernelILj128ELj16ELj32EfEEvi20rocsparse_direction_NS_24const_host_device_scalarIT2_EEPKiS6_PKS3_S8_S4_PS3_21rocsparse_index_base_b
                                        ; -- End function
	.set _ZN9rocsparseL19gebsrmvn_2xn_kernelILj128ELj16ELj32EfEEvi20rocsparse_direction_NS_24const_host_device_scalarIT2_EEPKiS6_PKS3_S8_S4_PS3_21rocsparse_index_base_b.num_vgpr, 58
	.set _ZN9rocsparseL19gebsrmvn_2xn_kernelILj128ELj16ELj32EfEEvi20rocsparse_direction_NS_24const_host_device_scalarIT2_EEPKiS6_PKS3_S8_S4_PS3_21rocsparse_index_base_b.num_agpr, 0
	.set _ZN9rocsparseL19gebsrmvn_2xn_kernelILj128ELj16ELj32EfEEvi20rocsparse_direction_NS_24const_host_device_scalarIT2_EEPKiS6_PKS3_S8_S4_PS3_21rocsparse_index_base_b.numbered_sgpr, 20
	.set _ZN9rocsparseL19gebsrmvn_2xn_kernelILj128ELj16ELj32EfEEvi20rocsparse_direction_NS_24const_host_device_scalarIT2_EEPKiS6_PKS3_S8_S4_PS3_21rocsparse_index_base_b.num_named_barrier, 0
	.set _ZN9rocsparseL19gebsrmvn_2xn_kernelILj128ELj16ELj32EfEEvi20rocsparse_direction_NS_24const_host_device_scalarIT2_EEPKiS6_PKS3_S8_S4_PS3_21rocsparse_index_base_b.private_seg_size, 0
	.set _ZN9rocsparseL19gebsrmvn_2xn_kernelILj128ELj16ELj32EfEEvi20rocsparse_direction_NS_24const_host_device_scalarIT2_EEPKiS6_PKS3_S8_S4_PS3_21rocsparse_index_base_b.uses_vcc, 1
	.set _ZN9rocsparseL19gebsrmvn_2xn_kernelILj128ELj16ELj32EfEEvi20rocsparse_direction_NS_24const_host_device_scalarIT2_EEPKiS6_PKS3_S8_S4_PS3_21rocsparse_index_base_b.uses_flat_scratch, 0
	.set _ZN9rocsparseL19gebsrmvn_2xn_kernelILj128ELj16ELj32EfEEvi20rocsparse_direction_NS_24const_host_device_scalarIT2_EEPKiS6_PKS3_S8_S4_PS3_21rocsparse_index_base_b.has_dyn_sized_stack, 0
	.set _ZN9rocsparseL19gebsrmvn_2xn_kernelILj128ELj16ELj32EfEEvi20rocsparse_direction_NS_24const_host_device_scalarIT2_EEPKiS6_PKS3_S8_S4_PS3_21rocsparse_index_base_b.has_recursion, 0
	.set _ZN9rocsparseL19gebsrmvn_2xn_kernelILj128ELj16ELj32EfEEvi20rocsparse_direction_NS_24const_host_device_scalarIT2_EEPKiS6_PKS3_S8_S4_PS3_21rocsparse_index_base_b.has_indirect_call, 0
	.section	.AMDGPU.csdata,"",@progbits
; Kernel info:
; codeLenInByte = 1512
; TotalNumSgprs: 22
; NumVgprs: 58
; ScratchSize: 0
; MemoryBound: 0
; FloatMode: 240
; IeeeMode: 1
; LDSByteSize: 0 bytes/workgroup (compile time only)
; SGPRBlocks: 0
; VGPRBlocks: 7
; NumSGPRsForWavesPerEU: 22
; NumVGPRsForWavesPerEU: 58
; Occupancy: 16
; WaveLimiterHint : 1
; COMPUTE_PGM_RSRC2:SCRATCH_EN: 0
; COMPUTE_PGM_RSRC2:USER_SGPR: 6
; COMPUTE_PGM_RSRC2:TRAP_HANDLER: 0
; COMPUTE_PGM_RSRC2:TGID_X_EN: 1
; COMPUTE_PGM_RSRC2:TGID_Y_EN: 0
; COMPUTE_PGM_RSRC2:TGID_Z_EN: 0
; COMPUTE_PGM_RSRC2:TIDIG_COMP_CNT: 0
	.section	.text._ZN9rocsparseL19gebsrmvn_2xn_kernelILj128ELj16ELj64EfEEvi20rocsparse_direction_NS_24const_host_device_scalarIT2_EEPKiS6_PKS3_S8_S4_PS3_21rocsparse_index_base_b,"axG",@progbits,_ZN9rocsparseL19gebsrmvn_2xn_kernelILj128ELj16ELj64EfEEvi20rocsparse_direction_NS_24const_host_device_scalarIT2_EEPKiS6_PKS3_S8_S4_PS3_21rocsparse_index_base_b,comdat
	.globl	_ZN9rocsparseL19gebsrmvn_2xn_kernelILj128ELj16ELj64EfEEvi20rocsparse_direction_NS_24const_host_device_scalarIT2_EEPKiS6_PKS3_S8_S4_PS3_21rocsparse_index_base_b ; -- Begin function _ZN9rocsparseL19gebsrmvn_2xn_kernelILj128ELj16ELj64EfEEvi20rocsparse_direction_NS_24const_host_device_scalarIT2_EEPKiS6_PKS3_S8_S4_PS3_21rocsparse_index_base_b
	.p2align	8
	.type	_ZN9rocsparseL19gebsrmvn_2xn_kernelILj128ELj16ELj64EfEEvi20rocsparse_direction_NS_24const_host_device_scalarIT2_EEPKiS6_PKS3_S8_S4_PS3_21rocsparse_index_base_b,@function
_ZN9rocsparseL19gebsrmvn_2xn_kernelILj128ELj16ELj64EfEEvi20rocsparse_direction_NS_24const_host_device_scalarIT2_EEPKiS6_PKS3_S8_S4_PS3_21rocsparse_index_base_b: ; @_ZN9rocsparseL19gebsrmvn_2xn_kernelILj128ELj16ELj64EfEEvi20rocsparse_direction_NS_24const_host_device_scalarIT2_EEPKiS6_PKS3_S8_S4_PS3_21rocsparse_index_base_b
; %bb.0:
	s_clause 0x2
	s_load_dwordx2 s[18:19], s[4:5], 0x40
	s_load_dwordx2 s[16:17], s[4:5], 0x8
	;; [unrolled: 1-line block ×3, first 2 shown]
	s_waitcnt lgkmcnt(0)
	s_bitcmp1_b32 s19, 0
	s_cselect_b32 s0, -1, 0
	s_and_b32 vcc_lo, exec_lo, s0
	s_xor_b32 s0, s0, -1
	s_cbranch_vccnz .LBB74_2
; %bb.1:
	s_load_dword s16, s[16:17], 0x0
.LBB74_2:
	s_andn2_b32 vcc_lo, exec_lo, s0
	s_cbranch_vccnz .LBB74_4
; %bb.3:
	s_load_dword s2, s[2:3], 0x0
.LBB74_4:
	s_waitcnt lgkmcnt(0)
	v_cmp_eq_f32_e64 s0, s16, 0
	v_cmp_eq_f32_e64 s1, s2, 1.0
	s_and_b32 s0, s0, s1
	s_and_b32 vcc_lo, exec_lo, s0
	s_cbranch_vccnz .LBB74_23
; %bb.5:
	s_load_dwordx2 s[0:1], s[4:5], 0x0
	v_lshrrev_b32_e32 v1, 6, v0
	v_lshl_or_b32 v1, s6, 1, v1
	s_waitcnt lgkmcnt(0)
	v_cmp_gt_i32_e32 vcc_lo, s0, v1
	s_and_saveexec_b32 s0, vcc_lo
	s_cbranch_execz .LBB74_23
; %bb.6:
	s_load_dwordx8 s[8:15], s[4:5], 0x10
	v_ashrrev_i32_e32 v2, 31, v1
	v_and_b32_e32 v0, 63, v0
	s_cmp_lg_u32 s1, 0
	v_lshlrev_b64 v[2:3], 2, v[1:2]
	s_waitcnt lgkmcnt(0)
	v_add_co_u32 v2, vcc_lo, s8, v2
	v_add_co_ci_u32_e64 v3, null, s9, v3, vcc_lo
	global_load_dwordx2 v[2:3], v[2:3], off
	s_waitcnt vmcnt(0)
	v_subrev_nc_u32_e32 v2, s18, v2
	v_subrev_nc_u32_e32 v9, s18, v3
	v_add_nc_u32_e32 v2, v2, v0
	v_cmp_lt_i32_e64 s0, v2, v9
	s_cbranch_scc0 .LBB74_12
; %bb.7:
	v_mov_b32_e32 v7, 0
	v_mov_b32_e32 v8, 0
	s_and_saveexec_b32 s1, s0
	s_cbranch_execz .LBB74_11
; %bb.8:
	v_mov_b32_e32 v4, 0
	v_lshlrev_b32_e32 v3, 5, v2
	v_mov_b32_e32 v5, v2
	s_mov_b32 s3, 0
	v_mov_b32_e32 v7, v4
	v_mov_b32_e32 v8, v4
.LBB74_9:                               ; =>This Inner Loop Header: Depth=1
	v_ashrrev_i32_e32 v6, 31, v5
	v_mov_b32_e32 v13, v4
	v_lshlrev_b64 v[10:11], 2, v[5:6]
	v_add_nc_u32_e32 v5, 64, v5
	v_add_co_u32 v10, vcc_lo, s10, v10
	v_add_co_ci_u32_e64 v11, null, s11, v11, vcc_lo
	global_load_dword v6, v[10:11], off
	v_lshlrev_b64 v[10:11], 2, v[3:4]
	v_add_nc_u32_e32 v3, 0x800, v3
	v_add_co_u32 v54, vcc_lo, s12, v10
	v_add_co_ci_u32_e64 v55, null, s13, v11, vcc_lo
	s_waitcnt vmcnt(0)
	v_subrev_nc_u32_e32 v6, s18, v6
	v_lshlrev_b32_e32 v12, 4, v6
	v_lshlrev_b64 v[12:13], 2, v[12:13]
	v_add_co_u32 v46, vcc_lo, s14, v12
	v_add_co_ci_u32_e64 v47, null, s15, v13, vcc_lo
	v_cmp_ge_i32_e32 vcc_lo, v5, v9
	s_clause 0x1
	global_load_dwordx4 v[10:13], v[54:55], off offset:16
	global_load_dwordx4 v[14:17], v[54:55], off
	s_clause 0x1
	global_load_dwordx4 v[18:21], v[46:47], off
	global_load_dwordx4 v[22:25], v[46:47], off offset:16
	s_clause 0x3
	global_load_dwordx4 v[26:29], v[54:55], off offset:32
	global_load_dwordx4 v[30:33], v[54:55], off offset:48
	;; [unrolled: 1-line block ×4, first 2 shown]
	s_clause 0x1
	global_load_dwordx4 v[42:45], v[46:47], off offset:32
	global_load_dwordx4 v[46:49], v[46:47], off offset:48
	s_clause 0x1
	global_load_dwordx4 v[50:53], v[54:55], off offset:96
	global_load_dwordx4 v[54:57], v[54:55], off offset:112
	s_or_b32 s3, vcc_lo, s3
	s_waitcnt vmcnt(9)
	v_fmac_f32_e32 v7, v14, v18
	v_fmac_f32_e32 v8, v15, v18
	v_fmac_f32_e32 v7, v16, v19
	v_fmac_f32_e32 v8, v17, v19
	v_fmac_f32_e32 v7, v10, v20
	v_fmac_f32_e32 v8, v11, v20
	v_fmac_f32_e32 v7, v12, v21
	v_fmac_f32_e32 v8, v13, v21
	s_waitcnt vmcnt(7)
	v_fmac_f32_e32 v7, v26, v22
	v_fmac_f32_e32 v8, v27, v22
	v_fmac_f32_e32 v7, v28, v23
	v_fmac_f32_e32 v8, v29, v23
	s_waitcnt vmcnt(6)
	v_fmac_f32_e32 v7, v30, v24
	v_fmac_f32_e32 v8, v31, v24
	v_fmac_f32_e32 v7, v32, v25
	v_fmac_f32_e32 v8, v33, v25
	;; [unrolled: 5-line block ×3, first 2 shown]
	v_fmac_f32_e32 v7, v34, v44
	v_fmac_f32_e32 v8, v35, v44
	;; [unrolled: 1-line block ×4, first 2 shown]
	s_waitcnt vmcnt(1)
	v_fmac_f32_e32 v7, v50, v46
	v_fmac_f32_e32 v8, v51, v46
	;; [unrolled: 1-line block ×4, first 2 shown]
	s_waitcnt vmcnt(0)
	v_fmac_f32_e32 v7, v54, v48
	v_fmac_f32_e32 v8, v55, v48
	;; [unrolled: 1-line block ×4, first 2 shown]
	s_andn2_b32 exec_lo, exec_lo, s3
	s_cbranch_execnz .LBB74_9
; %bb.10:
	s_or_b32 exec_lo, exec_lo, s3
.LBB74_11:
	s_or_b32 exec_lo, exec_lo, s1
	s_cbranch_execz .LBB74_13
	s_branch .LBB74_18
.LBB74_12:
                                        ; implicit-def: $vgpr7
                                        ; implicit-def: $vgpr8
.LBB74_13:
	v_mov_b32_e32 v7, 0
	v_mov_b32_e32 v8, 0
	s_and_saveexec_b32 s1, s0
	s_cbranch_execz .LBB74_17
; %bb.14:
	v_mov_b32_e32 v5, 0
	v_lshlrev_b32_e32 v4, 5, v2
	s_mov_b32 s0, 0
	v_mov_b32_e32 v7, v5
	v_mov_b32_e32 v8, v5
.LBB74_15:                              ; =>This Inner Loop Header: Depth=1
	v_ashrrev_i32_e32 v3, 31, v2
	v_mov_b32_e32 v13, v5
	v_lshlrev_b64 v[10:11], 2, v[2:3]
	v_add_nc_u32_e32 v2, 64, v2
	v_add_co_u32 v10, vcc_lo, s10, v10
	v_add_co_ci_u32_e64 v11, null, s11, v11, vcc_lo
	global_load_dword v3, v[10:11], off
	v_lshlrev_b64 v[10:11], 2, v[4:5]
	v_add_nc_u32_e32 v4, 0x800, v4
	v_add_co_u32 v46, vcc_lo, s12, v10
	v_add_co_ci_u32_e64 v47, null, s13, v11, vcc_lo
	s_waitcnt vmcnt(0)
	v_subrev_nc_u32_e32 v3, s18, v3
	v_lshlrev_b32_e32 v12, 4, v3
	v_lshlrev_b64 v[14:15], 2, v[12:13]
	global_load_dwordx4 v[10:13], v[46:47], off offset:16
	v_add_co_u32 v54, vcc_lo, s14, v14
	v_add_co_ci_u32_e64 v55, null, s15, v15, vcc_lo
	s_clause 0x2
	global_load_dwordx4 v[14:17], v[46:47], off
	global_load_dwordx4 v[18:21], v[46:47], off offset:80
	global_load_dwordx4 v[22:25], v[46:47], off offset:64
	s_clause 0x1
	global_load_dwordx4 v[26:29], v[54:55], off
	global_load_dwordx4 v[30:33], v[54:55], off offset:16
	s_clause 0x3
	global_load_dwordx4 v[34:37], v[46:47], off offset:48
	global_load_dwordx4 v[38:41], v[46:47], off offset:32
	;; [unrolled: 1-line block ×4, first 2 shown]
	s_clause 0x1
	global_load_dwordx4 v[50:53], v[54:55], off offset:32
	global_load_dwordx4 v[54:57], v[54:55], off offset:48
	v_cmp_ge_i32_e32 vcc_lo, v2, v9
	s_or_b32 s0, vcc_lo, s0
	s_waitcnt vmcnt(7)
	v_fmac_f32_e32 v7, v14, v26
	v_fmac_f32_e32 v8, v22, v26
	v_fmac_f32_e32 v7, v15, v27
	v_fmac_f32_e32 v8, v23, v27
	v_fmac_f32_e32 v7, v16, v28
	v_fmac_f32_e32 v8, v24, v28
	v_fmac_f32_e32 v7, v17, v29
	v_fmac_f32_e32 v8, v25, v29
	s_waitcnt vmcnt(6)
	v_fmac_f32_e32 v7, v10, v30
	v_fmac_f32_e32 v8, v18, v30
	v_fmac_f32_e32 v7, v11, v31
	v_fmac_f32_e32 v8, v19, v31
	v_fmac_f32_e32 v7, v12, v32
	v_fmac_f32_e32 v8, v20, v32
	v_fmac_f32_e32 v7, v13, v33
	v_fmac_f32_e32 v8, v21, v33
	;; [unrolled: 9-line block ×4, first 2 shown]
	s_andn2_b32 exec_lo, exec_lo, s0
	s_cbranch_execnz .LBB74_15
; %bb.16:
	s_or_b32 exec_lo, exec_lo, s0
.LBB74_17:
	s_or_b32 exec_lo, exec_lo, s1
.LBB74_18:
	v_mbcnt_lo_u32_b32 v2, -1, 0
	s_mov_b32 s3, -1
	v_or_b32_e32 v3, 32, v2
	v_xor_b32_e32 v5, 16, v2
	v_cmp_gt_i32_e32 vcc_lo, 32, v3
	v_cndmask_b32_e32 v3, v2, v3, vcc_lo
	v_cmp_gt_i32_e32 vcc_lo, 32, v5
	v_lshlrev_b32_e32 v3, 2, v3
	v_cndmask_b32_e32 v5, v2, v5, vcc_lo
	ds_bpermute_b32 v4, v3, v7
	ds_bpermute_b32 v3, v3, v8
	v_lshlrev_b32_e32 v5, 2, v5
	s_waitcnt lgkmcnt(1)
	v_add_f32_e32 v4, v7, v4
	s_waitcnt lgkmcnt(0)
	v_add_f32_e32 v3, v8, v3
	v_xor_b32_e32 v7, 8, v2
	ds_bpermute_b32 v6, v5, v4
	ds_bpermute_b32 v5, v5, v3
	v_cmp_gt_i32_e32 vcc_lo, 32, v7
	v_cndmask_b32_e32 v7, v2, v7, vcc_lo
	v_lshlrev_b32_e32 v7, 2, v7
	s_waitcnt lgkmcnt(1)
	v_add_f32_e32 v4, v4, v6
	s_waitcnt lgkmcnt(0)
	v_add_f32_e32 v3, v3, v5
	ds_bpermute_b32 v5, v7, v4
	ds_bpermute_b32 v6, v7, v3
	v_xor_b32_e32 v7, 4, v2
	v_cmp_gt_i32_e32 vcc_lo, 32, v7
	v_cndmask_b32_e32 v7, v2, v7, vcc_lo
	v_lshlrev_b32_e32 v7, 2, v7
	s_waitcnt lgkmcnt(1)
	v_add_f32_e32 v4, v4, v5
	s_waitcnt lgkmcnt(0)
	v_add_f32_e32 v3, v3, v6
	ds_bpermute_b32 v5, v7, v4
	ds_bpermute_b32 v6, v7, v3
	v_xor_b32_e32 v7, 2, v2
	;; [unrolled: 10-line block ×3, first 2 shown]
	v_cmp_gt_i32_e32 vcc_lo, 32, v7
	v_cndmask_b32_e32 v2, v2, v7, vcc_lo
	v_cmp_eq_u32_e32 vcc_lo, 63, v0
	v_lshlrev_b32_e32 v7, 2, v2
	s_waitcnt lgkmcnt(1)
	v_add_f32_e32 v2, v4, v5
	s_waitcnt lgkmcnt(0)
	v_add_f32_e32 v3, v3, v6
	ds_bpermute_b32 v4, v7, v2
	ds_bpermute_b32 v5, v7, v3
	s_and_b32 exec_lo, exec_lo, vcc_lo
	s_cbranch_execz .LBB74_23
; %bb.19:
	s_load_dwordx2 s[0:1], s[4:5], 0x38
	s_waitcnt lgkmcnt(0)
	v_add_f32_e32 v0, v2, v4
	v_add_f32_e32 v3, v3, v5
	v_cmp_eq_f32_e64 s4, s2, 0
	v_mul_f32_e32 v2, s16, v0
	v_mul_f32_e32 v3, s16, v3
	v_lshlrev_b32_e32 v0, 1, v1
	s_and_b32 vcc_lo, exec_lo, s4
	s_cbranch_vccz .LBB74_21
; %bb.20:
	v_ashrrev_i32_e32 v1, 31, v0
	s_mov_b32 s3, 0
	v_lshlrev_b64 v[4:5], 2, v[0:1]
	v_add_co_u32 v4, vcc_lo, s0, v4
	v_add_co_ci_u32_e64 v5, null, s1, v5, vcc_lo
	global_store_dwordx2 v[4:5], v[2:3], off
.LBB74_21:
	s_andn2_b32 vcc_lo, exec_lo, s3
	s_cbranch_vccnz .LBB74_23
; %bb.22:
	v_ashrrev_i32_e32 v1, 31, v0
	v_lshlrev_b64 v[0:1], 2, v[0:1]
	v_add_co_u32 v0, vcc_lo, s0, v0
	v_add_co_ci_u32_e64 v1, null, s1, v1, vcc_lo
	global_load_dwordx2 v[4:5], v[0:1], off
	s_waitcnt vmcnt(0)
	v_fmac_f32_e32 v2, s2, v4
	v_fmac_f32_e32 v3, s2, v5
	global_store_dwordx2 v[0:1], v[2:3], off
.LBB74_23:
	s_endpgm
	.section	.rodata,"a",@progbits
	.p2align	6, 0x0
	.amdhsa_kernel _ZN9rocsparseL19gebsrmvn_2xn_kernelILj128ELj16ELj64EfEEvi20rocsparse_direction_NS_24const_host_device_scalarIT2_EEPKiS6_PKS3_S8_S4_PS3_21rocsparse_index_base_b
		.amdhsa_group_segment_fixed_size 0
		.amdhsa_private_segment_fixed_size 0
		.amdhsa_kernarg_size 72
		.amdhsa_user_sgpr_count 6
		.amdhsa_user_sgpr_private_segment_buffer 1
		.amdhsa_user_sgpr_dispatch_ptr 0
		.amdhsa_user_sgpr_queue_ptr 0
		.amdhsa_user_sgpr_kernarg_segment_ptr 1
		.amdhsa_user_sgpr_dispatch_id 0
		.amdhsa_user_sgpr_flat_scratch_init 0
		.amdhsa_user_sgpr_private_segment_size 0
		.amdhsa_wavefront_size32 1
		.amdhsa_uses_dynamic_stack 0
		.amdhsa_system_sgpr_private_segment_wavefront_offset 0
		.amdhsa_system_sgpr_workgroup_id_x 1
		.amdhsa_system_sgpr_workgroup_id_y 0
		.amdhsa_system_sgpr_workgroup_id_z 0
		.amdhsa_system_sgpr_workgroup_info 0
		.amdhsa_system_vgpr_workitem_id 0
		.amdhsa_next_free_vgpr 58
		.amdhsa_next_free_sgpr 20
		.amdhsa_reserve_vcc 1
		.amdhsa_reserve_flat_scratch 0
		.amdhsa_float_round_mode_32 0
		.amdhsa_float_round_mode_16_64 0
		.amdhsa_float_denorm_mode_32 3
		.amdhsa_float_denorm_mode_16_64 3
		.amdhsa_dx10_clamp 1
		.amdhsa_ieee_mode 1
		.amdhsa_fp16_overflow 0
		.amdhsa_workgroup_processor_mode 1
		.amdhsa_memory_ordered 1
		.amdhsa_forward_progress 1
		.amdhsa_shared_vgpr_count 0
		.amdhsa_exception_fp_ieee_invalid_op 0
		.amdhsa_exception_fp_denorm_src 0
		.amdhsa_exception_fp_ieee_div_zero 0
		.amdhsa_exception_fp_ieee_overflow 0
		.amdhsa_exception_fp_ieee_underflow 0
		.amdhsa_exception_fp_ieee_inexact 0
		.amdhsa_exception_int_div_zero 0
	.end_amdhsa_kernel
	.section	.text._ZN9rocsparseL19gebsrmvn_2xn_kernelILj128ELj16ELj64EfEEvi20rocsparse_direction_NS_24const_host_device_scalarIT2_EEPKiS6_PKS3_S8_S4_PS3_21rocsparse_index_base_b,"axG",@progbits,_ZN9rocsparseL19gebsrmvn_2xn_kernelILj128ELj16ELj64EfEEvi20rocsparse_direction_NS_24const_host_device_scalarIT2_EEPKiS6_PKS3_S8_S4_PS3_21rocsparse_index_base_b,comdat
.Lfunc_end74:
	.size	_ZN9rocsparseL19gebsrmvn_2xn_kernelILj128ELj16ELj64EfEEvi20rocsparse_direction_NS_24const_host_device_scalarIT2_EEPKiS6_PKS3_S8_S4_PS3_21rocsparse_index_base_b, .Lfunc_end74-_ZN9rocsparseL19gebsrmvn_2xn_kernelILj128ELj16ELj64EfEEvi20rocsparse_direction_NS_24const_host_device_scalarIT2_EEPKiS6_PKS3_S8_S4_PS3_21rocsparse_index_base_b
                                        ; -- End function
	.set _ZN9rocsparseL19gebsrmvn_2xn_kernelILj128ELj16ELj64EfEEvi20rocsparse_direction_NS_24const_host_device_scalarIT2_EEPKiS6_PKS3_S8_S4_PS3_21rocsparse_index_base_b.num_vgpr, 58
	.set _ZN9rocsparseL19gebsrmvn_2xn_kernelILj128ELj16ELj64EfEEvi20rocsparse_direction_NS_24const_host_device_scalarIT2_EEPKiS6_PKS3_S8_S4_PS3_21rocsparse_index_base_b.num_agpr, 0
	.set _ZN9rocsparseL19gebsrmvn_2xn_kernelILj128ELj16ELj64EfEEvi20rocsparse_direction_NS_24const_host_device_scalarIT2_EEPKiS6_PKS3_S8_S4_PS3_21rocsparse_index_base_b.numbered_sgpr, 20
	.set _ZN9rocsparseL19gebsrmvn_2xn_kernelILj128ELj16ELj64EfEEvi20rocsparse_direction_NS_24const_host_device_scalarIT2_EEPKiS6_PKS3_S8_S4_PS3_21rocsparse_index_base_b.num_named_barrier, 0
	.set _ZN9rocsparseL19gebsrmvn_2xn_kernelILj128ELj16ELj64EfEEvi20rocsparse_direction_NS_24const_host_device_scalarIT2_EEPKiS6_PKS3_S8_S4_PS3_21rocsparse_index_base_b.private_seg_size, 0
	.set _ZN9rocsparseL19gebsrmvn_2xn_kernelILj128ELj16ELj64EfEEvi20rocsparse_direction_NS_24const_host_device_scalarIT2_EEPKiS6_PKS3_S8_S4_PS3_21rocsparse_index_base_b.uses_vcc, 1
	.set _ZN9rocsparseL19gebsrmvn_2xn_kernelILj128ELj16ELj64EfEEvi20rocsparse_direction_NS_24const_host_device_scalarIT2_EEPKiS6_PKS3_S8_S4_PS3_21rocsparse_index_base_b.uses_flat_scratch, 0
	.set _ZN9rocsparseL19gebsrmvn_2xn_kernelILj128ELj16ELj64EfEEvi20rocsparse_direction_NS_24const_host_device_scalarIT2_EEPKiS6_PKS3_S8_S4_PS3_21rocsparse_index_base_b.has_dyn_sized_stack, 0
	.set _ZN9rocsparseL19gebsrmvn_2xn_kernelILj128ELj16ELj64EfEEvi20rocsparse_direction_NS_24const_host_device_scalarIT2_EEPKiS6_PKS3_S8_S4_PS3_21rocsparse_index_base_b.has_recursion, 0
	.set _ZN9rocsparseL19gebsrmvn_2xn_kernelILj128ELj16ELj64EfEEvi20rocsparse_direction_NS_24const_host_device_scalarIT2_EEPKiS6_PKS3_S8_S4_PS3_21rocsparse_index_base_b.has_indirect_call, 0
	.section	.AMDGPU.csdata,"",@progbits
; Kernel info:
; codeLenInByte = 1560
; TotalNumSgprs: 22
; NumVgprs: 58
; ScratchSize: 0
; MemoryBound: 0
; FloatMode: 240
; IeeeMode: 1
; LDSByteSize: 0 bytes/workgroup (compile time only)
; SGPRBlocks: 0
; VGPRBlocks: 7
; NumSGPRsForWavesPerEU: 22
; NumVGPRsForWavesPerEU: 58
; Occupancy: 16
; WaveLimiterHint : 1
; COMPUTE_PGM_RSRC2:SCRATCH_EN: 0
; COMPUTE_PGM_RSRC2:USER_SGPR: 6
; COMPUTE_PGM_RSRC2:TRAP_HANDLER: 0
; COMPUTE_PGM_RSRC2:TGID_X_EN: 1
; COMPUTE_PGM_RSRC2:TGID_Y_EN: 0
; COMPUTE_PGM_RSRC2:TGID_Z_EN: 0
; COMPUTE_PGM_RSRC2:TIDIG_COMP_CNT: 0
	.section	.text._ZN9rocsparseL23gebsrmvn_general_kernelILj32ELj32EfEEvi20rocsparse_direction_NS_24const_host_device_scalarIT1_EEPKiS6_PKS3_iiS8_S4_PS3_21rocsparse_index_base_b,"axG",@progbits,_ZN9rocsparseL23gebsrmvn_general_kernelILj32ELj32EfEEvi20rocsparse_direction_NS_24const_host_device_scalarIT1_EEPKiS6_PKS3_iiS8_S4_PS3_21rocsparse_index_base_b,comdat
	.globl	_ZN9rocsparseL23gebsrmvn_general_kernelILj32ELj32EfEEvi20rocsparse_direction_NS_24const_host_device_scalarIT1_EEPKiS6_PKS3_iiS8_S4_PS3_21rocsparse_index_base_b ; -- Begin function _ZN9rocsparseL23gebsrmvn_general_kernelILj32ELj32EfEEvi20rocsparse_direction_NS_24const_host_device_scalarIT1_EEPKiS6_PKS3_iiS8_S4_PS3_21rocsparse_index_base_b
	.p2align	8
	.type	_ZN9rocsparseL23gebsrmvn_general_kernelILj32ELj32EfEEvi20rocsparse_direction_NS_24const_host_device_scalarIT1_EEPKiS6_PKS3_iiS8_S4_PS3_21rocsparse_index_base_b,@function
_ZN9rocsparseL23gebsrmvn_general_kernelILj32ELj32EfEEvi20rocsparse_direction_NS_24const_host_device_scalarIT1_EEPKiS6_PKS3_iiS8_S4_PS3_21rocsparse_index_base_b: ; @_ZN9rocsparseL23gebsrmvn_general_kernelILj32ELj32EfEEvi20rocsparse_direction_NS_24const_host_device_scalarIT1_EEPKiS6_PKS3_iiS8_S4_PS3_21rocsparse_index_base_b
; %bb.0:
	s_clause 0x2
	s_load_dwordx2 s[2:3], s[4:5], 0x48
	s_load_dwordx2 s[12:13], s[4:5], 0x8
	;; [unrolled: 1-line block ×3, first 2 shown]
	s_waitcnt lgkmcnt(0)
	s_bitcmp1_b32 s3, 0
	s_cselect_b32 s0, -1, 0
	s_and_b32 vcc_lo, exec_lo, s0
	s_xor_b32 s0, s0, -1
	s_cbranch_vccnz .LBB75_2
; %bb.1:
	s_load_dword s12, s[12:13], 0x0
.LBB75_2:
	s_andn2_b32 vcc_lo, exec_lo, s0
	s_cbranch_vccnz .LBB75_4
; %bb.3:
	s_load_dword s14, s[14:15], 0x0
.LBB75_4:
	s_waitcnt lgkmcnt(0)
	v_cmp_eq_f32_e64 s0, s12, 0
	v_cmp_eq_f32_e64 s1, s14, 1.0
	s_and_b32 s0, s0, s1
	s_and_b32 vcc_lo, exec_lo, s0
	s_cbranch_vccnz .LBB75_24
; %bb.5:
	s_load_dwordx2 s[16:17], s[4:5], 0x28
	s_waitcnt lgkmcnt(0)
	s_cmp_gt_i32 s16, 0
	s_cselect_b32 s0, -1, 0
	s_and_saveexec_b32 s1, s0
	s_cbranch_execz .LBB75_24
; %bb.6:
	s_clause 0x3
	s_load_dwordx4 s[8:11], s[4:5], 0x10
	s_load_dwordx2 s[18:19], s[4:5], 0x20
	s_load_dwordx2 s[20:21], s[4:5], 0x30
	;; [unrolled: 1-line block ×3, first 2 shown]
	v_mbcnt_lo_u32_b32 v2, -1, 0
	s_ashr_i32 s7, s6, 31
	s_load_dword s15, s[4:5], 0x4
	s_lshl_b64 s[4:5], s[6:7], 2
	v_mov_b32_e32 v1, 0
	v_xor_b32_e32 v3, 16, v2
	v_xor_b32_e32 v4, 8, v2
	;; [unrolled: 1-line block ×5, first 2 shown]
	v_cmp_gt_i32_e32 vcc_lo, 32, v3
	v_cmp_gt_i32_e64 s0, s17, v0
	v_cmp_eq_u32_e64 s1, 31, v0
	v_cmp_eq_f32_e64 s7, s14, 0
	s_mov_b32 s3, 0
	v_cndmask_b32_e32 v3, v2, v3, vcc_lo
	s_waitcnt lgkmcnt(0)
	s_add_u32 s4, s8, s4
	s_addc_u32 s5, s9, s5
	v_cmp_gt_i32_e32 vcc_lo, 32, v4
	s_load_dwordx2 s[4:5], s[4:5], 0x0
	s_mul_i32 s6, s16, s6
	s_mul_i32 s24, s17, s16
	v_cndmask_b32_e32 v8, v2, v4, vcc_lo
	v_cmp_gt_i32_e32 vcc_lo, 32, v5
	v_lshlrev_b32_e32 v4, 2, v3
	v_cndmask_b32_e32 v9, v2, v5, vcc_lo
	v_cmp_gt_i32_e32 vcc_lo, 32, v6
	v_lshlrev_b32_e32 v5, 2, v8
	;; [unrolled: 3-line block ×3, first 2 shown]
	s_waitcnt lgkmcnt(0)
	s_sub_i32 s8, s4, s2
	s_sub_i32 s9, s5, s2
	v_cndmask_b32_e32 v2, v2, v7, vcc_lo
	s_cmp_lt_i32 s4, s5
	s_mul_i32 s4, s16, s8
	v_lshlrev_b32_e32 v7, 2, v10
	s_mul_i32 s4, s17, s4
	v_lshlrev_b32_e32 v8, 2, v2
	v_mov_b32_e32 v9, s4
	s_cselect_b32 s13, -1, 0
	s_cmp_lg_u32 s15, 0
	s_cselect_b32 s15, -1, 0
	s_branch .LBB75_8
.LBB75_7:                               ;   in Loop: Header=BB75_8 Depth=1
	s_or_b32 exec_lo, exec_lo, s4
	v_add_nc_u32_e32 v1, 1, v1
	v_add_nc_u32_e32 v9, s17, v9
	v_cmp_le_i32_e32 vcc_lo, s16, v1
	s_or_b32 s3, vcc_lo, s3
	s_andn2_b32 exec_lo, exec_lo, s3
	s_cbranch_execz .LBB75_24
.LBB75_8:                               ; =>This Loop Header: Depth=1
                                        ;     Child Loop BB75_12 Depth 2
                                        ;       Child Loop BB75_15 Depth 3
	v_mov_b32_e32 v10, 0
	s_andn2_b32 vcc_lo, exec_lo, s13
	s_cbranch_vccnz .LBB75_19
; %bb.9:                                ;   in Loop: Header=BB75_8 Depth=1
	v_mov_b32_e32 v10, 0
	v_mov_b32_e32 v11, v9
	s_mov_b32 s4, s8
	s_branch .LBB75_12
.LBB75_10:                              ;   in Loop: Header=BB75_12 Depth=2
	s_inst_prefetch 0x2
	s_or_b32 exec_lo, exec_lo, s26
.LBB75_11:                              ;   in Loop: Header=BB75_12 Depth=2
	s_or_b32 exec_lo, exec_lo, s25
	v_add_nc_u32_e32 v11, s24, v11
	s_add_i32 s4, s4, 1
	s_cmp_ge_i32 s4, s9
	s_cbranch_scc1 .LBB75_19
.LBB75_12:                              ;   Parent Loop BB75_8 Depth=1
                                        ; =>  This Loop Header: Depth=2
                                        ;       Child Loop BB75_15 Depth 3
	s_and_saveexec_b32 s25, s0
	s_cbranch_execz .LBB75_11
; %bb.13:                               ;   in Loop: Header=BB75_12 Depth=2
	s_ashr_i32 s5, s4, 31
	v_mov_b32_e32 v12, v0
	s_lshl_b64 s[26:27], s[4:5], 2
	s_add_u32 s26, s10, s26
	s_addc_u32 s27, s11, s27
	s_load_dword s5, s[26:27], 0x0
	s_mov_b32 s26, 0
	s_waitcnt lgkmcnt(0)
	s_sub_i32 s27, s5, s2
	s_mul_i32 s5, s4, s17
	s_mul_i32 s27, s27, s17
	s_inst_prefetch 0x1
	s_branch .LBB75_15
	.p2align	6
.LBB75_14:                              ;   in Loop: Header=BB75_15 Depth=3
	v_add_nc_u32_e32 v13, s27, v12
	v_ashrrev_i32_e32 v3, 31, v2
	v_add_nc_u32_e32 v12, 32, v12
	v_ashrrev_i32_e32 v14, 31, v13
	v_lshlrev_b64 v[2:3], 2, v[2:3]
	v_lshlrev_b64 v[13:14], 2, v[13:14]
	v_add_co_u32 v2, vcc_lo, s18, v2
	v_add_co_ci_u32_e64 v3, null, s19, v3, vcc_lo
	v_add_co_u32 v13, vcc_lo, s20, v13
	v_add_co_ci_u32_e64 v14, null, s21, v14, vcc_lo
	v_cmp_le_i32_e32 vcc_lo, s17, v12
	global_load_dword v2, v[2:3], off
	global_load_dword v3, v[13:14], off
	s_or_b32 s26, vcc_lo, s26
	s_waitcnt vmcnt(0)
	v_fmac_f32_e32 v10, v2, v3
	s_andn2_b32 exec_lo, exec_lo, s26
	s_cbranch_execz .LBB75_10
.LBB75_15:                              ;   Parent Loop BB75_8 Depth=1
                                        ;     Parent Loop BB75_12 Depth=2
                                        ; =>    This Inner Loop Header: Depth=3
	s_and_b32 vcc_lo, exec_lo, s15
	s_cbranch_vccz .LBB75_17
; %bb.16:                               ;   in Loop: Header=BB75_15 Depth=3
	v_add_nc_u32_e32 v2, s5, v12
	v_mad_u64_u32 v[2:3], null, v2, s16, v[1:2]
	s_cbranch_execnz .LBB75_14
	s_branch .LBB75_18
	.p2align	6
.LBB75_17:                              ;   in Loop: Header=BB75_15 Depth=3
                                        ; implicit-def: $vgpr2
.LBB75_18:                              ;   in Loop: Header=BB75_15 Depth=3
	v_add_nc_u32_e32 v2, v11, v12
	s_branch .LBB75_14
.LBB75_19:                              ;   in Loop: Header=BB75_8 Depth=1
	ds_bpermute_b32 v2, v4, v10
	s_waitcnt lgkmcnt(0)
	v_add_f32_e32 v2, v10, v2
	ds_bpermute_b32 v3, v5, v2
	s_waitcnt lgkmcnt(0)
	v_add_f32_e32 v2, v2, v3
	;; [unrolled: 3-line block ×4, first 2 shown]
	ds_bpermute_b32 v3, v8, v2
	s_and_saveexec_b32 s4, s1
	s_cbranch_execz .LBB75_7
; %bb.20:                               ;   in Loop: Header=BB75_8 Depth=1
	s_waitcnt lgkmcnt(0)
	v_add_f32_e32 v3, v2, v3
	v_add_nc_u32_e32 v2, s6, v1
	s_and_b32 vcc_lo, exec_lo, s7
	v_mul_f32_e32 v10, s12, v3
	v_ashrrev_i32_e32 v3, 31, v2
	s_cbranch_vccz .LBB75_22
; %bb.21:                               ;   in Loop: Header=BB75_8 Depth=1
	v_lshlrev_b64 v[11:12], 2, v[2:3]
	v_add_co_u32 v11, vcc_lo, s22, v11
	v_add_co_ci_u32_e64 v12, null, s23, v12, vcc_lo
	global_store_dword v[11:12], v10, off
	s_cbranch_execnz .LBB75_7
	s_branch .LBB75_23
.LBB75_22:                              ;   in Loop: Header=BB75_8 Depth=1
.LBB75_23:                              ;   in Loop: Header=BB75_8 Depth=1
	v_lshlrev_b64 v[2:3], 2, v[2:3]
	v_add_co_u32 v2, vcc_lo, s22, v2
	v_add_co_ci_u32_e64 v3, null, s23, v3, vcc_lo
	global_load_dword v11, v[2:3], off
	s_waitcnt vmcnt(0)
	v_fmac_f32_e32 v10, s14, v11
	global_store_dword v[2:3], v10, off
	s_branch .LBB75_7
.LBB75_24:
	s_endpgm
	.section	.rodata,"a",@progbits
	.p2align	6, 0x0
	.amdhsa_kernel _ZN9rocsparseL23gebsrmvn_general_kernelILj32ELj32EfEEvi20rocsparse_direction_NS_24const_host_device_scalarIT1_EEPKiS6_PKS3_iiS8_S4_PS3_21rocsparse_index_base_b
		.amdhsa_group_segment_fixed_size 0
		.amdhsa_private_segment_fixed_size 0
		.amdhsa_kernarg_size 80
		.amdhsa_user_sgpr_count 6
		.amdhsa_user_sgpr_private_segment_buffer 1
		.amdhsa_user_sgpr_dispatch_ptr 0
		.amdhsa_user_sgpr_queue_ptr 0
		.amdhsa_user_sgpr_kernarg_segment_ptr 1
		.amdhsa_user_sgpr_dispatch_id 0
		.amdhsa_user_sgpr_flat_scratch_init 0
		.amdhsa_user_sgpr_private_segment_size 0
		.amdhsa_wavefront_size32 1
		.amdhsa_uses_dynamic_stack 0
		.amdhsa_system_sgpr_private_segment_wavefront_offset 0
		.amdhsa_system_sgpr_workgroup_id_x 1
		.amdhsa_system_sgpr_workgroup_id_y 0
		.amdhsa_system_sgpr_workgroup_id_z 0
		.amdhsa_system_sgpr_workgroup_info 0
		.amdhsa_system_vgpr_workitem_id 0
		.amdhsa_next_free_vgpr 15
		.amdhsa_next_free_sgpr 28
		.amdhsa_reserve_vcc 1
		.amdhsa_reserve_flat_scratch 0
		.amdhsa_float_round_mode_32 0
		.amdhsa_float_round_mode_16_64 0
		.amdhsa_float_denorm_mode_32 3
		.amdhsa_float_denorm_mode_16_64 3
		.amdhsa_dx10_clamp 1
		.amdhsa_ieee_mode 1
		.amdhsa_fp16_overflow 0
		.amdhsa_workgroup_processor_mode 1
		.amdhsa_memory_ordered 1
		.amdhsa_forward_progress 1
		.amdhsa_shared_vgpr_count 0
		.amdhsa_exception_fp_ieee_invalid_op 0
		.amdhsa_exception_fp_denorm_src 0
		.amdhsa_exception_fp_ieee_div_zero 0
		.amdhsa_exception_fp_ieee_overflow 0
		.amdhsa_exception_fp_ieee_underflow 0
		.amdhsa_exception_fp_ieee_inexact 0
		.amdhsa_exception_int_div_zero 0
	.end_amdhsa_kernel
	.section	.text._ZN9rocsparseL23gebsrmvn_general_kernelILj32ELj32EfEEvi20rocsparse_direction_NS_24const_host_device_scalarIT1_EEPKiS6_PKS3_iiS8_S4_PS3_21rocsparse_index_base_b,"axG",@progbits,_ZN9rocsparseL23gebsrmvn_general_kernelILj32ELj32EfEEvi20rocsparse_direction_NS_24const_host_device_scalarIT1_EEPKiS6_PKS3_iiS8_S4_PS3_21rocsparse_index_base_b,comdat
.Lfunc_end75:
	.size	_ZN9rocsparseL23gebsrmvn_general_kernelILj32ELj32EfEEvi20rocsparse_direction_NS_24const_host_device_scalarIT1_EEPKiS6_PKS3_iiS8_S4_PS3_21rocsparse_index_base_b, .Lfunc_end75-_ZN9rocsparseL23gebsrmvn_general_kernelILj32ELj32EfEEvi20rocsparse_direction_NS_24const_host_device_scalarIT1_EEPKiS6_PKS3_iiS8_S4_PS3_21rocsparse_index_base_b
                                        ; -- End function
	.set _ZN9rocsparseL23gebsrmvn_general_kernelILj32ELj32EfEEvi20rocsparse_direction_NS_24const_host_device_scalarIT1_EEPKiS6_PKS3_iiS8_S4_PS3_21rocsparse_index_base_b.num_vgpr, 15
	.set _ZN9rocsparseL23gebsrmvn_general_kernelILj32ELj32EfEEvi20rocsparse_direction_NS_24const_host_device_scalarIT1_EEPKiS6_PKS3_iiS8_S4_PS3_21rocsparse_index_base_b.num_agpr, 0
	.set _ZN9rocsparseL23gebsrmvn_general_kernelILj32ELj32EfEEvi20rocsparse_direction_NS_24const_host_device_scalarIT1_EEPKiS6_PKS3_iiS8_S4_PS3_21rocsparse_index_base_b.numbered_sgpr, 28
	.set _ZN9rocsparseL23gebsrmvn_general_kernelILj32ELj32EfEEvi20rocsparse_direction_NS_24const_host_device_scalarIT1_EEPKiS6_PKS3_iiS8_S4_PS3_21rocsparse_index_base_b.num_named_barrier, 0
	.set _ZN9rocsparseL23gebsrmvn_general_kernelILj32ELj32EfEEvi20rocsparse_direction_NS_24const_host_device_scalarIT1_EEPKiS6_PKS3_iiS8_S4_PS3_21rocsparse_index_base_b.private_seg_size, 0
	.set _ZN9rocsparseL23gebsrmvn_general_kernelILj32ELj32EfEEvi20rocsparse_direction_NS_24const_host_device_scalarIT1_EEPKiS6_PKS3_iiS8_S4_PS3_21rocsparse_index_base_b.uses_vcc, 1
	.set _ZN9rocsparseL23gebsrmvn_general_kernelILj32ELj32EfEEvi20rocsparse_direction_NS_24const_host_device_scalarIT1_EEPKiS6_PKS3_iiS8_S4_PS3_21rocsparse_index_base_b.uses_flat_scratch, 0
	.set _ZN9rocsparseL23gebsrmvn_general_kernelILj32ELj32EfEEvi20rocsparse_direction_NS_24const_host_device_scalarIT1_EEPKiS6_PKS3_iiS8_S4_PS3_21rocsparse_index_base_b.has_dyn_sized_stack, 0
	.set _ZN9rocsparseL23gebsrmvn_general_kernelILj32ELj32EfEEvi20rocsparse_direction_NS_24const_host_device_scalarIT1_EEPKiS6_PKS3_iiS8_S4_PS3_21rocsparse_index_base_b.has_recursion, 0
	.set _ZN9rocsparseL23gebsrmvn_general_kernelILj32ELj32EfEEvi20rocsparse_direction_NS_24const_host_device_scalarIT1_EEPKiS6_PKS3_iiS8_S4_PS3_21rocsparse_index_base_b.has_indirect_call, 0
	.section	.AMDGPU.csdata,"",@progbits
; Kernel info:
; codeLenInByte = 980
; TotalNumSgprs: 30
; NumVgprs: 15
; ScratchSize: 0
; MemoryBound: 0
; FloatMode: 240
; IeeeMode: 1
; LDSByteSize: 0 bytes/workgroup (compile time only)
; SGPRBlocks: 0
; VGPRBlocks: 1
; NumSGPRsForWavesPerEU: 30
; NumVGPRsForWavesPerEU: 15
; Occupancy: 16
; WaveLimiterHint : 1
; COMPUTE_PGM_RSRC2:SCRATCH_EN: 0
; COMPUTE_PGM_RSRC2:USER_SGPR: 6
; COMPUTE_PGM_RSRC2:TRAP_HANDLER: 0
; COMPUTE_PGM_RSRC2:TGID_X_EN: 1
; COMPUTE_PGM_RSRC2:TGID_Y_EN: 0
; COMPUTE_PGM_RSRC2:TGID_Z_EN: 0
; COMPUTE_PGM_RSRC2:TIDIG_COMP_CNT: 0
	.section	.text._ZN9rocsparseL19gebsrmvn_2xn_kernelILj128ELj1ELj4EdEEvi20rocsparse_direction_NS_24const_host_device_scalarIT2_EEPKiS6_PKS3_S8_S4_PS3_21rocsparse_index_base_b,"axG",@progbits,_ZN9rocsparseL19gebsrmvn_2xn_kernelILj128ELj1ELj4EdEEvi20rocsparse_direction_NS_24const_host_device_scalarIT2_EEPKiS6_PKS3_S8_S4_PS3_21rocsparse_index_base_b,comdat
	.globl	_ZN9rocsparseL19gebsrmvn_2xn_kernelILj128ELj1ELj4EdEEvi20rocsparse_direction_NS_24const_host_device_scalarIT2_EEPKiS6_PKS3_S8_S4_PS3_21rocsparse_index_base_b ; -- Begin function _ZN9rocsparseL19gebsrmvn_2xn_kernelILj128ELj1ELj4EdEEvi20rocsparse_direction_NS_24const_host_device_scalarIT2_EEPKiS6_PKS3_S8_S4_PS3_21rocsparse_index_base_b
	.p2align	8
	.type	_ZN9rocsparseL19gebsrmvn_2xn_kernelILj128ELj1ELj4EdEEvi20rocsparse_direction_NS_24const_host_device_scalarIT2_EEPKiS6_PKS3_S8_S4_PS3_21rocsparse_index_base_b,@function
_ZN9rocsparseL19gebsrmvn_2xn_kernelILj128ELj1ELj4EdEEvi20rocsparse_direction_NS_24const_host_device_scalarIT2_EEPKiS6_PKS3_S8_S4_PS3_21rocsparse_index_base_b: ; @_ZN9rocsparseL19gebsrmvn_2xn_kernelILj128ELj1ELj4EdEEvi20rocsparse_direction_NS_24const_host_device_scalarIT2_EEPKiS6_PKS3_S8_S4_PS3_21rocsparse_index_base_b
; %bb.0:
	s_clause 0x2
	s_load_dwordx2 s[2:3], s[4:5], 0x40
	s_load_dwordx2 s[8:9], s[4:5], 0x8
	;; [unrolled: 1-line block ×3, first 2 shown]
	s_waitcnt lgkmcnt(0)
	s_bitcmp1_b32 s3, 0
	v_mov_b32_e32 v1, s8
	v_mov_b32_e32 v2, s9
	s_cselect_b32 s3, -1, 0
	s_and_b32 vcc_lo, exec_lo, s3
	s_xor_b32 s3, s3, -1
	s_cbranch_vccnz .LBB76_2
; %bb.1:
	v_mov_b32_e32 v1, s8
	v_mov_b32_e32 v2, s9
	flat_load_dwordx2 v[1:2], v[1:2]
.LBB76_2:
	v_mov_b32_e32 v4, s1
	v_mov_b32_e32 v3, s0
	s_andn2_b32 vcc_lo, exec_lo, s3
	s_cbranch_vccnz .LBB76_4
; %bb.3:
	v_mov_b32_e32 v4, s1
	v_mov_b32_e32 v3, s0
	flat_load_dwordx2 v[3:4], v[3:4]
.LBB76_4:
	s_waitcnt vmcnt(0) lgkmcnt(0)
	v_cmp_neq_f64_e32 vcc_lo, 0, v[1:2]
	v_cmp_neq_f64_e64 s0, 1.0, v[3:4]
	s_or_b32 s0, vcc_lo, s0
	s_and_saveexec_b32 s1, s0
	s_cbranch_execz .LBB76_23
; %bb.5:
	s_load_dwordx2 s[0:1], s[4:5], 0x0
	v_lshrrev_b32_e32 v5, 2, v0
	v_lshl_or_b32 v5, s6, 5, v5
	s_waitcnt lgkmcnt(0)
	v_cmp_gt_i32_e32 vcc_lo, s0, v5
	s_and_b32 exec_lo, exec_lo, vcc_lo
	s_cbranch_execz .LBB76_23
; %bb.6:
	s_load_dwordx8 s[8:15], s[4:5], 0x10
	v_ashrrev_i32_e32 v6, 31, v5
	v_and_b32_e32 v0, 3, v0
	s_cmp_lg_u32 s1, 0
	v_lshlrev_b64 v[6:7], 2, v[5:6]
	s_waitcnt lgkmcnt(0)
	v_add_co_u32 v6, vcc_lo, s8, v6
	v_add_co_ci_u32_e64 v7, null, s9, v7, vcc_lo
	global_load_dwordx2 v[6:7], v[6:7], off
	s_waitcnt vmcnt(0)
	v_subrev_nc_u32_e32 v6, s2, v6
	v_subrev_nc_u32_e32 v15, s2, v7
	v_add_nc_u32_e32 v10, v6, v0
	v_cmp_lt_i32_e64 s0, v10, v15
	s_cbranch_scc0 .LBB76_12
; %bb.7:
	v_mov_b32_e32 v6, 0
	v_mov_b32_e32 v8, 0
	;; [unrolled: 1-line block ×4, first 2 shown]
	s_and_saveexec_b32 s1, s0
	s_cbranch_execz .LBB76_11
; %bb.8:
	v_mov_b32_e32 v6, 0
	v_mov_b32_e32 v8, 0
	v_lshlrev_b32_e32 v11, 1, v10
	v_mov_b32_e32 v7, 0
	v_mov_b32_e32 v12, 0
	;; [unrolled: 1-line block ×4, first 2 shown]
	s_mov_b32 s3, 0
	s_inst_prefetch 0x1
	.p2align	6
.LBB76_9:                               ; =>This Inner Loop Header: Depth=1
	v_ashrrev_i32_e32 v14, 31, v13
	v_mov_b32_e32 v19, v12
	v_lshlrev_b64 v[16:17], 2, v[13:14]
	v_add_nc_u32_e32 v13, 4, v13
	v_add_co_u32 v16, vcc_lo, s10, v16
	v_add_co_ci_u32_e64 v17, null, s11, v17, vcc_lo
	global_load_dword v14, v[16:17], off
	v_lshlrev_b64 v[16:17], 3, v[11:12]
	v_add_nc_u32_e32 v11, 8, v11
	v_add_co_u32 v16, vcc_lo, s12, v16
	v_add_co_ci_u32_e64 v17, null, s13, v17, vcc_lo
	s_waitcnt vmcnt(0)
	v_subrev_nc_u32_e32 v18, s2, v14
	v_lshlrev_b64 v[18:19], 3, v[18:19]
	v_add_co_u32 v20, vcc_lo, s14, v18
	v_add_co_ci_u32_e64 v21, null, s15, v19, vcc_lo
	v_cmp_ge_i32_e32 vcc_lo, v13, v15
	global_load_dwordx4 v[16:19], v[16:17], off
	global_load_dwordx2 v[20:21], v[20:21], off
	s_or_b32 s3, vcc_lo, s3
	s_waitcnt vmcnt(0)
	v_fma_f64 v[6:7], v[16:17], v[20:21], v[6:7]
	v_fma_f64 v[8:9], v[18:19], v[20:21], v[8:9]
	s_andn2_b32 exec_lo, exec_lo, s3
	s_cbranch_execnz .LBB76_9
; %bb.10:
	s_inst_prefetch 0x2
	s_or_b32 exec_lo, exec_lo, s3
.LBB76_11:
	s_or_b32 exec_lo, exec_lo, s1
	s_cbranch_execz .LBB76_13
	s_branch .LBB76_18
.LBB76_12:
                                        ; implicit-def: $vgpr6_vgpr7
                                        ; implicit-def: $vgpr8_vgpr9
.LBB76_13:
	v_mov_b32_e32 v6, 0
	v_mov_b32_e32 v8, 0
	;; [unrolled: 1-line block ×4, first 2 shown]
	s_and_saveexec_b32 s1, s0
	s_cbranch_execz .LBB76_17
; %bb.14:
	v_mov_b32_e32 v6, 0
	v_mov_b32_e32 v8, 0
	v_lshlrev_b32_e32 v12, 1, v10
	v_mov_b32_e32 v7, 0
	v_mov_b32_e32 v9, 0
	;; [unrolled: 1-line block ×3, first 2 shown]
	s_mov_b32 s0, 0
	s_inst_prefetch 0x1
	.p2align	6
.LBB76_15:                              ; =>This Inner Loop Header: Depth=1
	v_ashrrev_i32_e32 v11, 31, v10
	v_mov_b32_e32 v19, v13
	v_lshlrev_b64 v[16:17], 2, v[10:11]
	v_add_nc_u32_e32 v10, 4, v10
	v_add_co_u32 v16, vcc_lo, s10, v16
	v_add_co_ci_u32_e64 v17, null, s11, v17, vcc_lo
	global_load_dword v11, v[16:17], off
	v_lshlrev_b64 v[16:17], 3, v[12:13]
	v_add_nc_u32_e32 v12, 8, v12
	v_add_co_u32 v16, vcc_lo, s12, v16
	v_add_co_ci_u32_e64 v17, null, s13, v17, vcc_lo
	s_waitcnt vmcnt(0)
	v_subrev_nc_u32_e32 v18, s2, v11
	v_lshlrev_b64 v[18:19], 3, v[18:19]
	v_add_co_u32 v20, vcc_lo, s14, v18
	v_add_co_ci_u32_e64 v21, null, s15, v19, vcc_lo
	v_cmp_ge_i32_e32 vcc_lo, v10, v15
	global_load_dwordx4 v[16:19], v[16:17], off
	global_load_dwordx2 v[20:21], v[20:21], off
	s_or_b32 s0, vcc_lo, s0
	s_waitcnt vmcnt(0)
	v_fma_f64 v[6:7], v[16:17], v[20:21], v[6:7]
	v_fma_f64 v[8:9], v[18:19], v[20:21], v[8:9]
	s_andn2_b32 exec_lo, exec_lo, s0
	s_cbranch_execnz .LBB76_15
; %bb.16:
	s_inst_prefetch 0x2
	s_or_b32 exec_lo, exec_lo, s0
.LBB76_17:
	s_or_b32 exec_lo, exec_lo, s1
.LBB76_18:
	v_mbcnt_lo_u32_b32 v14, -1, 0
	v_xor_b32_e32 v10, 2, v14
	v_cmp_gt_i32_e32 vcc_lo, 32, v10
	v_cndmask_b32_e32 v10, v14, v10, vcc_lo
	v_lshlrev_b32_e32 v13, 2, v10
	ds_bpermute_b32 v10, v13, v6
	ds_bpermute_b32 v11, v13, v7
	;; [unrolled: 1-line block ×4, first 2 shown]
	s_waitcnt lgkmcnt(2)
	v_add_f64 v[6:7], v[6:7], v[10:11]
	s_waitcnt lgkmcnt(0)
	v_add_f64 v[10:11], v[8:9], v[12:13]
	v_xor_b32_e32 v8, 1, v14
	v_cmp_gt_i32_e32 vcc_lo, 32, v8
	v_cndmask_b32_e32 v8, v14, v8, vcc_lo
	v_cmp_eq_u32_e32 vcc_lo, 3, v0
	v_lshlrev_b32_e32 v13, 2, v8
	ds_bpermute_b32 v8, v13, v6
	ds_bpermute_b32 v9, v13, v7
	;; [unrolled: 1-line block ×4, first 2 shown]
	s_and_b32 exec_lo, exec_lo, vcc_lo
	s_cbranch_execz .LBB76_23
; %bb.19:
	s_waitcnt lgkmcnt(2)
	v_add_f64 v[8:9], v[6:7], v[8:9]
	s_waitcnt lgkmcnt(0)
	v_add_f64 v[6:7], v[10:11], v[12:13]
	s_load_dwordx2 s[0:1], s[4:5], 0x38
	s_mov_b32 s2, exec_lo
	v_cmpx_eq_f64_e32 0, v[3:4]
	s_xor_b32 s2, exec_lo, s2
	s_cbranch_execz .LBB76_21
; %bb.20:
	v_lshlrev_b32_e32 v0, 1, v5
	v_mul_f64 v[3:4], v[1:2], v[8:9]
	v_mul_f64 v[5:6], v[1:2], v[6:7]
                                        ; implicit-def: $vgpr8_vgpr9
	v_ashrrev_i32_e32 v1, 31, v0
	v_lshlrev_b64 v[0:1], 3, v[0:1]
	s_waitcnt lgkmcnt(0)
	v_add_co_u32 v0, vcc_lo, s0, v0
	v_add_co_ci_u32_e64 v1, null, s1, v1, vcc_lo
	global_store_dwordx4 v[0:1], v[3:6], off
                                        ; implicit-def: $vgpr5
                                        ; implicit-def: $vgpr1_vgpr2
                                        ; implicit-def: $vgpr3_vgpr4
                                        ; implicit-def: $vgpr6_vgpr7
.LBB76_21:
	s_andn2_saveexec_b32 s2, s2
	s_cbranch_execz .LBB76_23
; %bb.22:
	v_lshlrev_b32_e32 v10, 1, v5
	v_mul_f64 v[8:9], v[1:2], v[8:9]
	v_mul_f64 v[5:6], v[1:2], v[6:7]
	v_ashrrev_i32_e32 v11, 31, v10
	v_lshlrev_b64 v[10:11], 3, v[10:11]
	s_waitcnt lgkmcnt(0)
	v_add_co_u32 v14, vcc_lo, s0, v10
	v_add_co_ci_u32_e64 v15, null, s1, v11, vcc_lo
	global_load_dwordx4 v[10:13], v[14:15], off
	s_waitcnt vmcnt(0)
	v_fma_f64 v[0:1], v[3:4], v[10:11], v[8:9]
	v_fma_f64 v[2:3], v[3:4], v[12:13], v[5:6]
	global_store_dwordx4 v[14:15], v[0:3], off
.LBB76_23:
	s_endpgm
	.section	.rodata,"a",@progbits
	.p2align	6, 0x0
	.amdhsa_kernel _ZN9rocsparseL19gebsrmvn_2xn_kernelILj128ELj1ELj4EdEEvi20rocsparse_direction_NS_24const_host_device_scalarIT2_EEPKiS6_PKS3_S8_S4_PS3_21rocsparse_index_base_b
		.amdhsa_group_segment_fixed_size 0
		.amdhsa_private_segment_fixed_size 0
		.amdhsa_kernarg_size 72
		.amdhsa_user_sgpr_count 6
		.amdhsa_user_sgpr_private_segment_buffer 1
		.amdhsa_user_sgpr_dispatch_ptr 0
		.amdhsa_user_sgpr_queue_ptr 0
		.amdhsa_user_sgpr_kernarg_segment_ptr 1
		.amdhsa_user_sgpr_dispatch_id 0
		.amdhsa_user_sgpr_flat_scratch_init 0
		.amdhsa_user_sgpr_private_segment_size 0
		.amdhsa_wavefront_size32 1
		.amdhsa_uses_dynamic_stack 0
		.amdhsa_system_sgpr_private_segment_wavefront_offset 0
		.amdhsa_system_sgpr_workgroup_id_x 1
		.amdhsa_system_sgpr_workgroup_id_y 0
		.amdhsa_system_sgpr_workgroup_id_z 0
		.amdhsa_system_sgpr_workgroup_info 0
		.amdhsa_system_vgpr_workitem_id 0
		.amdhsa_next_free_vgpr 22
		.amdhsa_next_free_sgpr 16
		.amdhsa_reserve_vcc 1
		.amdhsa_reserve_flat_scratch 0
		.amdhsa_float_round_mode_32 0
		.amdhsa_float_round_mode_16_64 0
		.amdhsa_float_denorm_mode_32 3
		.amdhsa_float_denorm_mode_16_64 3
		.amdhsa_dx10_clamp 1
		.amdhsa_ieee_mode 1
		.amdhsa_fp16_overflow 0
		.amdhsa_workgroup_processor_mode 1
		.amdhsa_memory_ordered 1
		.amdhsa_forward_progress 1
		.amdhsa_shared_vgpr_count 0
		.amdhsa_exception_fp_ieee_invalid_op 0
		.amdhsa_exception_fp_denorm_src 0
		.amdhsa_exception_fp_ieee_div_zero 0
		.amdhsa_exception_fp_ieee_overflow 0
		.amdhsa_exception_fp_ieee_underflow 0
		.amdhsa_exception_fp_ieee_inexact 0
		.amdhsa_exception_int_div_zero 0
	.end_amdhsa_kernel
	.section	.text._ZN9rocsparseL19gebsrmvn_2xn_kernelILj128ELj1ELj4EdEEvi20rocsparse_direction_NS_24const_host_device_scalarIT2_EEPKiS6_PKS3_S8_S4_PS3_21rocsparse_index_base_b,"axG",@progbits,_ZN9rocsparseL19gebsrmvn_2xn_kernelILj128ELj1ELj4EdEEvi20rocsparse_direction_NS_24const_host_device_scalarIT2_EEPKiS6_PKS3_S8_S4_PS3_21rocsparse_index_base_b,comdat
.Lfunc_end76:
	.size	_ZN9rocsparseL19gebsrmvn_2xn_kernelILj128ELj1ELj4EdEEvi20rocsparse_direction_NS_24const_host_device_scalarIT2_EEPKiS6_PKS3_S8_S4_PS3_21rocsparse_index_base_b, .Lfunc_end76-_ZN9rocsparseL19gebsrmvn_2xn_kernelILj128ELj1ELj4EdEEvi20rocsparse_direction_NS_24const_host_device_scalarIT2_EEPKiS6_PKS3_S8_S4_PS3_21rocsparse_index_base_b
                                        ; -- End function
	.set _ZN9rocsparseL19gebsrmvn_2xn_kernelILj128ELj1ELj4EdEEvi20rocsparse_direction_NS_24const_host_device_scalarIT2_EEPKiS6_PKS3_S8_S4_PS3_21rocsparse_index_base_b.num_vgpr, 22
	.set _ZN9rocsparseL19gebsrmvn_2xn_kernelILj128ELj1ELj4EdEEvi20rocsparse_direction_NS_24const_host_device_scalarIT2_EEPKiS6_PKS3_S8_S4_PS3_21rocsparse_index_base_b.num_agpr, 0
	.set _ZN9rocsparseL19gebsrmvn_2xn_kernelILj128ELj1ELj4EdEEvi20rocsparse_direction_NS_24const_host_device_scalarIT2_EEPKiS6_PKS3_S8_S4_PS3_21rocsparse_index_base_b.numbered_sgpr, 16
	.set _ZN9rocsparseL19gebsrmvn_2xn_kernelILj128ELj1ELj4EdEEvi20rocsparse_direction_NS_24const_host_device_scalarIT2_EEPKiS6_PKS3_S8_S4_PS3_21rocsparse_index_base_b.num_named_barrier, 0
	.set _ZN9rocsparseL19gebsrmvn_2xn_kernelILj128ELj1ELj4EdEEvi20rocsparse_direction_NS_24const_host_device_scalarIT2_EEPKiS6_PKS3_S8_S4_PS3_21rocsparse_index_base_b.private_seg_size, 0
	.set _ZN9rocsparseL19gebsrmvn_2xn_kernelILj128ELj1ELj4EdEEvi20rocsparse_direction_NS_24const_host_device_scalarIT2_EEPKiS6_PKS3_S8_S4_PS3_21rocsparse_index_base_b.uses_vcc, 1
	.set _ZN9rocsparseL19gebsrmvn_2xn_kernelILj128ELj1ELj4EdEEvi20rocsparse_direction_NS_24const_host_device_scalarIT2_EEPKiS6_PKS3_S8_S4_PS3_21rocsparse_index_base_b.uses_flat_scratch, 0
	.set _ZN9rocsparseL19gebsrmvn_2xn_kernelILj128ELj1ELj4EdEEvi20rocsparse_direction_NS_24const_host_device_scalarIT2_EEPKiS6_PKS3_S8_S4_PS3_21rocsparse_index_base_b.has_dyn_sized_stack, 0
	.set _ZN9rocsparseL19gebsrmvn_2xn_kernelILj128ELj1ELj4EdEEvi20rocsparse_direction_NS_24const_host_device_scalarIT2_EEPKiS6_PKS3_S8_S4_PS3_21rocsparse_index_base_b.has_recursion, 0
	.set _ZN9rocsparseL19gebsrmvn_2xn_kernelILj128ELj1ELj4EdEEvi20rocsparse_direction_NS_24const_host_device_scalarIT2_EEPKiS6_PKS3_S8_S4_PS3_21rocsparse_index_base_b.has_indirect_call, 0
	.section	.AMDGPU.csdata,"",@progbits
; Kernel info:
; codeLenInByte = 1092
; TotalNumSgprs: 18
; NumVgprs: 22
; ScratchSize: 0
; MemoryBound: 0
; FloatMode: 240
; IeeeMode: 1
; LDSByteSize: 0 bytes/workgroup (compile time only)
; SGPRBlocks: 0
; VGPRBlocks: 2
; NumSGPRsForWavesPerEU: 18
; NumVGPRsForWavesPerEU: 22
; Occupancy: 16
; WaveLimiterHint : 1
; COMPUTE_PGM_RSRC2:SCRATCH_EN: 0
; COMPUTE_PGM_RSRC2:USER_SGPR: 6
; COMPUTE_PGM_RSRC2:TRAP_HANDLER: 0
; COMPUTE_PGM_RSRC2:TGID_X_EN: 1
; COMPUTE_PGM_RSRC2:TGID_Y_EN: 0
; COMPUTE_PGM_RSRC2:TGID_Z_EN: 0
; COMPUTE_PGM_RSRC2:TIDIG_COMP_CNT: 0
	.section	.text._ZN9rocsparseL19gebsrmvn_2xn_kernelILj128ELj1ELj8EdEEvi20rocsparse_direction_NS_24const_host_device_scalarIT2_EEPKiS6_PKS3_S8_S4_PS3_21rocsparse_index_base_b,"axG",@progbits,_ZN9rocsparseL19gebsrmvn_2xn_kernelILj128ELj1ELj8EdEEvi20rocsparse_direction_NS_24const_host_device_scalarIT2_EEPKiS6_PKS3_S8_S4_PS3_21rocsparse_index_base_b,comdat
	.globl	_ZN9rocsparseL19gebsrmvn_2xn_kernelILj128ELj1ELj8EdEEvi20rocsparse_direction_NS_24const_host_device_scalarIT2_EEPKiS6_PKS3_S8_S4_PS3_21rocsparse_index_base_b ; -- Begin function _ZN9rocsparseL19gebsrmvn_2xn_kernelILj128ELj1ELj8EdEEvi20rocsparse_direction_NS_24const_host_device_scalarIT2_EEPKiS6_PKS3_S8_S4_PS3_21rocsparse_index_base_b
	.p2align	8
	.type	_ZN9rocsparseL19gebsrmvn_2xn_kernelILj128ELj1ELj8EdEEvi20rocsparse_direction_NS_24const_host_device_scalarIT2_EEPKiS6_PKS3_S8_S4_PS3_21rocsparse_index_base_b,@function
_ZN9rocsparseL19gebsrmvn_2xn_kernelILj128ELj1ELj8EdEEvi20rocsparse_direction_NS_24const_host_device_scalarIT2_EEPKiS6_PKS3_S8_S4_PS3_21rocsparse_index_base_b: ; @_ZN9rocsparseL19gebsrmvn_2xn_kernelILj128ELj1ELj8EdEEvi20rocsparse_direction_NS_24const_host_device_scalarIT2_EEPKiS6_PKS3_S8_S4_PS3_21rocsparse_index_base_b
; %bb.0:
	s_clause 0x2
	s_load_dwordx2 s[2:3], s[4:5], 0x40
	s_load_dwordx2 s[8:9], s[4:5], 0x8
	;; [unrolled: 1-line block ×3, first 2 shown]
	s_waitcnt lgkmcnt(0)
	s_bitcmp1_b32 s3, 0
	v_mov_b32_e32 v1, s8
	v_mov_b32_e32 v2, s9
	s_cselect_b32 s3, -1, 0
	s_and_b32 vcc_lo, exec_lo, s3
	s_xor_b32 s3, s3, -1
	s_cbranch_vccnz .LBB77_2
; %bb.1:
	v_mov_b32_e32 v1, s8
	v_mov_b32_e32 v2, s9
	flat_load_dwordx2 v[1:2], v[1:2]
.LBB77_2:
	v_mov_b32_e32 v4, s1
	v_mov_b32_e32 v3, s0
	s_andn2_b32 vcc_lo, exec_lo, s3
	s_cbranch_vccnz .LBB77_4
; %bb.3:
	v_mov_b32_e32 v4, s1
	v_mov_b32_e32 v3, s0
	flat_load_dwordx2 v[3:4], v[3:4]
.LBB77_4:
	s_waitcnt vmcnt(0) lgkmcnt(0)
	v_cmp_neq_f64_e32 vcc_lo, 0, v[1:2]
	v_cmp_neq_f64_e64 s0, 1.0, v[3:4]
	s_or_b32 s0, vcc_lo, s0
	s_and_saveexec_b32 s1, s0
	s_cbranch_execz .LBB77_23
; %bb.5:
	s_load_dwordx2 s[0:1], s[4:5], 0x0
	v_lshrrev_b32_e32 v5, 3, v0
	v_lshl_or_b32 v5, s6, 4, v5
	s_waitcnt lgkmcnt(0)
	v_cmp_gt_i32_e32 vcc_lo, s0, v5
	s_and_b32 exec_lo, exec_lo, vcc_lo
	s_cbranch_execz .LBB77_23
; %bb.6:
	s_load_dwordx8 s[8:15], s[4:5], 0x10
	v_ashrrev_i32_e32 v6, 31, v5
	v_and_b32_e32 v0, 7, v0
	s_cmp_lg_u32 s1, 0
	v_lshlrev_b64 v[6:7], 2, v[5:6]
	s_waitcnt lgkmcnt(0)
	v_add_co_u32 v6, vcc_lo, s8, v6
	v_add_co_ci_u32_e64 v7, null, s9, v7, vcc_lo
	global_load_dwordx2 v[6:7], v[6:7], off
	s_waitcnt vmcnt(0)
	v_subrev_nc_u32_e32 v6, s2, v6
	v_subrev_nc_u32_e32 v15, s2, v7
	v_add_nc_u32_e32 v10, v6, v0
	v_cmp_lt_i32_e64 s0, v10, v15
	s_cbranch_scc0 .LBB77_12
; %bb.7:
	v_mov_b32_e32 v6, 0
	v_mov_b32_e32 v8, 0
	;; [unrolled: 1-line block ×4, first 2 shown]
	s_and_saveexec_b32 s1, s0
	s_cbranch_execz .LBB77_11
; %bb.8:
	v_mov_b32_e32 v6, 0
	v_mov_b32_e32 v8, 0
	v_lshlrev_b32_e32 v11, 1, v10
	v_mov_b32_e32 v7, 0
	v_mov_b32_e32 v12, 0
	;; [unrolled: 1-line block ×4, first 2 shown]
	s_mov_b32 s3, 0
	s_inst_prefetch 0x1
	.p2align	6
.LBB77_9:                               ; =>This Inner Loop Header: Depth=1
	v_ashrrev_i32_e32 v14, 31, v13
	v_mov_b32_e32 v19, v12
	v_lshlrev_b64 v[16:17], 2, v[13:14]
	v_add_nc_u32_e32 v13, 8, v13
	v_add_co_u32 v16, vcc_lo, s10, v16
	v_add_co_ci_u32_e64 v17, null, s11, v17, vcc_lo
	global_load_dword v14, v[16:17], off
	v_lshlrev_b64 v[16:17], 3, v[11:12]
	v_add_nc_u32_e32 v11, 16, v11
	v_add_co_u32 v16, vcc_lo, s12, v16
	v_add_co_ci_u32_e64 v17, null, s13, v17, vcc_lo
	s_waitcnt vmcnt(0)
	v_subrev_nc_u32_e32 v18, s2, v14
	v_lshlrev_b64 v[18:19], 3, v[18:19]
	v_add_co_u32 v20, vcc_lo, s14, v18
	v_add_co_ci_u32_e64 v21, null, s15, v19, vcc_lo
	v_cmp_ge_i32_e32 vcc_lo, v13, v15
	global_load_dwordx4 v[16:19], v[16:17], off
	global_load_dwordx2 v[20:21], v[20:21], off
	s_or_b32 s3, vcc_lo, s3
	s_waitcnt vmcnt(0)
	v_fma_f64 v[6:7], v[16:17], v[20:21], v[6:7]
	v_fma_f64 v[8:9], v[18:19], v[20:21], v[8:9]
	s_andn2_b32 exec_lo, exec_lo, s3
	s_cbranch_execnz .LBB77_9
; %bb.10:
	s_inst_prefetch 0x2
	s_or_b32 exec_lo, exec_lo, s3
.LBB77_11:
	s_or_b32 exec_lo, exec_lo, s1
	s_cbranch_execz .LBB77_13
	s_branch .LBB77_18
.LBB77_12:
                                        ; implicit-def: $vgpr6_vgpr7
                                        ; implicit-def: $vgpr8_vgpr9
.LBB77_13:
	v_mov_b32_e32 v6, 0
	v_mov_b32_e32 v8, 0
	;; [unrolled: 1-line block ×4, first 2 shown]
	s_and_saveexec_b32 s1, s0
	s_cbranch_execz .LBB77_17
; %bb.14:
	v_mov_b32_e32 v6, 0
	v_mov_b32_e32 v8, 0
	v_lshlrev_b32_e32 v12, 1, v10
	v_mov_b32_e32 v7, 0
	v_mov_b32_e32 v9, 0
	;; [unrolled: 1-line block ×3, first 2 shown]
	s_mov_b32 s0, 0
	s_inst_prefetch 0x1
	.p2align	6
.LBB77_15:                              ; =>This Inner Loop Header: Depth=1
	v_ashrrev_i32_e32 v11, 31, v10
	v_mov_b32_e32 v19, v13
	v_lshlrev_b64 v[16:17], 2, v[10:11]
	v_add_nc_u32_e32 v10, 8, v10
	v_add_co_u32 v16, vcc_lo, s10, v16
	v_add_co_ci_u32_e64 v17, null, s11, v17, vcc_lo
	global_load_dword v11, v[16:17], off
	v_lshlrev_b64 v[16:17], 3, v[12:13]
	v_add_nc_u32_e32 v12, 16, v12
	v_add_co_u32 v16, vcc_lo, s12, v16
	v_add_co_ci_u32_e64 v17, null, s13, v17, vcc_lo
	s_waitcnt vmcnt(0)
	v_subrev_nc_u32_e32 v18, s2, v11
	v_lshlrev_b64 v[18:19], 3, v[18:19]
	v_add_co_u32 v20, vcc_lo, s14, v18
	v_add_co_ci_u32_e64 v21, null, s15, v19, vcc_lo
	v_cmp_ge_i32_e32 vcc_lo, v10, v15
	global_load_dwordx4 v[16:19], v[16:17], off
	global_load_dwordx2 v[20:21], v[20:21], off
	s_or_b32 s0, vcc_lo, s0
	s_waitcnt vmcnt(0)
	v_fma_f64 v[6:7], v[16:17], v[20:21], v[6:7]
	v_fma_f64 v[8:9], v[18:19], v[20:21], v[8:9]
	s_andn2_b32 exec_lo, exec_lo, s0
	s_cbranch_execnz .LBB77_15
; %bb.16:
	s_inst_prefetch 0x2
	s_or_b32 exec_lo, exec_lo, s0
.LBB77_17:
	s_or_b32 exec_lo, exec_lo, s1
.LBB77_18:
	v_mbcnt_lo_u32_b32 v14, -1, 0
	v_xor_b32_e32 v10, 4, v14
	v_cmp_gt_i32_e32 vcc_lo, 32, v10
	v_cndmask_b32_e32 v10, v14, v10, vcc_lo
	v_lshlrev_b32_e32 v13, 2, v10
	ds_bpermute_b32 v10, v13, v6
	ds_bpermute_b32 v11, v13, v7
	;; [unrolled: 1-line block ×4, first 2 shown]
	s_waitcnt lgkmcnt(2)
	v_add_f64 v[6:7], v[6:7], v[10:11]
	v_xor_b32_e32 v10, 2, v14
	s_waitcnt lgkmcnt(0)
	v_add_f64 v[8:9], v[8:9], v[12:13]
	v_cmp_gt_i32_e32 vcc_lo, 32, v10
	v_cndmask_b32_e32 v10, v14, v10, vcc_lo
	v_lshlrev_b32_e32 v13, 2, v10
	ds_bpermute_b32 v10, v13, v6
	ds_bpermute_b32 v11, v13, v7
	;; [unrolled: 1-line block ×4, first 2 shown]
	s_waitcnt lgkmcnt(2)
	v_add_f64 v[6:7], v[6:7], v[10:11]
	s_waitcnt lgkmcnt(0)
	v_add_f64 v[10:11], v[8:9], v[12:13]
	v_xor_b32_e32 v8, 1, v14
	v_cmp_gt_i32_e32 vcc_lo, 32, v8
	v_cndmask_b32_e32 v8, v14, v8, vcc_lo
	v_cmp_eq_u32_e32 vcc_lo, 7, v0
	v_lshlrev_b32_e32 v13, 2, v8
	ds_bpermute_b32 v8, v13, v6
	ds_bpermute_b32 v9, v13, v7
	;; [unrolled: 1-line block ×4, first 2 shown]
	s_and_b32 exec_lo, exec_lo, vcc_lo
	s_cbranch_execz .LBB77_23
; %bb.19:
	s_waitcnt lgkmcnt(2)
	v_add_f64 v[8:9], v[6:7], v[8:9]
	s_waitcnt lgkmcnt(0)
	v_add_f64 v[6:7], v[10:11], v[12:13]
	s_load_dwordx2 s[0:1], s[4:5], 0x38
	s_mov_b32 s2, exec_lo
	v_cmpx_eq_f64_e32 0, v[3:4]
	s_xor_b32 s2, exec_lo, s2
	s_cbranch_execz .LBB77_21
; %bb.20:
	v_lshlrev_b32_e32 v0, 1, v5
	v_mul_f64 v[3:4], v[1:2], v[8:9]
	v_mul_f64 v[5:6], v[1:2], v[6:7]
                                        ; implicit-def: $vgpr8_vgpr9
	v_ashrrev_i32_e32 v1, 31, v0
	v_lshlrev_b64 v[0:1], 3, v[0:1]
	s_waitcnt lgkmcnt(0)
	v_add_co_u32 v0, vcc_lo, s0, v0
	v_add_co_ci_u32_e64 v1, null, s1, v1, vcc_lo
	global_store_dwordx4 v[0:1], v[3:6], off
                                        ; implicit-def: $vgpr5
                                        ; implicit-def: $vgpr1_vgpr2
                                        ; implicit-def: $vgpr3_vgpr4
                                        ; implicit-def: $vgpr6_vgpr7
.LBB77_21:
	s_andn2_saveexec_b32 s2, s2
	s_cbranch_execz .LBB77_23
; %bb.22:
	v_lshlrev_b32_e32 v10, 1, v5
	v_mul_f64 v[8:9], v[1:2], v[8:9]
	v_mul_f64 v[5:6], v[1:2], v[6:7]
	v_ashrrev_i32_e32 v11, 31, v10
	v_lshlrev_b64 v[10:11], 3, v[10:11]
	s_waitcnt lgkmcnt(0)
	v_add_co_u32 v14, vcc_lo, s0, v10
	v_add_co_ci_u32_e64 v15, null, s1, v11, vcc_lo
	global_load_dwordx4 v[10:13], v[14:15], off
	s_waitcnt vmcnt(0)
	v_fma_f64 v[0:1], v[3:4], v[10:11], v[8:9]
	v_fma_f64 v[2:3], v[3:4], v[12:13], v[5:6]
	global_store_dwordx4 v[14:15], v[0:3], off
.LBB77_23:
	s_endpgm
	.section	.rodata,"a",@progbits
	.p2align	6, 0x0
	.amdhsa_kernel _ZN9rocsparseL19gebsrmvn_2xn_kernelILj128ELj1ELj8EdEEvi20rocsparse_direction_NS_24const_host_device_scalarIT2_EEPKiS6_PKS3_S8_S4_PS3_21rocsparse_index_base_b
		.amdhsa_group_segment_fixed_size 0
		.amdhsa_private_segment_fixed_size 0
		.amdhsa_kernarg_size 72
		.amdhsa_user_sgpr_count 6
		.amdhsa_user_sgpr_private_segment_buffer 1
		.amdhsa_user_sgpr_dispatch_ptr 0
		.amdhsa_user_sgpr_queue_ptr 0
		.amdhsa_user_sgpr_kernarg_segment_ptr 1
		.amdhsa_user_sgpr_dispatch_id 0
		.amdhsa_user_sgpr_flat_scratch_init 0
		.amdhsa_user_sgpr_private_segment_size 0
		.amdhsa_wavefront_size32 1
		.amdhsa_uses_dynamic_stack 0
		.amdhsa_system_sgpr_private_segment_wavefront_offset 0
		.amdhsa_system_sgpr_workgroup_id_x 1
		.amdhsa_system_sgpr_workgroup_id_y 0
		.amdhsa_system_sgpr_workgroup_id_z 0
		.amdhsa_system_sgpr_workgroup_info 0
		.amdhsa_system_vgpr_workitem_id 0
		.amdhsa_next_free_vgpr 22
		.amdhsa_next_free_sgpr 16
		.amdhsa_reserve_vcc 1
		.amdhsa_reserve_flat_scratch 0
		.amdhsa_float_round_mode_32 0
		.amdhsa_float_round_mode_16_64 0
		.amdhsa_float_denorm_mode_32 3
		.amdhsa_float_denorm_mode_16_64 3
		.amdhsa_dx10_clamp 1
		.amdhsa_ieee_mode 1
		.amdhsa_fp16_overflow 0
		.amdhsa_workgroup_processor_mode 1
		.amdhsa_memory_ordered 1
		.amdhsa_forward_progress 1
		.amdhsa_shared_vgpr_count 0
		.amdhsa_exception_fp_ieee_invalid_op 0
		.amdhsa_exception_fp_denorm_src 0
		.amdhsa_exception_fp_ieee_div_zero 0
		.amdhsa_exception_fp_ieee_overflow 0
		.amdhsa_exception_fp_ieee_underflow 0
		.amdhsa_exception_fp_ieee_inexact 0
		.amdhsa_exception_int_div_zero 0
	.end_amdhsa_kernel
	.section	.text._ZN9rocsparseL19gebsrmvn_2xn_kernelILj128ELj1ELj8EdEEvi20rocsparse_direction_NS_24const_host_device_scalarIT2_EEPKiS6_PKS3_S8_S4_PS3_21rocsparse_index_base_b,"axG",@progbits,_ZN9rocsparseL19gebsrmvn_2xn_kernelILj128ELj1ELj8EdEEvi20rocsparse_direction_NS_24const_host_device_scalarIT2_EEPKiS6_PKS3_S8_S4_PS3_21rocsparse_index_base_b,comdat
.Lfunc_end77:
	.size	_ZN9rocsparseL19gebsrmvn_2xn_kernelILj128ELj1ELj8EdEEvi20rocsparse_direction_NS_24const_host_device_scalarIT2_EEPKiS6_PKS3_S8_S4_PS3_21rocsparse_index_base_b, .Lfunc_end77-_ZN9rocsparseL19gebsrmvn_2xn_kernelILj128ELj1ELj8EdEEvi20rocsparse_direction_NS_24const_host_device_scalarIT2_EEPKiS6_PKS3_S8_S4_PS3_21rocsparse_index_base_b
                                        ; -- End function
	.set _ZN9rocsparseL19gebsrmvn_2xn_kernelILj128ELj1ELj8EdEEvi20rocsparse_direction_NS_24const_host_device_scalarIT2_EEPKiS6_PKS3_S8_S4_PS3_21rocsparse_index_base_b.num_vgpr, 22
	.set _ZN9rocsparseL19gebsrmvn_2xn_kernelILj128ELj1ELj8EdEEvi20rocsparse_direction_NS_24const_host_device_scalarIT2_EEPKiS6_PKS3_S8_S4_PS3_21rocsparse_index_base_b.num_agpr, 0
	.set _ZN9rocsparseL19gebsrmvn_2xn_kernelILj128ELj1ELj8EdEEvi20rocsparse_direction_NS_24const_host_device_scalarIT2_EEPKiS6_PKS3_S8_S4_PS3_21rocsparse_index_base_b.numbered_sgpr, 16
	.set _ZN9rocsparseL19gebsrmvn_2xn_kernelILj128ELj1ELj8EdEEvi20rocsparse_direction_NS_24const_host_device_scalarIT2_EEPKiS6_PKS3_S8_S4_PS3_21rocsparse_index_base_b.num_named_barrier, 0
	.set _ZN9rocsparseL19gebsrmvn_2xn_kernelILj128ELj1ELj8EdEEvi20rocsparse_direction_NS_24const_host_device_scalarIT2_EEPKiS6_PKS3_S8_S4_PS3_21rocsparse_index_base_b.private_seg_size, 0
	.set _ZN9rocsparseL19gebsrmvn_2xn_kernelILj128ELj1ELj8EdEEvi20rocsparse_direction_NS_24const_host_device_scalarIT2_EEPKiS6_PKS3_S8_S4_PS3_21rocsparse_index_base_b.uses_vcc, 1
	.set _ZN9rocsparseL19gebsrmvn_2xn_kernelILj128ELj1ELj8EdEEvi20rocsparse_direction_NS_24const_host_device_scalarIT2_EEPKiS6_PKS3_S8_S4_PS3_21rocsparse_index_base_b.uses_flat_scratch, 0
	.set _ZN9rocsparseL19gebsrmvn_2xn_kernelILj128ELj1ELj8EdEEvi20rocsparse_direction_NS_24const_host_device_scalarIT2_EEPKiS6_PKS3_S8_S4_PS3_21rocsparse_index_base_b.has_dyn_sized_stack, 0
	.set _ZN9rocsparseL19gebsrmvn_2xn_kernelILj128ELj1ELj8EdEEvi20rocsparse_direction_NS_24const_host_device_scalarIT2_EEPKiS6_PKS3_S8_S4_PS3_21rocsparse_index_base_b.has_recursion, 0
	.set _ZN9rocsparseL19gebsrmvn_2xn_kernelILj128ELj1ELj8EdEEvi20rocsparse_direction_NS_24const_host_device_scalarIT2_EEPKiS6_PKS3_S8_S4_PS3_21rocsparse_index_base_b.has_indirect_call, 0
	.section	.AMDGPU.csdata,"",@progbits
; Kernel info:
; codeLenInByte = 1164
; TotalNumSgprs: 18
; NumVgprs: 22
; ScratchSize: 0
; MemoryBound: 0
; FloatMode: 240
; IeeeMode: 1
; LDSByteSize: 0 bytes/workgroup (compile time only)
; SGPRBlocks: 0
; VGPRBlocks: 2
; NumSGPRsForWavesPerEU: 18
; NumVGPRsForWavesPerEU: 22
; Occupancy: 16
; WaveLimiterHint : 1
; COMPUTE_PGM_RSRC2:SCRATCH_EN: 0
; COMPUTE_PGM_RSRC2:USER_SGPR: 6
; COMPUTE_PGM_RSRC2:TRAP_HANDLER: 0
; COMPUTE_PGM_RSRC2:TGID_X_EN: 1
; COMPUTE_PGM_RSRC2:TGID_Y_EN: 0
; COMPUTE_PGM_RSRC2:TGID_Z_EN: 0
; COMPUTE_PGM_RSRC2:TIDIG_COMP_CNT: 0
	.section	.text._ZN9rocsparseL19gebsrmvn_2xn_kernelILj128ELj1ELj16EdEEvi20rocsparse_direction_NS_24const_host_device_scalarIT2_EEPKiS6_PKS3_S8_S4_PS3_21rocsparse_index_base_b,"axG",@progbits,_ZN9rocsparseL19gebsrmvn_2xn_kernelILj128ELj1ELj16EdEEvi20rocsparse_direction_NS_24const_host_device_scalarIT2_EEPKiS6_PKS3_S8_S4_PS3_21rocsparse_index_base_b,comdat
	.globl	_ZN9rocsparseL19gebsrmvn_2xn_kernelILj128ELj1ELj16EdEEvi20rocsparse_direction_NS_24const_host_device_scalarIT2_EEPKiS6_PKS3_S8_S4_PS3_21rocsparse_index_base_b ; -- Begin function _ZN9rocsparseL19gebsrmvn_2xn_kernelILj128ELj1ELj16EdEEvi20rocsparse_direction_NS_24const_host_device_scalarIT2_EEPKiS6_PKS3_S8_S4_PS3_21rocsparse_index_base_b
	.p2align	8
	.type	_ZN9rocsparseL19gebsrmvn_2xn_kernelILj128ELj1ELj16EdEEvi20rocsparse_direction_NS_24const_host_device_scalarIT2_EEPKiS6_PKS3_S8_S4_PS3_21rocsparse_index_base_b,@function
_ZN9rocsparseL19gebsrmvn_2xn_kernelILj128ELj1ELj16EdEEvi20rocsparse_direction_NS_24const_host_device_scalarIT2_EEPKiS6_PKS3_S8_S4_PS3_21rocsparse_index_base_b: ; @_ZN9rocsparseL19gebsrmvn_2xn_kernelILj128ELj1ELj16EdEEvi20rocsparse_direction_NS_24const_host_device_scalarIT2_EEPKiS6_PKS3_S8_S4_PS3_21rocsparse_index_base_b
; %bb.0:
	s_clause 0x2
	s_load_dwordx2 s[2:3], s[4:5], 0x40
	s_load_dwordx2 s[8:9], s[4:5], 0x8
	;; [unrolled: 1-line block ×3, first 2 shown]
	s_waitcnt lgkmcnt(0)
	s_bitcmp1_b32 s3, 0
	v_mov_b32_e32 v1, s8
	v_mov_b32_e32 v2, s9
	s_cselect_b32 s3, -1, 0
	s_and_b32 vcc_lo, exec_lo, s3
	s_xor_b32 s3, s3, -1
	s_cbranch_vccnz .LBB78_2
; %bb.1:
	v_mov_b32_e32 v1, s8
	v_mov_b32_e32 v2, s9
	flat_load_dwordx2 v[1:2], v[1:2]
.LBB78_2:
	v_mov_b32_e32 v4, s1
	v_mov_b32_e32 v3, s0
	s_andn2_b32 vcc_lo, exec_lo, s3
	s_cbranch_vccnz .LBB78_4
; %bb.3:
	v_mov_b32_e32 v4, s1
	v_mov_b32_e32 v3, s0
	flat_load_dwordx2 v[3:4], v[3:4]
.LBB78_4:
	s_waitcnt vmcnt(0) lgkmcnt(0)
	v_cmp_neq_f64_e32 vcc_lo, 0, v[1:2]
	v_cmp_neq_f64_e64 s0, 1.0, v[3:4]
	s_or_b32 s0, vcc_lo, s0
	s_and_saveexec_b32 s1, s0
	s_cbranch_execz .LBB78_23
; %bb.5:
	s_load_dwordx2 s[0:1], s[4:5], 0x0
	v_lshrrev_b32_e32 v5, 4, v0
	v_lshl_or_b32 v5, s6, 3, v5
	s_waitcnt lgkmcnt(0)
	v_cmp_gt_i32_e32 vcc_lo, s0, v5
	s_and_b32 exec_lo, exec_lo, vcc_lo
	s_cbranch_execz .LBB78_23
; %bb.6:
	s_load_dwordx8 s[8:15], s[4:5], 0x10
	v_ashrrev_i32_e32 v6, 31, v5
	v_and_b32_e32 v0, 15, v0
	s_cmp_lg_u32 s1, 0
	v_lshlrev_b64 v[6:7], 2, v[5:6]
	s_waitcnt lgkmcnt(0)
	v_add_co_u32 v6, vcc_lo, s8, v6
	v_add_co_ci_u32_e64 v7, null, s9, v7, vcc_lo
	global_load_dwordx2 v[6:7], v[6:7], off
	s_waitcnt vmcnt(0)
	v_subrev_nc_u32_e32 v6, s2, v6
	v_subrev_nc_u32_e32 v15, s2, v7
	v_add_nc_u32_e32 v10, v6, v0
	v_cmp_lt_i32_e64 s0, v10, v15
	s_cbranch_scc0 .LBB78_12
; %bb.7:
	v_mov_b32_e32 v6, 0
	v_mov_b32_e32 v8, 0
	;; [unrolled: 1-line block ×4, first 2 shown]
	s_and_saveexec_b32 s1, s0
	s_cbranch_execz .LBB78_11
; %bb.8:
	v_mov_b32_e32 v6, 0
	v_mov_b32_e32 v8, 0
	v_lshlrev_b32_e32 v11, 1, v10
	v_mov_b32_e32 v7, 0
	v_mov_b32_e32 v12, 0
	;; [unrolled: 1-line block ×4, first 2 shown]
	s_mov_b32 s3, 0
	s_inst_prefetch 0x1
	.p2align	6
.LBB78_9:                               ; =>This Inner Loop Header: Depth=1
	v_ashrrev_i32_e32 v14, 31, v13
	v_mov_b32_e32 v19, v12
	v_lshlrev_b64 v[16:17], 2, v[13:14]
	v_add_nc_u32_e32 v13, 16, v13
	v_add_co_u32 v16, vcc_lo, s10, v16
	v_add_co_ci_u32_e64 v17, null, s11, v17, vcc_lo
	global_load_dword v14, v[16:17], off
	v_lshlrev_b64 v[16:17], 3, v[11:12]
	v_add_nc_u32_e32 v11, 32, v11
	v_add_co_u32 v16, vcc_lo, s12, v16
	v_add_co_ci_u32_e64 v17, null, s13, v17, vcc_lo
	s_waitcnt vmcnt(0)
	v_subrev_nc_u32_e32 v18, s2, v14
	v_lshlrev_b64 v[18:19], 3, v[18:19]
	v_add_co_u32 v20, vcc_lo, s14, v18
	v_add_co_ci_u32_e64 v21, null, s15, v19, vcc_lo
	v_cmp_ge_i32_e32 vcc_lo, v13, v15
	global_load_dwordx4 v[16:19], v[16:17], off
	global_load_dwordx2 v[20:21], v[20:21], off
	s_or_b32 s3, vcc_lo, s3
	s_waitcnt vmcnt(0)
	v_fma_f64 v[6:7], v[16:17], v[20:21], v[6:7]
	v_fma_f64 v[8:9], v[18:19], v[20:21], v[8:9]
	s_andn2_b32 exec_lo, exec_lo, s3
	s_cbranch_execnz .LBB78_9
; %bb.10:
	s_inst_prefetch 0x2
	s_or_b32 exec_lo, exec_lo, s3
.LBB78_11:
	s_or_b32 exec_lo, exec_lo, s1
	s_cbranch_execz .LBB78_13
	s_branch .LBB78_18
.LBB78_12:
                                        ; implicit-def: $vgpr6_vgpr7
                                        ; implicit-def: $vgpr8_vgpr9
.LBB78_13:
	v_mov_b32_e32 v6, 0
	v_mov_b32_e32 v8, 0
	;; [unrolled: 1-line block ×4, first 2 shown]
	s_and_saveexec_b32 s1, s0
	s_cbranch_execz .LBB78_17
; %bb.14:
	v_mov_b32_e32 v6, 0
	v_mov_b32_e32 v8, 0
	v_lshlrev_b32_e32 v12, 1, v10
	v_mov_b32_e32 v7, 0
	v_mov_b32_e32 v9, 0
	;; [unrolled: 1-line block ×3, first 2 shown]
	s_mov_b32 s0, 0
	s_inst_prefetch 0x1
	.p2align	6
.LBB78_15:                              ; =>This Inner Loop Header: Depth=1
	v_ashrrev_i32_e32 v11, 31, v10
	v_mov_b32_e32 v19, v13
	v_lshlrev_b64 v[16:17], 2, v[10:11]
	v_add_nc_u32_e32 v10, 16, v10
	v_add_co_u32 v16, vcc_lo, s10, v16
	v_add_co_ci_u32_e64 v17, null, s11, v17, vcc_lo
	global_load_dword v11, v[16:17], off
	v_lshlrev_b64 v[16:17], 3, v[12:13]
	v_add_nc_u32_e32 v12, 32, v12
	v_add_co_u32 v16, vcc_lo, s12, v16
	v_add_co_ci_u32_e64 v17, null, s13, v17, vcc_lo
	s_waitcnt vmcnt(0)
	v_subrev_nc_u32_e32 v18, s2, v11
	v_lshlrev_b64 v[18:19], 3, v[18:19]
	v_add_co_u32 v20, vcc_lo, s14, v18
	v_add_co_ci_u32_e64 v21, null, s15, v19, vcc_lo
	v_cmp_ge_i32_e32 vcc_lo, v10, v15
	global_load_dwordx4 v[16:19], v[16:17], off
	global_load_dwordx2 v[20:21], v[20:21], off
	s_or_b32 s0, vcc_lo, s0
	s_waitcnt vmcnt(0)
	v_fma_f64 v[6:7], v[16:17], v[20:21], v[6:7]
	v_fma_f64 v[8:9], v[18:19], v[20:21], v[8:9]
	s_andn2_b32 exec_lo, exec_lo, s0
	s_cbranch_execnz .LBB78_15
; %bb.16:
	s_inst_prefetch 0x2
	s_or_b32 exec_lo, exec_lo, s0
.LBB78_17:
	s_or_b32 exec_lo, exec_lo, s1
.LBB78_18:
	v_mbcnt_lo_u32_b32 v14, -1, 0
	v_xor_b32_e32 v10, 8, v14
	v_cmp_gt_i32_e32 vcc_lo, 32, v10
	v_cndmask_b32_e32 v10, v14, v10, vcc_lo
	v_lshlrev_b32_e32 v13, 2, v10
	ds_bpermute_b32 v10, v13, v6
	ds_bpermute_b32 v11, v13, v7
	;; [unrolled: 1-line block ×4, first 2 shown]
	s_waitcnt lgkmcnt(2)
	v_add_f64 v[6:7], v[6:7], v[10:11]
	v_xor_b32_e32 v10, 4, v14
	s_waitcnt lgkmcnt(0)
	v_add_f64 v[8:9], v[8:9], v[12:13]
	v_cmp_gt_i32_e32 vcc_lo, 32, v10
	v_cndmask_b32_e32 v10, v14, v10, vcc_lo
	v_lshlrev_b32_e32 v13, 2, v10
	ds_bpermute_b32 v10, v13, v6
	ds_bpermute_b32 v11, v13, v7
	;; [unrolled: 1-line block ×4, first 2 shown]
	s_waitcnt lgkmcnt(2)
	v_add_f64 v[6:7], v[6:7], v[10:11]
	v_xor_b32_e32 v10, 2, v14
	s_waitcnt lgkmcnt(0)
	v_add_f64 v[8:9], v[8:9], v[12:13]
	v_cmp_gt_i32_e32 vcc_lo, 32, v10
	v_cndmask_b32_e32 v10, v14, v10, vcc_lo
	v_lshlrev_b32_e32 v13, 2, v10
	ds_bpermute_b32 v10, v13, v6
	ds_bpermute_b32 v11, v13, v7
	;; [unrolled: 1-line block ×4, first 2 shown]
	s_waitcnt lgkmcnt(2)
	v_add_f64 v[6:7], v[6:7], v[10:11]
	s_waitcnt lgkmcnt(0)
	v_add_f64 v[10:11], v[8:9], v[12:13]
	v_xor_b32_e32 v8, 1, v14
	v_cmp_gt_i32_e32 vcc_lo, 32, v8
	v_cndmask_b32_e32 v8, v14, v8, vcc_lo
	v_cmp_eq_u32_e32 vcc_lo, 15, v0
	v_lshlrev_b32_e32 v13, 2, v8
	ds_bpermute_b32 v8, v13, v6
	ds_bpermute_b32 v9, v13, v7
	;; [unrolled: 1-line block ×4, first 2 shown]
	s_and_b32 exec_lo, exec_lo, vcc_lo
	s_cbranch_execz .LBB78_23
; %bb.19:
	s_waitcnt lgkmcnt(2)
	v_add_f64 v[8:9], v[6:7], v[8:9]
	s_waitcnt lgkmcnt(0)
	v_add_f64 v[6:7], v[10:11], v[12:13]
	s_load_dwordx2 s[0:1], s[4:5], 0x38
	s_mov_b32 s2, exec_lo
	v_cmpx_eq_f64_e32 0, v[3:4]
	s_xor_b32 s2, exec_lo, s2
	s_cbranch_execz .LBB78_21
; %bb.20:
	v_lshlrev_b32_e32 v0, 1, v5
	v_mul_f64 v[3:4], v[1:2], v[8:9]
	v_mul_f64 v[5:6], v[1:2], v[6:7]
                                        ; implicit-def: $vgpr8_vgpr9
	v_ashrrev_i32_e32 v1, 31, v0
	v_lshlrev_b64 v[0:1], 3, v[0:1]
	s_waitcnt lgkmcnt(0)
	v_add_co_u32 v0, vcc_lo, s0, v0
	v_add_co_ci_u32_e64 v1, null, s1, v1, vcc_lo
	global_store_dwordx4 v[0:1], v[3:6], off
                                        ; implicit-def: $vgpr5
                                        ; implicit-def: $vgpr1_vgpr2
                                        ; implicit-def: $vgpr3_vgpr4
                                        ; implicit-def: $vgpr6_vgpr7
.LBB78_21:
	s_andn2_saveexec_b32 s2, s2
	s_cbranch_execz .LBB78_23
; %bb.22:
	v_lshlrev_b32_e32 v10, 1, v5
	v_mul_f64 v[8:9], v[1:2], v[8:9]
	v_mul_f64 v[5:6], v[1:2], v[6:7]
	v_ashrrev_i32_e32 v11, 31, v10
	v_lshlrev_b64 v[10:11], 3, v[10:11]
	s_waitcnt lgkmcnt(0)
	v_add_co_u32 v14, vcc_lo, s0, v10
	v_add_co_ci_u32_e64 v15, null, s1, v11, vcc_lo
	global_load_dwordx4 v[10:13], v[14:15], off
	s_waitcnt vmcnt(0)
	v_fma_f64 v[0:1], v[3:4], v[10:11], v[8:9]
	v_fma_f64 v[2:3], v[3:4], v[12:13], v[5:6]
	global_store_dwordx4 v[14:15], v[0:3], off
.LBB78_23:
	s_endpgm
	.section	.rodata,"a",@progbits
	.p2align	6, 0x0
	.amdhsa_kernel _ZN9rocsparseL19gebsrmvn_2xn_kernelILj128ELj1ELj16EdEEvi20rocsparse_direction_NS_24const_host_device_scalarIT2_EEPKiS6_PKS3_S8_S4_PS3_21rocsparse_index_base_b
		.amdhsa_group_segment_fixed_size 0
		.amdhsa_private_segment_fixed_size 0
		.amdhsa_kernarg_size 72
		.amdhsa_user_sgpr_count 6
		.amdhsa_user_sgpr_private_segment_buffer 1
		.amdhsa_user_sgpr_dispatch_ptr 0
		.amdhsa_user_sgpr_queue_ptr 0
		.amdhsa_user_sgpr_kernarg_segment_ptr 1
		.amdhsa_user_sgpr_dispatch_id 0
		.amdhsa_user_sgpr_flat_scratch_init 0
		.amdhsa_user_sgpr_private_segment_size 0
		.amdhsa_wavefront_size32 1
		.amdhsa_uses_dynamic_stack 0
		.amdhsa_system_sgpr_private_segment_wavefront_offset 0
		.amdhsa_system_sgpr_workgroup_id_x 1
		.amdhsa_system_sgpr_workgroup_id_y 0
		.amdhsa_system_sgpr_workgroup_id_z 0
		.amdhsa_system_sgpr_workgroup_info 0
		.amdhsa_system_vgpr_workitem_id 0
		.amdhsa_next_free_vgpr 22
		.amdhsa_next_free_sgpr 16
		.amdhsa_reserve_vcc 1
		.amdhsa_reserve_flat_scratch 0
		.amdhsa_float_round_mode_32 0
		.amdhsa_float_round_mode_16_64 0
		.amdhsa_float_denorm_mode_32 3
		.amdhsa_float_denorm_mode_16_64 3
		.amdhsa_dx10_clamp 1
		.amdhsa_ieee_mode 1
		.amdhsa_fp16_overflow 0
		.amdhsa_workgroup_processor_mode 1
		.amdhsa_memory_ordered 1
		.amdhsa_forward_progress 1
		.amdhsa_shared_vgpr_count 0
		.amdhsa_exception_fp_ieee_invalid_op 0
		.amdhsa_exception_fp_denorm_src 0
		.amdhsa_exception_fp_ieee_div_zero 0
		.amdhsa_exception_fp_ieee_overflow 0
		.amdhsa_exception_fp_ieee_underflow 0
		.amdhsa_exception_fp_ieee_inexact 0
		.amdhsa_exception_int_div_zero 0
	.end_amdhsa_kernel
	.section	.text._ZN9rocsparseL19gebsrmvn_2xn_kernelILj128ELj1ELj16EdEEvi20rocsparse_direction_NS_24const_host_device_scalarIT2_EEPKiS6_PKS3_S8_S4_PS3_21rocsparse_index_base_b,"axG",@progbits,_ZN9rocsparseL19gebsrmvn_2xn_kernelILj128ELj1ELj16EdEEvi20rocsparse_direction_NS_24const_host_device_scalarIT2_EEPKiS6_PKS3_S8_S4_PS3_21rocsparse_index_base_b,comdat
.Lfunc_end78:
	.size	_ZN9rocsparseL19gebsrmvn_2xn_kernelILj128ELj1ELj16EdEEvi20rocsparse_direction_NS_24const_host_device_scalarIT2_EEPKiS6_PKS3_S8_S4_PS3_21rocsparse_index_base_b, .Lfunc_end78-_ZN9rocsparseL19gebsrmvn_2xn_kernelILj128ELj1ELj16EdEEvi20rocsparse_direction_NS_24const_host_device_scalarIT2_EEPKiS6_PKS3_S8_S4_PS3_21rocsparse_index_base_b
                                        ; -- End function
	.set _ZN9rocsparseL19gebsrmvn_2xn_kernelILj128ELj1ELj16EdEEvi20rocsparse_direction_NS_24const_host_device_scalarIT2_EEPKiS6_PKS3_S8_S4_PS3_21rocsparse_index_base_b.num_vgpr, 22
	.set _ZN9rocsparseL19gebsrmvn_2xn_kernelILj128ELj1ELj16EdEEvi20rocsparse_direction_NS_24const_host_device_scalarIT2_EEPKiS6_PKS3_S8_S4_PS3_21rocsparse_index_base_b.num_agpr, 0
	.set _ZN9rocsparseL19gebsrmvn_2xn_kernelILj128ELj1ELj16EdEEvi20rocsparse_direction_NS_24const_host_device_scalarIT2_EEPKiS6_PKS3_S8_S4_PS3_21rocsparse_index_base_b.numbered_sgpr, 16
	.set _ZN9rocsparseL19gebsrmvn_2xn_kernelILj128ELj1ELj16EdEEvi20rocsparse_direction_NS_24const_host_device_scalarIT2_EEPKiS6_PKS3_S8_S4_PS3_21rocsparse_index_base_b.num_named_barrier, 0
	.set _ZN9rocsparseL19gebsrmvn_2xn_kernelILj128ELj1ELj16EdEEvi20rocsparse_direction_NS_24const_host_device_scalarIT2_EEPKiS6_PKS3_S8_S4_PS3_21rocsparse_index_base_b.private_seg_size, 0
	.set _ZN9rocsparseL19gebsrmvn_2xn_kernelILj128ELj1ELj16EdEEvi20rocsparse_direction_NS_24const_host_device_scalarIT2_EEPKiS6_PKS3_S8_S4_PS3_21rocsparse_index_base_b.uses_vcc, 1
	.set _ZN9rocsparseL19gebsrmvn_2xn_kernelILj128ELj1ELj16EdEEvi20rocsparse_direction_NS_24const_host_device_scalarIT2_EEPKiS6_PKS3_S8_S4_PS3_21rocsparse_index_base_b.uses_flat_scratch, 0
	.set _ZN9rocsparseL19gebsrmvn_2xn_kernelILj128ELj1ELj16EdEEvi20rocsparse_direction_NS_24const_host_device_scalarIT2_EEPKiS6_PKS3_S8_S4_PS3_21rocsparse_index_base_b.has_dyn_sized_stack, 0
	.set _ZN9rocsparseL19gebsrmvn_2xn_kernelILj128ELj1ELj16EdEEvi20rocsparse_direction_NS_24const_host_device_scalarIT2_EEPKiS6_PKS3_S8_S4_PS3_21rocsparse_index_base_b.has_recursion, 0
	.set _ZN9rocsparseL19gebsrmvn_2xn_kernelILj128ELj1ELj16EdEEvi20rocsparse_direction_NS_24const_host_device_scalarIT2_EEPKiS6_PKS3_S8_S4_PS3_21rocsparse_index_base_b.has_indirect_call, 0
	.section	.AMDGPU.csdata,"",@progbits
; Kernel info:
; codeLenInByte = 1236
; TotalNumSgprs: 18
; NumVgprs: 22
; ScratchSize: 0
; MemoryBound: 0
; FloatMode: 240
; IeeeMode: 1
; LDSByteSize: 0 bytes/workgroup (compile time only)
; SGPRBlocks: 0
; VGPRBlocks: 2
; NumSGPRsForWavesPerEU: 18
; NumVGPRsForWavesPerEU: 22
; Occupancy: 16
; WaveLimiterHint : 1
; COMPUTE_PGM_RSRC2:SCRATCH_EN: 0
; COMPUTE_PGM_RSRC2:USER_SGPR: 6
; COMPUTE_PGM_RSRC2:TRAP_HANDLER: 0
; COMPUTE_PGM_RSRC2:TGID_X_EN: 1
; COMPUTE_PGM_RSRC2:TGID_Y_EN: 0
; COMPUTE_PGM_RSRC2:TGID_Z_EN: 0
; COMPUTE_PGM_RSRC2:TIDIG_COMP_CNT: 0
	.section	.text._ZN9rocsparseL19gebsrmvn_2xn_kernelILj128ELj1ELj32EdEEvi20rocsparse_direction_NS_24const_host_device_scalarIT2_EEPKiS6_PKS3_S8_S4_PS3_21rocsparse_index_base_b,"axG",@progbits,_ZN9rocsparseL19gebsrmvn_2xn_kernelILj128ELj1ELj32EdEEvi20rocsparse_direction_NS_24const_host_device_scalarIT2_EEPKiS6_PKS3_S8_S4_PS3_21rocsparse_index_base_b,comdat
	.globl	_ZN9rocsparseL19gebsrmvn_2xn_kernelILj128ELj1ELj32EdEEvi20rocsparse_direction_NS_24const_host_device_scalarIT2_EEPKiS6_PKS3_S8_S4_PS3_21rocsparse_index_base_b ; -- Begin function _ZN9rocsparseL19gebsrmvn_2xn_kernelILj128ELj1ELj32EdEEvi20rocsparse_direction_NS_24const_host_device_scalarIT2_EEPKiS6_PKS3_S8_S4_PS3_21rocsparse_index_base_b
	.p2align	8
	.type	_ZN9rocsparseL19gebsrmvn_2xn_kernelILj128ELj1ELj32EdEEvi20rocsparse_direction_NS_24const_host_device_scalarIT2_EEPKiS6_PKS3_S8_S4_PS3_21rocsparse_index_base_b,@function
_ZN9rocsparseL19gebsrmvn_2xn_kernelILj128ELj1ELj32EdEEvi20rocsparse_direction_NS_24const_host_device_scalarIT2_EEPKiS6_PKS3_S8_S4_PS3_21rocsparse_index_base_b: ; @_ZN9rocsparseL19gebsrmvn_2xn_kernelILj128ELj1ELj32EdEEvi20rocsparse_direction_NS_24const_host_device_scalarIT2_EEPKiS6_PKS3_S8_S4_PS3_21rocsparse_index_base_b
; %bb.0:
	s_clause 0x2
	s_load_dwordx2 s[2:3], s[4:5], 0x40
	s_load_dwordx2 s[8:9], s[4:5], 0x8
	;; [unrolled: 1-line block ×3, first 2 shown]
	s_waitcnt lgkmcnt(0)
	s_bitcmp1_b32 s3, 0
	v_mov_b32_e32 v1, s8
	v_mov_b32_e32 v2, s9
	s_cselect_b32 s3, -1, 0
	s_and_b32 vcc_lo, exec_lo, s3
	s_xor_b32 s3, s3, -1
	s_cbranch_vccnz .LBB79_2
; %bb.1:
	v_mov_b32_e32 v1, s8
	v_mov_b32_e32 v2, s9
	flat_load_dwordx2 v[1:2], v[1:2]
.LBB79_2:
	v_mov_b32_e32 v4, s1
	v_mov_b32_e32 v3, s0
	s_andn2_b32 vcc_lo, exec_lo, s3
	s_cbranch_vccnz .LBB79_4
; %bb.3:
	v_mov_b32_e32 v4, s1
	v_mov_b32_e32 v3, s0
	flat_load_dwordx2 v[3:4], v[3:4]
.LBB79_4:
	s_waitcnt vmcnt(0) lgkmcnt(0)
	v_cmp_neq_f64_e32 vcc_lo, 0, v[1:2]
	v_cmp_neq_f64_e64 s0, 1.0, v[3:4]
	s_or_b32 s0, vcc_lo, s0
	s_and_saveexec_b32 s1, s0
	s_cbranch_execz .LBB79_23
; %bb.5:
	s_load_dwordx2 s[0:1], s[4:5], 0x0
	v_lshrrev_b32_e32 v5, 5, v0
	v_lshl_or_b32 v5, s6, 2, v5
	s_waitcnt lgkmcnt(0)
	v_cmp_gt_i32_e32 vcc_lo, s0, v5
	s_and_b32 exec_lo, exec_lo, vcc_lo
	s_cbranch_execz .LBB79_23
; %bb.6:
	s_load_dwordx8 s[8:15], s[4:5], 0x10
	v_ashrrev_i32_e32 v6, 31, v5
	v_and_b32_e32 v0, 31, v0
	s_cmp_lg_u32 s1, 0
	v_lshlrev_b64 v[6:7], 2, v[5:6]
	s_waitcnt lgkmcnt(0)
	v_add_co_u32 v6, vcc_lo, s8, v6
	v_add_co_ci_u32_e64 v7, null, s9, v7, vcc_lo
	global_load_dwordx2 v[6:7], v[6:7], off
	s_waitcnt vmcnt(0)
	v_subrev_nc_u32_e32 v6, s2, v6
	v_subrev_nc_u32_e32 v15, s2, v7
	v_add_nc_u32_e32 v10, v6, v0
	v_cmp_lt_i32_e64 s0, v10, v15
	s_cbranch_scc0 .LBB79_12
; %bb.7:
	v_mov_b32_e32 v6, 0
	v_mov_b32_e32 v8, 0
	;; [unrolled: 1-line block ×4, first 2 shown]
	s_and_saveexec_b32 s1, s0
	s_cbranch_execz .LBB79_11
; %bb.8:
	v_mov_b32_e32 v6, 0
	v_mov_b32_e32 v8, 0
	v_lshlrev_b32_e32 v11, 1, v10
	v_mov_b32_e32 v7, 0
	v_mov_b32_e32 v12, 0
	;; [unrolled: 1-line block ×4, first 2 shown]
	s_mov_b32 s3, 0
	s_inst_prefetch 0x1
	.p2align	6
.LBB79_9:                               ; =>This Inner Loop Header: Depth=1
	v_ashrrev_i32_e32 v14, 31, v13
	v_mov_b32_e32 v19, v12
	v_lshlrev_b64 v[16:17], 2, v[13:14]
	v_add_nc_u32_e32 v13, 32, v13
	v_add_co_u32 v16, vcc_lo, s10, v16
	v_add_co_ci_u32_e64 v17, null, s11, v17, vcc_lo
	global_load_dword v14, v[16:17], off
	v_lshlrev_b64 v[16:17], 3, v[11:12]
	v_add_nc_u32_e32 v11, 64, v11
	v_add_co_u32 v16, vcc_lo, s12, v16
	v_add_co_ci_u32_e64 v17, null, s13, v17, vcc_lo
	s_waitcnt vmcnt(0)
	v_subrev_nc_u32_e32 v18, s2, v14
	v_lshlrev_b64 v[18:19], 3, v[18:19]
	v_add_co_u32 v20, vcc_lo, s14, v18
	v_add_co_ci_u32_e64 v21, null, s15, v19, vcc_lo
	v_cmp_ge_i32_e32 vcc_lo, v13, v15
	global_load_dwordx4 v[16:19], v[16:17], off
	global_load_dwordx2 v[20:21], v[20:21], off
	s_or_b32 s3, vcc_lo, s3
	s_waitcnt vmcnt(0)
	v_fma_f64 v[6:7], v[16:17], v[20:21], v[6:7]
	v_fma_f64 v[8:9], v[18:19], v[20:21], v[8:9]
	s_andn2_b32 exec_lo, exec_lo, s3
	s_cbranch_execnz .LBB79_9
; %bb.10:
	s_inst_prefetch 0x2
	s_or_b32 exec_lo, exec_lo, s3
.LBB79_11:
	s_or_b32 exec_lo, exec_lo, s1
	s_cbranch_execz .LBB79_13
	s_branch .LBB79_18
.LBB79_12:
                                        ; implicit-def: $vgpr6_vgpr7
                                        ; implicit-def: $vgpr8_vgpr9
.LBB79_13:
	v_mov_b32_e32 v6, 0
	v_mov_b32_e32 v8, 0
	;; [unrolled: 1-line block ×4, first 2 shown]
	s_and_saveexec_b32 s1, s0
	s_cbranch_execz .LBB79_17
; %bb.14:
	v_mov_b32_e32 v6, 0
	v_mov_b32_e32 v8, 0
	v_lshlrev_b32_e32 v12, 1, v10
	v_mov_b32_e32 v7, 0
	v_mov_b32_e32 v9, 0
	;; [unrolled: 1-line block ×3, first 2 shown]
	s_mov_b32 s0, 0
	s_inst_prefetch 0x1
	.p2align	6
.LBB79_15:                              ; =>This Inner Loop Header: Depth=1
	v_ashrrev_i32_e32 v11, 31, v10
	v_mov_b32_e32 v19, v13
	v_lshlrev_b64 v[16:17], 2, v[10:11]
	v_add_nc_u32_e32 v10, 32, v10
	v_add_co_u32 v16, vcc_lo, s10, v16
	v_add_co_ci_u32_e64 v17, null, s11, v17, vcc_lo
	global_load_dword v11, v[16:17], off
	v_lshlrev_b64 v[16:17], 3, v[12:13]
	v_add_nc_u32_e32 v12, 64, v12
	v_add_co_u32 v16, vcc_lo, s12, v16
	v_add_co_ci_u32_e64 v17, null, s13, v17, vcc_lo
	s_waitcnt vmcnt(0)
	v_subrev_nc_u32_e32 v18, s2, v11
	v_lshlrev_b64 v[18:19], 3, v[18:19]
	v_add_co_u32 v20, vcc_lo, s14, v18
	v_add_co_ci_u32_e64 v21, null, s15, v19, vcc_lo
	v_cmp_ge_i32_e32 vcc_lo, v10, v15
	global_load_dwordx4 v[16:19], v[16:17], off
	global_load_dwordx2 v[20:21], v[20:21], off
	s_or_b32 s0, vcc_lo, s0
	s_waitcnt vmcnt(0)
	v_fma_f64 v[6:7], v[16:17], v[20:21], v[6:7]
	v_fma_f64 v[8:9], v[18:19], v[20:21], v[8:9]
	s_andn2_b32 exec_lo, exec_lo, s0
	s_cbranch_execnz .LBB79_15
; %bb.16:
	s_inst_prefetch 0x2
	s_or_b32 exec_lo, exec_lo, s0
.LBB79_17:
	s_or_b32 exec_lo, exec_lo, s1
.LBB79_18:
	v_mbcnt_lo_u32_b32 v14, -1, 0
	v_xor_b32_e32 v10, 16, v14
	v_cmp_gt_i32_e32 vcc_lo, 32, v10
	v_cndmask_b32_e32 v10, v14, v10, vcc_lo
	v_lshlrev_b32_e32 v13, 2, v10
	ds_bpermute_b32 v10, v13, v6
	ds_bpermute_b32 v11, v13, v7
	ds_bpermute_b32 v12, v13, v8
	ds_bpermute_b32 v13, v13, v9
	s_waitcnt lgkmcnt(2)
	v_add_f64 v[6:7], v[6:7], v[10:11]
	v_xor_b32_e32 v10, 8, v14
	s_waitcnt lgkmcnt(0)
	v_add_f64 v[8:9], v[8:9], v[12:13]
	v_cmp_gt_i32_e32 vcc_lo, 32, v10
	v_cndmask_b32_e32 v10, v14, v10, vcc_lo
	v_lshlrev_b32_e32 v13, 2, v10
	ds_bpermute_b32 v10, v13, v6
	ds_bpermute_b32 v11, v13, v7
	ds_bpermute_b32 v12, v13, v8
	ds_bpermute_b32 v13, v13, v9
	s_waitcnt lgkmcnt(2)
	v_add_f64 v[6:7], v[6:7], v[10:11]
	v_xor_b32_e32 v10, 4, v14
	s_waitcnt lgkmcnt(0)
	v_add_f64 v[8:9], v[8:9], v[12:13]
	v_cmp_gt_i32_e32 vcc_lo, 32, v10
	v_cndmask_b32_e32 v10, v14, v10, vcc_lo
	v_lshlrev_b32_e32 v13, 2, v10
	ds_bpermute_b32 v10, v13, v6
	ds_bpermute_b32 v11, v13, v7
	ds_bpermute_b32 v12, v13, v8
	ds_bpermute_b32 v13, v13, v9
	s_waitcnt lgkmcnt(2)
	v_add_f64 v[6:7], v[6:7], v[10:11]
	v_xor_b32_e32 v10, 2, v14
	s_waitcnt lgkmcnt(0)
	v_add_f64 v[8:9], v[8:9], v[12:13]
	v_cmp_gt_i32_e32 vcc_lo, 32, v10
	v_cndmask_b32_e32 v10, v14, v10, vcc_lo
	v_lshlrev_b32_e32 v13, 2, v10
	ds_bpermute_b32 v10, v13, v6
	ds_bpermute_b32 v11, v13, v7
	;; [unrolled: 1-line block ×4, first 2 shown]
	s_waitcnt lgkmcnt(2)
	v_add_f64 v[6:7], v[6:7], v[10:11]
	s_waitcnt lgkmcnt(0)
	v_add_f64 v[10:11], v[8:9], v[12:13]
	v_xor_b32_e32 v8, 1, v14
	v_cmp_gt_i32_e32 vcc_lo, 32, v8
	v_cndmask_b32_e32 v8, v14, v8, vcc_lo
	v_cmp_eq_u32_e32 vcc_lo, 31, v0
	v_lshlrev_b32_e32 v13, 2, v8
	ds_bpermute_b32 v8, v13, v6
	ds_bpermute_b32 v9, v13, v7
	;; [unrolled: 1-line block ×4, first 2 shown]
	s_and_b32 exec_lo, exec_lo, vcc_lo
	s_cbranch_execz .LBB79_23
; %bb.19:
	s_waitcnt lgkmcnt(2)
	v_add_f64 v[8:9], v[6:7], v[8:9]
	s_waitcnt lgkmcnt(0)
	v_add_f64 v[6:7], v[10:11], v[12:13]
	s_load_dwordx2 s[0:1], s[4:5], 0x38
	s_mov_b32 s2, exec_lo
	v_cmpx_eq_f64_e32 0, v[3:4]
	s_xor_b32 s2, exec_lo, s2
	s_cbranch_execz .LBB79_21
; %bb.20:
	v_lshlrev_b32_e32 v0, 1, v5
	v_mul_f64 v[3:4], v[1:2], v[8:9]
	v_mul_f64 v[5:6], v[1:2], v[6:7]
                                        ; implicit-def: $vgpr8_vgpr9
	v_ashrrev_i32_e32 v1, 31, v0
	v_lshlrev_b64 v[0:1], 3, v[0:1]
	s_waitcnt lgkmcnt(0)
	v_add_co_u32 v0, vcc_lo, s0, v0
	v_add_co_ci_u32_e64 v1, null, s1, v1, vcc_lo
	global_store_dwordx4 v[0:1], v[3:6], off
                                        ; implicit-def: $vgpr5
                                        ; implicit-def: $vgpr1_vgpr2
                                        ; implicit-def: $vgpr3_vgpr4
                                        ; implicit-def: $vgpr6_vgpr7
.LBB79_21:
	s_andn2_saveexec_b32 s2, s2
	s_cbranch_execz .LBB79_23
; %bb.22:
	v_lshlrev_b32_e32 v10, 1, v5
	v_mul_f64 v[8:9], v[1:2], v[8:9]
	v_mul_f64 v[5:6], v[1:2], v[6:7]
	v_ashrrev_i32_e32 v11, 31, v10
	v_lshlrev_b64 v[10:11], 3, v[10:11]
	s_waitcnt lgkmcnt(0)
	v_add_co_u32 v14, vcc_lo, s0, v10
	v_add_co_ci_u32_e64 v15, null, s1, v11, vcc_lo
	global_load_dwordx4 v[10:13], v[14:15], off
	s_waitcnt vmcnt(0)
	v_fma_f64 v[0:1], v[3:4], v[10:11], v[8:9]
	v_fma_f64 v[2:3], v[3:4], v[12:13], v[5:6]
	global_store_dwordx4 v[14:15], v[0:3], off
.LBB79_23:
	s_endpgm
	.section	.rodata,"a",@progbits
	.p2align	6, 0x0
	.amdhsa_kernel _ZN9rocsparseL19gebsrmvn_2xn_kernelILj128ELj1ELj32EdEEvi20rocsparse_direction_NS_24const_host_device_scalarIT2_EEPKiS6_PKS3_S8_S4_PS3_21rocsparse_index_base_b
		.amdhsa_group_segment_fixed_size 0
		.amdhsa_private_segment_fixed_size 0
		.amdhsa_kernarg_size 72
		.amdhsa_user_sgpr_count 6
		.amdhsa_user_sgpr_private_segment_buffer 1
		.amdhsa_user_sgpr_dispatch_ptr 0
		.amdhsa_user_sgpr_queue_ptr 0
		.amdhsa_user_sgpr_kernarg_segment_ptr 1
		.amdhsa_user_sgpr_dispatch_id 0
		.amdhsa_user_sgpr_flat_scratch_init 0
		.amdhsa_user_sgpr_private_segment_size 0
		.amdhsa_wavefront_size32 1
		.amdhsa_uses_dynamic_stack 0
		.amdhsa_system_sgpr_private_segment_wavefront_offset 0
		.amdhsa_system_sgpr_workgroup_id_x 1
		.amdhsa_system_sgpr_workgroup_id_y 0
		.amdhsa_system_sgpr_workgroup_id_z 0
		.amdhsa_system_sgpr_workgroup_info 0
		.amdhsa_system_vgpr_workitem_id 0
		.amdhsa_next_free_vgpr 22
		.amdhsa_next_free_sgpr 16
		.amdhsa_reserve_vcc 1
		.amdhsa_reserve_flat_scratch 0
		.amdhsa_float_round_mode_32 0
		.amdhsa_float_round_mode_16_64 0
		.amdhsa_float_denorm_mode_32 3
		.amdhsa_float_denorm_mode_16_64 3
		.amdhsa_dx10_clamp 1
		.amdhsa_ieee_mode 1
		.amdhsa_fp16_overflow 0
		.amdhsa_workgroup_processor_mode 1
		.amdhsa_memory_ordered 1
		.amdhsa_forward_progress 1
		.amdhsa_shared_vgpr_count 0
		.amdhsa_exception_fp_ieee_invalid_op 0
		.amdhsa_exception_fp_denorm_src 0
		.amdhsa_exception_fp_ieee_div_zero 0
		.amdhsa_exception_fp_ieee_overflow 0
		.amdhsa_exception_fp_ieee_underflow 0
		.amdhsa_exception_fp_ieee_inexact 0
		.amdhsa_exception_int_div_zero 0
	.end_amdhsa_kernel
	.section	.text._ZN9rocsparseL19gebsrmvn_2xn_kernelILj128ELj1ELj32EdEEvi20rocsparse_direction_NS_24const_host_device_scalarIT2_EEPKiS6_PKS3_S8_S4_PS3_21rocsparse_index_base_b,"axG",@progbits,_ZN9rocsparseL19gebsrmvn_2xn_kernelILj128ELj1ELj32EdEEvi20rocsparse_direction_NS_24const_host_device_scalarIT2_EEPKiS6_PKS3_S8_S4_PS3_21rocsparse_index_base_b,comdat
.Lfunc_end79:
	.size	_ZN9rocsparseL19gebsrmvn_2xn_kernelILj128ELj1ELj32EdEEvi20rocsparse_direction_NS_24const_host_device_scalarIT2_EEPKiS6_PKS3_S8_S4_PS3_21rocsparse_index_base_b, .Lfunc_end79-_ZN9rocsparseL19gebsrmvn_2xn_kernelILj128ELj1ELj32EdEEvi20rocsparse_direction_NS_24const_host_device_scalarIT2_EEPKiS6_PKS3_S8_S4_PS3_21rocsparse_index_base_b
                                        ; -- End function
	.set _ZN9rocsparseL19gebsrmvn_2xn_kernelILj128ELj1ELj32EdEEvi20rocsparse_direction_NS_24const_host_device_scalarIT2_EEPKiS6_PKS3_S8_S4_PS3_21rocsparse_index_base_b.num_vgpr, 22
	.set _ZN9rocsparseL19gebsrmvn_2xn_kernelILj128ELj1ELj32EdEEvi20rocsparse_direction_NS_24const_host_device_scalarIT2_EEPKiS6_PKS3_S8_S4_PS3_21rocsparse_index_base_b.num_agpr, 0
	.set _ZN9rocsparseL19gebsrmvn_2xn_kernelILj128ELj1ELj32EdEEvi20rocsparse_direction_NS_24const_host_device_scalarIT2_EEPKiS6_PKS3_S8_S4_PS3_21rocsparse_index_base_b.numbered_sgpr, 16
	.set _ZN9rocsparseL19gebsrmvn_2xn_kernelILj128ELj1ELj32EdEEvi20rocsparse_direction_NS_24const_host_device_scalarIT2_EEPKiS6_PKS3_S8_S4_PS3_21rocsparse_index_base_b.num_named_barrier, 0
	.set _ZN9rocsparseL19gebsrmvn_2xn_kernelILj128ELj1ELj32EdEEvi20rocsparse_direction_NS_24const_host_device_scalarIT2_EEPKiS6_PKS3_S8_S4_PS3_21rocsparse_index_base_b.private_seg_size, 0
	.set _ZN9rocsparseL19gebsrmvn_2xn_kernelILj128ELj1ELj32EdEEvi20rocsparse_direction_NS_24const_host_device_scalarIT2_EEPKiS6_PKS3_S8_S4_PS3_21rocsparse_index_base_b.uses_vcc, 1
	.set _ZN9rocsparseL19gebsrmvn_2xn_kernelILj128ELj1ELj32EdEEvi20rocsparse_direction_NS_24const_host_device_scalarIT2_EEPKiS6_PKS3_S8_S4_PS3_21rocsparse_index_base_b.uses_flat_scratch, 0
	.set _ZN9rocsparseL19gebsrmvn_2xn_kernelILj128ELj1ELj32EdEEvi20rocsparse_direction_NS_24const_host_device_scalarIT2_EEPKiS6_PKS3_S8_S4_PS3_21rocsparse_index_base_b.has_dyn_sized_stack, 0
	.set _ZN9rocsparseL19gebsrmvn_2xn_kernelILj128ELj1ELj32EdEEvi20rocsparse_direction_NS_24const_host_device_scalarIT2_EEPKiS6_PKS3_S8_S4_PS3_21rocsparse_index_base_b.has_recursion, 0
	.set _ZN9rocsparseL19gebsrmvn_2xn_kernelILj128ELj1ELj32EdEEvi20rocsparse_direction_NS_24const_host_device_scalarIT2_EEPKiS6_PKS3_S8_S4_PS3_21rocsparse_index_base_b.has_indirect_call, 0
	.section	.AMDGPU.csdata,"",@progbits
; Kernel info:
; codeLenInByte = 1308
; TotalNumSgprs: 18
; NumVgprs: 22
; ScratchSize: 0
; MemoryBound: 0
; FloatMode: 240
; IeeeMode: 1
; LDSByteSize: 0 bytes/workgroup (compile time only)
; SGPRBlocks: 0
; VGPRBlocks: 2
; NumSGPRsForWavesPerEU: 18
; NumVGPRsForWavesPerEU: 22
; Occupancy: 16
; WaveLimiterHint : 1
; COMPUTE_PGM_RSRC2:SCRATCH_EN: 0
; COMPUTE_PGM_RSRC2:USER_SGPR: 6
; COMPUTE_PGM_RSRC2:TRAP_HANDLER: 0
; COMPUTE_PGM_RSRC2:TGID_X_EN: 1
; COMPUTE_PGM_RSRC2:TGID_Y_EN: 0
; COMPUTE_PGM_RSRC2:TGID_Z_EN: 0
; COMPUTE_PGM_RSRC2:TIDIG_COMP_CNT: 0
	.section	.text._ZN9rocsparseL19gebsrmvn_2xn_kernelILj128ELj1ELj64EdEEvi20rocsparse_direction_NS_24const_host_device_scalarIT2_EEPKiS6_PKS3_S8_S4_PS3_21rocsparse_index_base_b,"axG",@progbits,_ZN9rocsparseL19gebsrmvn_2xn_kernelILj128ELj1ELj64EdEEvi20rocsparse_direction_NS_24const_host_device_scalarIT2_EEPKiS6_PKS3_S8_S4_PS3_21rocsparse_index_base_b,comdat
	.globl	_ZN9rocsparseL19gebsrmvn_2xn_kernelILj128ELj1ELj64EdEEvi20rocsparse_direction_NS_24const_host_device_scalarIT2_EEPKiS6_PKS3_S8_S4_PS3_21rocsparse_index_base_b ; -- Begin function _ZN9rocsparseL19gebsrmvn_2xn_kernelILj128ELj1ELj64EdEEvi20rocsparse_direction_NS_24const_host_device_scalarIT2_EEPKiS6_PKS3_S8_S4_PS3_21rocsparse_index_base_b
	.p2align	8
	.type	_ZN9rocsparseL19gebsrmvn_2xn_kernelILj128ELj1ELj64EdEEvi20rocsparse_direction_NS_24const_host_device_scalarIT2_EEPKiS6_PKS3_S8_S4_PS3_21rocsparse_index_base_b,@function
_ZN9rocsparseL19gebsrmvn_2xn_kernelILj128ELj1ELj64EdEEvi20rocsparse_direction_NS_24const_host_device_scalarIT2_EEPKiS6_PKS3_S8_S4_PS3_21rocsparse_index_base_b: ; @_ZN9rocsparseL19gebsrmvn_2xn_kernelILj128ELj1ELj64EdEEvi20rocsparse_direction_NS_24const_host_device_scalarIT2_EEPKiS6_PKS3_S8_S4_PS3_21rocsparse_index_base_b
; %bb.0:
	s_clause 0x2
	s_load_dwordx2 s[2:3], s[4:5], 0x40
	s_load_dwordx2 s[8:9], s[4:5], 0x8
	;; [unrolled: 1-line block ×3, first 2 shown]
	s_waitcnt lgkmcnt(0)
	s_bitcmp1_b32 s3, 0
	v_mov_b32_e32 v1, s8
	v_mov_b32_e32 v2, s9
	s_cselect_b32 s3, -1, 0
	s_and_b32 vcc_lo, exec_lo, s3
	s_xor_b32 s3, s3, -1
	s_cbranch_vccnz .LBB80_2
; %bb.1:
	v_mov_b32_e32 v1, s8
	v_mov_b32_e32 v2, s9
	flat_load_dwordx2 v[1:2], v[1:2]
.LBB80_2:
	v_mov_b32_e32 v4, s1
	v_mov_b32_e32 v3, s0
	s_andn2_b32 vcc_lo, exec_lo, s3
	s_cbranch_vccnz .LBB80_4
; %bb.3:
	v_mov_b32_e32 v4, s1
	v_mov_b32_e32 v3, s0
	flat_load_dwordx2 v[3:4], v[3:4]
.LBB80_4:
	s_waitcnt vmcnt(0) lgkmcnt(0)
	v_cmp_neq_f64_e32 vcc_lo, 0, v[1:2]
	v_cmp_neq_f64_e64 s0, 1.0, v[3:4]
	s_or_b32 s0, vcc_lo, s0
	s_and_saveexec_b32 s1, s0
	s_cbranch_execz .LBB80_23
; %bb.5:
	s_load_dwordx2 s[0:1], s[4:5], 0x0
	v_lshrrev_b32_e32 v5, 6, v0
	v_lshl_or_b32 v5, s6, 1, v5
	s_waitcnt lgkmcnt(0)
	v_cmp_gt_i32_e32 vcc_lo, s0, v5
	s_and_b32 exec_lo, exec_lo, vcc_lo
	s_cbranch_execz .LBB80_23
; %bb.6:
	s_load_dwordx8 s[8:15], s[4:5], 0x10
	v_ashrrev_i32_e32 v6, 31, v5
	v_and_b32_e32 v0, 63, v0
	s_cmp_lg_u32 s1, 0
	v_lshlrev_b64 v[6:7], 2, v[5:6]
	s_waitcnt lgkmcnt(0)
	v_add_co_u32 v6, vcc_lo, s8, v6
	v_add_co_ci_u32_e64 v7, null, s9, v7, vcc_lo
	global_load_dwordx2 v[6:7], v[6:7], off
	s_waitcnt vmcnt(0)
	v_subrev_nc_u32_e32 v6, s2, v6
	v_subrev_nc_u32_e32 v15, s2, v7
	v_add_nc_u32_e32 v10, v6, v0
	v_cmp_lt_i32_e64 s0, v10, v15
	s_cbranch_scc0 .LBB80_12
; %bb.7:
	v_mov_b32_e32 v6, 0
	v_mov_b32_e32 v8, 0
	;; [unrolled: 1-line block ×4, first 2 shown]
	s_and_saveexec_b32 s1, s0
	s_cbranch_execz .LBB80_11
; %bb.8:
	v_mov_b32_e32 v6, 0
	v_mov_b32_e32 v8, 0
	v_lshlrev_b32_e32 v11, 1, v10
	v_mov_b32_e32 v7, 0
	v_mov_b32_e32 v12, 0
	;; [unrolled: 1-line block ×4, first 2 shown]
	s_mov_b32 s3, 0
	s_inst_prefetch 0x1
	.p2align	6
.LBB80_9:                               ; =>This Inner Loop Header: Depth=1
	v_ashrrev_i32_e32 v14, 31, v13
	v_mov_b32_e32 v19, v12
	v_lshlrev_b64 v[16:17], 2, v[13:14]
	v_add_nc_u32_e32 v13, 64, v13
	v_add_co_u32 v16, vcc_lo, s10, v16
	v_add_co_ci_u32_e64 v17, null, s11, v17, vcc_lo
	global_load_dword v14, v[16:17], off
	v_lshlrev_b64 v[16:17], 3, v[11:12]
	v_add_nc_u32_e32 v11, 0x80, v11
	v_add_co_u32 v16, vcc_lo, s12, v16
	v_add_co_ci_u32_e64 v17, null, s13, v17, vcc_lo
	s_waitcnt vmcnt(0)
	v_subrev_nc_u32_e32 v18, s2, v14
	v_lshlrev_b64 v[18:19], 3, v[18:19]
	v_add_co_u32 v20, vcc_lo, s14, v18
	v_add_co_ci_u32_e64 v21, null, s15, v19, vcc_lo
	v_cmp_ge_i32_e32 vcc_lo, v13, v15
	global_load_dwordx4 v[16:19], v[16:17], off
	global_load_dwordx2 v[20:21], v[20:21], off
	s_or_b32 s3, vcc_lo, s3
	s_waitcnt vmcnt(0)
	v_fma_f64 v[6:7], v[16:17], v[20:21], v[6:7]
	v_fma_f64 v[8:9], v[18:19], v[20:21], v[8:9]
	s_andn2_b32 exec_lo, exec_lo, s3
	s_cbranch_execnz .LBB80_9
; %bb.10:
	s_inst_prefetch 0x2
	s_or_b32 exec_lo, exec_lo, s3
.LBB80_11:
	s_or_b32 exec_lo, exec_lo, s1
	s_cbranch_execz .LBB80_13
	s_branch .LBB80_18
.LBB80_12:
                                        ; implicit-def: $vgpr6_vgpr7
                                        ; implicit-def: $vgpr8_vgpr9
.LBB80_13:
	v_mov_b32_e32 v6, 0
	v_mov_b32_e32 v8, 0
	;; [unrolled: 1-line block ×4, first 2 shown]
	s_and_saveexec_b32 s1, s0
	s_cbranch_execz .LBB80_17
; %bb.14:
	v_mov_b32_e32 v6, 0
	v_mov_b32_e32 v8, 0
	v_lshlrev_b32_e32 v12, 1, v10
	v_mov_b32_e32 v7, 0
	v_mov_b32_e32 v9, 0
	;; [unrolled: 1-line block ×3, first 2 shown]
	s_mov_b32 s0, 0
	s_inst_prefetch 0x1
	.p2align	6
.LBB80_15:                              ; =>This Inner Loop Header: Depth=1
	v_ashrrev_i32_e32 v11, 31, v10
	v_mov_b32_e32 v19, v13
	v_lshlrev_b64 v[16:17], 2, v[10:11]
	v_add_nc_u32_e32 v10, 64, v10
	v_add_co_u32 v16, vcc_lo, s10, v16
	v_add_co_ci_u32_e64 v17, null, s11, v17, vcc_lo
	global_load_dword v11, v[16:17], off
	v_lshlrev_b64 v[16:17], 3, v[12:13]
	v_add_nc_u32_e32 v12, 0x80, v12
	v_add_co_u32 v16, vcc_lo, s12, v16
	v_add_co_ci_u32_e64 v17, null, s13, v17, vcc_lo
	s_waitcnt vmcnt(0)
	v_subrev_nc_u32_e32 v18, s2, v11
	v_lshlrev_b64 v[18:19], 3, v[18:19]
	v_add_co_u32 v20, vcc_lo, s14, v18
	v_add_co_ci_u32_e64 v21, null, s15, v19, vcc_lo
	v_cmp_ge_i32_e32 vcc_lo, v10, v15
	global_load_dwordx4 v[16:19], v[16:17], off
	global_load_dwordx2 v[20:21], v[20:21], off
	s_or_b32 s0, vcc_lo, s0
	s_waitcnt vmcnt(0)
	v_fma_f64 v[6:7], v[16:17], v[20:21], v[6:7]
	v_fma_f64 v[8:9], v[18:19], v[20:21], v[8:9]
	s_andn2_b32 exec_lo, exec_lo, s0
	s_cbranch_execnz .LBB80_15
; %bb.16:
	s_inst_prefetch 0x2
	s_or_b32 exec_lo, exec_lo, s0
.LBB80_17:
	s_or_b32 exec_lo, exec_lo, s1
.LBB80_18:
	v_mbcnt_lo_u32_b32 v14, -1, 0
	v_or_b32_e32 v10, 32, v14
	v_cmp_gt_i32_e32 vcc_lo, 32, v10
	v_cndmask_b32_e32 v10, v14, v10, vcc_lo
	v_lshlrev_b32_e32 v13, 2, v10
	ds_bpermute_b32 v10, v13, v6
	ds_bpermute_b32 v11, v13, v7
	ds_bpermute_b32 v12, v13, v8
	ds_bpermute_b32 v13, v13, v9
	s_waitcnt lgkmcnt(2)
	v_add_f64 v[6:7], v[6:7], v[10:11]
	v_xor_b32_e32 v10, 16, v14
	s_waitcnt lgkmcnt(0)
	v_add_f64 v[8:9], v[8:9], v[12:13]
	v_cmp_gt_i32_e32 vcc_lo, 32, v10
	v_cndmask_b32_e32 v10, v14, v10, vcc_lo
	v_lshlrev_b32_e32 v13, 2, v10
	ds_bpermute_b32 v10, v13, v6
	ds_bpermute_b32 v11, v13, v7
	ds_bpermute_b32 v12, v13, v8
	ds_bpermute_b32 v13, v13, v9
	s_waitcnt lgkmcnt(2)
	v_add_f64 v[6:7], v[6:7], v[10:11]
	v_xor_b32_e32 v10, 8, v14
	s_waitcnt lgkmcnt(0)
	v_add_f64 v[8:9], v[8:9], v[12:13]
	;; [unrolled: 12-line block ×4, first 2 shown]
	v_cmp_gt_i32_e32 vcc_lo, 32, v10
	v_cndmask_b32_e32 v10, v14, v10, vcc_lo
	v_lshlrev_b32_e32 v13, 2, v10
	ds_bpermute_b32 v10, v13, v6
	ds_bpermute_b32 v11, v13, v7
	;; [unrolled: 1-line block ×4, first 2 shown]
	s_waitcnt lgkmcnt(2)
	v_add_f64 v[6:7], v[6:7], v[10:11]
	s_waitcnt lgkmcnt(0)
	v_add_f64 v[10:11], v[8:9], v[12:13]
	v_xor_b32_e32 v8, 1, v14
	v_cmp_gt_i32_e32 vcc_lo, 32, v8
	v_cndmask_b32_e32 v8, v14, v8, vcc_lo
	v_cmp_eq_u32_e32 vcc_lo, 63, v0
	v_lshlrev_b32_e32 v13, 2, v8
	ds_bpermute_b32 v8, v13, v6
	ds_bpermute_b32 v9, v13, v7
	;; [unrolled: 1-line block ×4, first 2 shown]
	s_and_b32 exec_lo, exec_lo, vcc_lo
	s_cbranch_execz .LBB80_23
; %bb.19:
	s_waitcnt lgkmcnt(2)
	v_add_f64 v[8:9], v[6:7], v[8:9]
	s_waitcnt lgkmcnt(0)
	v_add_f64 v[6:7], v[10:11], v[12:13]
	s_load_dwordx2 s[0:1], s[4:5], 0x38
	s_mov_b32 s2, exec_lo
	v_cmpx_eq_f64_e32 0, v[3:4]
	s_xor_b32 s2, exec_lo, s2
	s_cbranch_execz .LBB80_21
; %bb.20:
	v_lshlrev_b32_e32 v0, 1, v5
	v_mul_f64 v[3:4], v[1:2], v[8:9]
	v_mul_f64 v[5:6], v[1:2], v[6:7]
                                        ; implicit-def: $vgpr8_vgpr9
	v_ashrrev_i32_e32 v1, 31, v0
	v_lshlrev_b64 v[0:1], 3, v[0:1]
	s_waitcnt lgkmcnt(0)
	v_add_co_u32 v0, vcc_lo, s0, v0
	v_add_co_ci_u32_e64 v1, null, s1, v1, vcc_lo
	global_store_dwordx4 v[0:1], v[3:6], off
                                        ; implicit-def: $vgpr5
                                        ; implicit-def: $vgpr1_vgpr2
                                        ; implicit-def: $vgpr3_vgpr4
                                        ; implicit-def: $vgpr6_vgpr7
.LBB80_21:
	s_andn2_saveexec_b32 s2, s2
	s_cbranch_execz .LBB80_23
; %bb.22:
	v_lshlrev_b32_e32 v10, 1, v5
	v_mul_f64 v[8:9], v[1:2], v[8:9]
	v_mul_f64 v[5:6], v[1:2], v[6:7]
	v_ashrrev_i32_e32 v11, 31, v10
	v_lshlrev_b64 v[10:11], 3, v[10:11]
	s_waitcnt lgkmcnt(0)
	v_add_co_u32 v14, vcc_lo, s0, v10
	v_add_co_ci_u32_e64 v15, null, s1, v11, vcc_lo
	global_load_dwordx4 v[10:13], v[14:15], off
	s_waitcnt vmcnt(0)
	v_fma_f64 v[0:1], v[3:4], v[10:11], v[8:9]
	v_fma_f64 v[2:3], v[3:4], v[12:13], v[5:6]
	global_store_dwordx4 v[14:15], v[0:3], off
.LBB80_23:
	s_endpgm
	.section	.rodata,"a",@progbits
	.p2align	6, 0x0
	.amdhsa_kernel _ZN9rocsparseL19gebsrmvn_2xn_kernelILj128ELj1ELj64EdEEvi20rocsparse_direction_NS_24const_host_device_scalarIT2_EEPKiS6_PKS3_S8_S4_PS3_21rocsparse_index_base_b
		.amdhsa_group_segment_fixed_size 0
		.amdhsa_private_segment_fixed_size 0
		.amdhsa_kernarg_size 72
		.amdhsa_user_sgpr_count 6
		.amdhsa_user_sgpr_private_segment_buffer 1
		.amdhsa_user_sgpr_dispatch_ptr 0
		.amdhsa_user_sgpr_queue_ptr 0
		.amdhsa_user_sgpr_kernarg_segment_ptr 1
		.amdhsa_user_sgpr_dispatch_id 0
		.amdhsa_user_sgpr_flat_scratch_init 0
		.amdhsa_user_sgpr_private_segment_size 0
		.amdhsa_wavefront_size32 1
		.amdhsa_uses_dynamic_stack 0
		.amdhsa_system_sgpr_private_segment_wavefront_offset 0
		.amdhsa_system_sgpr_workgroup_id_x 1
		.amdhsa_system_sgpr_workgroup_id_y 0
		.amdhsa_system_sgpr_workgroup_id_z 0
		.amdhsa_system_sgpr_workgroup_info 0
		.amdhsa_system_vgpr_workitem_id 0
		.amdhsa_next_free_vgpr 22
		.amdhsa_next_free_sgpr 16
		.amdhsa_reserve_vcc 1
		.amdhsa_reserve_flat_scratch 0
		.amdhsa_float_round_mode_32 0
		.amdhsa_float_round_mode_16_64 0
		.amdhsa_float_denorm_mode_32 3
		.amdhsa_float_denorm_mode_16_64 3
		.amdhsa_dx10_clamp 1
		.amdhsa_ieee_mode 1
		.amdhsa_fp16_overflow 0
		.amdhsa_workgroup_processor_mode 1
		.amdhsa_memory_ordered 1
		.amdhsa_forward_progress 1
		.amdhsa_shared_vgpr_count 0
		.amdhsa_exception_fp_ieee_invalid_op 0
		.amdhsa_exception_fp_denorm_src 0
		.amdhsa_exception_fp_ieee_div_zero 0
		.amdhsa_exception_fp_ieee_overflow 0
		.amdhsa_exception_fp_ieee_underflow 0
		.amdhsa_exception_fp_ieee_inexact 0
		.amdhsa_exception_int_div_zero 0
	.end_amdhsa_kernel
	.section	.text._ZN9rocsparseL19gebsrmvn_2xn_kernelILj128ELj1ELj64EdEEvi20rocsparse_direction_NS_24const_host_device_scalarIT2_EEPKiS6_PKS3_S8_S4_PS3_21rocsparse_index_base_b,"axG",@progbits,_ZN9rocsparseL19gebsrmvn_2xn_kernelILj128ELj1ELj64EdEEvi20rocsparse_direction_NS_24const_host_device_scalarIT2_EEPKiS6_PKS3_S8_S4_PS3_21rocsparse_index_base_b,comdat
.Lfunc_end80:
	.size	_ZN9rocsparseL19gebsrmvn_2xn_kernelILj128ELj1ELj64EdEEvi20rocsparse_direction_NS_24const_host_device_scalarIT2_EEPKiS6_PKS3_S8_S4_PS3_21rocsparse_index_base_b, .Lfunc_end80-_ZN9rocsparseL19gebsrmvn_2xn_kernelILj128ELj1ELj64EdEEvi20rocsparse_direction_NS_24const_host_device_scalarIT2_EEPKiS6_PKS3_S8_S4_PS3_21rocsparse_index_base_b
                                        ; -- End function
	.set _ZN9rocsparseL19gebsrmvn_2xn_kernelILj128ELj1ELj64EdEEvi20rocsparse_direction_NS_24const_host_device_scalarIT2_EEPKiS6_PKS3_S8_S4_PS3_21rocsparse_index_base_b.num_vgpr, 22
	.set _ZN9rocsparseL19gebsrmvn_2xn_kernelILj128ELj1ELj64EdEEvi20rocsparse_direction_NS_24const_host_device_scalarIT2_EEPKiS6_PKS3_S8_S4_PS3_21rocsparse_index_base_b.num_agpr, 0
	.set _ZN9rocsparseL19gebsrmvn_2xn_kernelILj128ELj1ELj64EdEEvi20rocsparse_direction_NS_24const_host_device_scalarIT2_EEPKiS6_PKS3_S8_S4_PS3_21rocsparse_index_base_b.numbered_sgpr, 16
	.set _ZN9rocsparseL19gebsrmvn_2xn_kernelILj128ELj1ELj64EdEEvi20rocsparse_direction_NS_24const_host_device_scalarIT2_EEPKiS6_PKS3_S8_S4_PS3_21rocsparse_index_base_b.num_named_barrier, 0
	.set _ZN9rocsparseL19gebsrmvn_2xn_kernelILj128ELj1ELj64EdEEvi20rocsparse_direction_NS_24const_host_device_scalarIT2_EEPKiS6_PKS3_S8_S4_PS3_21rocsparse_index_base_b.private_seg_size, 0
	.set _ZN9rocsparseL19gebsrmvn_2xn_kernelILj128ELj1ELj64EdEEvi20rocsparse_direction_NS_24const_host_device_scalarIT2_EEPKiS6_PKS3_S8_S4_PS3_21rocsparse_index_base_b.uses_vcc, 1
	.set _ZN9rocsparseL19gebsrmvn_2xn_kernelILj128ELj1ELj64EdEEvi20rocsparse_direction_NS_24const_host_device_scalarIT2_EEPKiS6_PKS3_S8_S4_PS3_21rocsparse_index_base_b.uses_flat_scratch, 0
	.set _ZN9rocsparseL19gebsrmvn_2xn_kernelILj128ELj1ELj64EdEEvi20rocsparse_direction_NS_24const_host_device_scalarIT2_EEPKiS6_PKS3_S8_S4_PS3_21rocsparse_index_base_b.has_dyn_sized_stack, 0
	.set _ZN9rocsparseL19gebsrmvn_2xn_kernelILj128ELj1ELj64EdEEvi20rocsparse_direction_NS_24const_host_device_scalarIT2_EEPKiS6_PKS3_S8_S4_PS3_21rocsparse_index_base_b.has_recursion, 0
	.set _ZN9rocsparseL19gebsrmvn_2xn_kernelILj128ELj1ELj64EdEEvi20rocsparse_direction_NS_24const_host_device_scalarIT2_EEPKiS6_PKS3_S8_S4_PS3_21rocsparse_index_base_b.has_indirect_call, 0
	.section	.AMDGPU.csdata,"",@progbits
; Kernel info:
; codeLenInByte = 1384
; TotalNumSgprs: 18
; NumVgprs: 22
; ScratchSize: 0
; MemoryBound: 0
; FloatMode: 240
; IeeeMode: 1
; LDSByteSize: 0 bytes/workgroup (compile time only)
; SGPRBlocks: 0
; VGPRBlocks: 2
; NumSGPRsForWavesPerEU: 18
; NumVGPRsForWavesPerEU: 22
; Occupancy: 16
; WaveLimiterHint : 1
; COMPUTE_PGM_RSRC2:SCRATCH_EN: 0
; COMPUTE_PGM_RSRC2:USER_SGPR: 6
; COMPUTE_PGM_RSRC2:TRAP_HANDLER: 0
; COMPUTE_PGM_RSRC2:TGID_X_EN: 1
; COMPUTE_PGM_RSRC2:TGID_Y_EN: 0
; COMPUTE_PGM_RSRC2:TGID_Z_EN: 0
; COMPUTE_PGM_RSRC2:TIDIG_COMP_CNT: 0
	.section	.text._ZN9rocsparseL19gebsrmvn_2xn_kernelILj128ELj3ELj4EdEEvi20rocsparse_direction_NS_24const_host_device_scalarIT2_EEPKiS6_PKS3_S8_S4_PS3_21rocsparse_index_base_b,"axG",@progbits,_ZN9rocsparseL19gebsrmvn_2xn_kernelILj128ELj3ELj4EdEEvi20rocsparse_direction_NS_24const_host_device_scalarIT2_EEPKiS6_PKS3_S8_S4_PS3_21rocsparse_index_base_b,comdat
	.globl	_ZN9rocsparseL19gebsrmvn_2xn_kernelILj128ELj3ELj4EdEEvi20rocsparse_direction_NS_24const_host_device_scalarIT2_EEPKiS6_PKS3_S8_S4_PS3_21rocsparse_index_base_b ; -- Begin function _ZN9rocsparseL19gebsrmvn_2xn_kernelILj128ELj3ELj4EdEEvi20rocsparse_direction_NS_24const_host_device_scalarIT2_EEPKiS6_PKS3_S8_S4_PS3_21rocsparse_index_base_b
	.p2align	8
	.type	_ZN9rocsparseL19gebsrmvn_2xn_kernelILj128ELj3ELj4EdEEvi20rocsparse_direction_NS_24const_host_device_scalarIT2_EEPKiS6_PKS3_S8_S4_PS3_21rocsparse_index_base_b,@function
_ZN9rocsparseL19gebsrmvn_2xn_kernelILj128ELj3ELj4EdEEvi20rocsparse_direction_NS_24const_host_device_scalarIT2_EEPKiS6_PKS3_S8_S4_PS3_21rocsparse_index_base_b: ; @_ZN9rocsparseL19gebsrmvn_2xn_kernelILj128ELj3ELj4EdEEvi20rocsparse_direction_NS_24const_host_device_scalarIT2_EEPKiS6_PKS3_S8_S4_PS3_21rocsparse_index_base_b
; %bb.0:
	s_clause 0x2
	s_load_dwordx2 s[2:3], s[4:5], 0x40
	s_load_dwordx2 s[8:9], s[4:5], 0x8
	;; [unrolled: 1-line block ×3, first 2 shown]
	s_waitcnt lgkmcnt(0)
	s_bitcmp1_b32 s3, 0
	v_mov_b32_e32 v1, s8
	v_mov_b32_e32 v2, s9
	s_cselect_b32 s3, -1, 0
	s_and_b32 vcc_lo, exec_lo, s3
	s_xor_b32 s3, s3, -1
	s_cbranch_vccnz .LBB81_2
; %bb.1:
	v_mov_b32_e32 v1, s8
	v_mov_b32_e32 v2, s9
	flat_load_dwordx2 v[1:2], v[1:2]
.LBB81_2:
	v_mov_b32_e32 v4, s1
	v_mov_b32_e32 v3, s0
	s_andn2_b32 vcc_lo, exec_lo, s3
	s_cbranch_vccnz .LBB81_4
; %bb.3:
	v_mov_b32_e32 v4, s1
	v_mov_b32_e32 v3, s0
	flat_load_dwordx2 v[3:4], v[3:4]
.LBB81_4:
	s_waitcnt vmcnt(0) lgkmcnt(0)
	v_cmp_neq_f64_e32 vcc_lo, 0, v[1:2]
	v_cmp_neq_f64_e64 s0, 1.0, v[3:4]
	s_or_b32 s0, vcc_lo, s0
	s_and_saveexec_b32 s1, s0
	s_cbranch_execz .LBB81_23
; %bb.5:
	s_load_dwordx2 s[0:1], s[4:5], 0x0
	v_lshrrev_b32_e32 v5, 2, v0
	v_lshl_or_b32 v5, s6, 5, v5
	s_waitcnt lgkmcnt(0)
	v_cmp_gt_i32_e32 vcc_lo, s0, v5
	s_and_b32 exec_lo, exec_lo, vcc_lo
	s_cbranch_execz .LBB81_23
; %bb.6:
	s_load_dwordx8 s[8:15], s[4:5], 0x10
	v_ashrrev_i32_e32 v6, 31, v5
	v_and_b32_e32 v0, 3, v0
	s_cmp_lg_u32 s1, 0
	v_lshlrev_b64 v[6:7], 2, v[5:6]
	s_waitcnt lgkmcnt(0)
	v_add_co_u32 v6, vcc_lo, s8, v6
	v_add_co_ci_u32_e64 v7, null, s9, v7, vcc_lo
	global_load_dwordx2 v[6:7], v[6:7], off
	s_waitcnt vmcnt(0)
	v_subrev_nc_u32_e32 v6, s2, v6
	v_subrev_nc_u32_e32 v16, s2, v7
	v_add_nc_u32_e32 v8, v6, v0
	v_cmp_lt_i32_e64 s0, v8, v16
	s_cbranch_scc0 .LBB81_12
; %bb.7:
	v_mov_b32_e32 v6, 0
	v_mov_b32_e32 v10, 0
	;; [unrolled: 1-line block ×4, first 2 shown]
	s_and_saveexec_b32 s1, s0
	s_cbranch_execz .LBB81_11
; %bb.8:
	v_mul_lo_u32 v12, v8, 6
	v_mov_b32_e32 v6, 0
	v_mov_b32_e32 v10, 0
	;; [unrolled: 1-line block ×6, first 2 shown]
	s_mov_b32 s3, 0
.LBB81_9:                               ; =>This Inner Loop Header: Depth=1
	v_ashrrev_i32_e32 v15, 31, v14
	v_mov_b32_e32 v26, v13
	v_add_nc_u32_e32 v21, 2, v12
	v_mov_b32_e32 v22, v13
	v_mov_b32_e32 v27, v13
	v_lshlrev_b64 v[17:18], 2, v[14:15]
	v_add_nc_u32_e32 v28, 4, v12
	v_mov_b32_e32 v29, v13
	v_lshlrev_b64 v[21:22], 3, v[21:22]
	v_mov_b32_e32 v33, v13
	v_add_nc_u32_e32 v14, 4, v14
	v_add_co_u32 v17, vcc_lo, s10, v17
	v_add_co_ci_u32_e64 v18, null, s11, v18, vcc_lo
	global_load_dword v9, v[17:18], off
	v_lshlrev_b64 v[17:18], 3, v[12:13]
	v_add_nc_u32_e32 v12, 24, v12
	v_add_co_u32 v17, vcc_lo, s12, v17
	v_add_co_ci_u32_e64 v18, null, s13, v18, vcc_lo
	s_waitcnt vmcnt(0)
	v_subrev_nc_u32_e32 v9, s2, v9
	v_lshl_add_u32 v25, v9, 1, v9
	v_lshlrev_b64 v[19:20], 3, v[25:26]
	v_add_nc_u32_e32 v26, 1, v25
	v_add_nc_u32_e32 v32, 2, v25
	v_add_co_u32 v23, vcc_lo, s14, v19
	v_add_co_ci_u32_e64 v24, null, s15, v20, vcc_lo
	v_add_co_u32 v21, vcc_lo, s12, v21
	global_load_dwordx4 v[17:20], v[17:18], off
	global_load_dwordx2 v[30:31], v[23:24], off
	v_lshlrev_b64 v[23:24], 3, v[26:27]
	v_add_co_ci_u32_e64 v22, null, s13, v22, vcc_lo
	v_add_co_u32 v26, vcc_lo, s14, v23
	v_add_co_ci_u32_e64 v27, null, s15, v24, vcc_lo
	global_load_dwordx4 v[21:24], v[21:22], off
	global_load_dwordx2 v[34:35], v[26:27], off
	v_lshlrev_b64 v[26:27], 3, v[28:29]
	v_lshlrev_b64 v[28:29], 3, v[32:33]
	v_add_co_u32 v25, vcc_lo, s12, v26
	v_add_co_ci_u32_e64 v26, null, s13, v27, vcc_lo
	v_add_co_u32 v32, vcc_lo, s14, v28
	v_add_co_ci_u32_e64 v33, null, s15, v29, vcc_lo
	global_load_dwordx4 v[25:28], v[25:26], off
	global_load_dwordx2 v[32:33], v[32:33], off
	v_cmp_ge_i32_e32 vcc_lo, v14, v16
	s_or_b32 s3, vcc_lo, s3
	s_waitcnt vmcnt(4)
	v_fma_f64 v[6:7], v[17:18], v[30:31], v[6:7]
	v_fma_f64 v[9:10], v[19:20], v[30:31], v[10:11]
	s_waitcnt vmcnt(2)
	v_fma_f64 v[6:7], v[21:22], v[34:35], v[6:7]
	v_fma_f64 v[9:10], v[23:24], v[34:35], v[9:10]
	;; [unrolled: 3-line block ×3, first 2 shown]
	s_andn2_b32 exec_lo, exec_lo, s3
	s_cbranch_execnz .LBB81_9
; %bb.10:
	s_or_b32 exec_lo, exec_lo, s3
.LBB81_11:
	s_or_b32 exec_lo, exec_lo, s1
	s_cbranch_execz .LBB81_13
	s_branch .LBB81_18
.LBB81_12:
                                        ; implicit-def: $vgpr6_vgpr7
                                        ; implicit-def: $vgpr10_vgpr11
.LBB81_13:
	v_mov_b32_e32 v6, 0
	v_mov_b32_e32 v10, 0
	;; [unrolled: 1-line block ×4, first 2 shown]
	s_and_saveexec_b32 s1, s0
	s_cbranch_execz .LBB81_17
; %bb.14:
	v_mad_u64_u32 v[12:13], null, v8, 6, 5
	v_mov_b32_e32 v6, 0
	v_mov_b32_e32 v10, 0
	;; [unrolled: 1-line block ×5, first 2 shown]
	s_mov_b32 s3, 0
.LBB81_15:                              ; =>This Inner Loop Header: Depth=1
	v_ashrrev_i32_e32 v9, 31, v8
	v_add_nc_u32_e32 v17, -2, v12
	v_mov_b32_e32 v18, v15
	v_mov_b32_e32 v22, v15
	v_lshlrev_b64 v[13:14], 2, v[8:9]
	v_add_nc_u32_e32 v8, 4, v8
	v_lshlrev_b64 v[17:18], 3, v[17:18]
	v_add_co_u32 v13, vcc_lo, s10, v13
	v_add_co_ci_u32_e64 v14, null, s11, v14, vcc_lo
	global_load_dword v9, v[13:14], off
	v_add_nc_u32_e32 v14, -5, v12
	v_mov_b32_e32 v13, v15
	v_lshlrev_b64 v[19:20], 3, v[14:15]
	v_lshlrev_b64 v[23:24], 3, v[12:13]
	v_add_co_u32 v13, vcc_lo, s12, v19
	v_add_co_ci_u32_e64 v14, null, s13, v20, vcc_lo
	v_add_co_u32 v25, vcc_lo, s12, v17
	v_add_co_ci_u32_e64 v26, null, s13, v18, vcc_lo
	s_clause 0x1
	global_load_dwordx4 v[17:20], v[13:14], off
	global_load_dwordx2 v[25:26], v[25:26], off
	v_add_co_u32 v23, vcc_lo, s12, v23
	v_add_co_ci_u32_e64 v24, null, s13, v24, vcc_lo
	s_waitcnt vmcnt(2)
	v_subrev_nc_u32_e32 v9, s2, v9
	v_lshl_add_u32 v21, v9, 1, v9
	v_lshlrev_b64 v[13:14], 3, v[21:22]
	v_add_co_u32 v27, s0, s14, v13
	v_add_co_ci_u32_e64 v28, null, s15, v14, s0
	v_add_nc_u32_e32 v14, 1, v21
	global_load_dwordx2 v[27:28], v[27:28], off
	v_lshlrev_b64 v[29:30], 3, v[14:15]
	v_add_nc_u32_e32 v14, -1, v12
	v_lshlrev_b64 v[13:14], 3, v[14:15]
	v_add_co_u32 v29, s0, s14, v29
	v_add_co_ci_u32_e64 v30, null, s15, v30, s0
	v_add_co_u32 v13, s0, s12, v13
	v_add_co_ci_u32_e64 v14, null, s13, v14, s0
	global_load_dwordx2 v[29:30], v[29:30], off
	global_load_dwordx2 v[31:32], v[13:14], off
	v_add_nc_u32_e32 v14, -3, v12
	v_add_nc_u32_e32 v12, 24, v12
	v_lshlrev_b64 v[33:34], 3, v[14:15]
	v_add_nc_u32_e32 v14, 2, v21
	v_lshlrev_b64 v[13:14], 3, v[14:15]
	v_add_co_u32 v21, vcc_lo, s12, v33
	v_add_co_ci_u32_e64 v22, null, s13, v34, vcc_lo
	v_add_co_u32 v13, vcc_lo, s14, v13
	v_add_co_ci_u32_e64 v14, null, s15, v14, vcc_lo
	s_clause 0x1
	global_load_dwordx2 v[23:24], v[23:24], off
	global_load_dwordx2 v[21:22], v[21:22], off
	;; [unrolled: 1-line block ×3, first 2 shown]
	v_cmp_ge_i32_e32 vcc_lo, v8, v16
	s_or_b32 s3, vcc_lo, s3
	s_waitcnt vmcnt(5)
	v_fma_f64 v[6:7], v[17:18], v[27:28], v[6:7]
	v_fma_f64 v[9:10], v[25:26], v[27:28], v[10:11]
	s_waitcnt vmcnt(4)
	v_fma_f64 v[6:7], v[19:20], v[29:30], v[6:7]
	s_waitcnt vmcnt(3)
	;; [unrolled: 2-line block ×3, first 2 shown]
	v_fma_f64 v[6:7], v[21:22], v[13:14], v[6:7]
	v_fma_f64 v[10:11], v[23:24], v[13:14], v[9:10]
	s_andn2_b32 exec_lo, exec_lo, s3
	s_cbranch_execnz .LBB81_15
; %bb.16:
	s_or_b32 exec_lo, exec_lo, s3
.LBB81_17:
	s_or_b32 exec_lo, exec_lo, s1
.LBB81_18:
	v_mbcnt_lo_u32_b32 v14, -1, 0
	v_xor_b32_e32 v8, 2, v14
	v_cmp_gt_i32_e32 vcc_lo, 32, v8
	v_cndmask_b32_e32 v8, v14, v8, vcc_lo
	v_lshlrev_b32_e32 v13, 2, v8
	ds_bpermute_b32 v8, v13, v6
	ds_bpermute_b32 v9, v13, v7
	;; [unrolled: 1-line block ×4, first 2 shown]
	s_waitcnt lgkmcnt(2)
	v_add_f64 v[6:7], v[6:7], v[8:9]
	v_xor_b32_e32 v8, 1, v14
	s_waitcnt lgkmcnt(0)
	v_add_f64 v[10:11], v[10:11], v[12:13]
	v_cmp_gt_i32_e32 vcc_lo, 32, v8
	v_cndmask_b32_e32 v8, v14, v8, vcc_lo
	v_cmp_eq_u32_e32 vcc_lo, 3, v0
	v_lshlrev_b32_e32 v13, 2, v8
	ds_bpermute_b32 v8, v13, v6
	ds_bpermute_b32 v9, v13, v7
	ds_bpermute_b32 v12, v13, v10
	ds_bpermute_b32 v13, v13, v11
	s_and_b32 exec_lo, exec_lo, vcc_lo
	s_cbranch_execz .LBB81_23
; %bb.19:
	s_waitcnt lgkmcnt(2)
	v_add_f64 v[8:9], v[6:7], v[8:9]
	s_waitcnt lgkmcnt(0)
	v_add_f64 v[6:7], v[10:11], v[12:13]
	s_load_dwordx2 s[0:1], s[4:5], 0x38
	s_mov_b32 s2, exec_lo
	v_cmpx_eq_f64_e32 0, v[3:4]
	s_xor_b32 s2, exec_lo, s2
	s_cbranch_execz .LBB81_21
; %bb.20:
	v_lshlrev_b32_e32 v0, 1, v5
	v_mul_f64 v[3:4], v[1:2], v[8:9]
	v_mul_f64 v[5:6], v[1:2], v[6:7]
                                        ; implicit-def: $vgpr8_vgpr9
	v_ashrrev_i32_e32 v1, 31, v0
	v_lshlrev_b64 v[0:1], 3, v[0:1]
	s_waitcnt lgkmcnt(0)
	v_add_co_u32 v0, vcc_lo, s0, v0
	v_add_co_ci_u32_e64 v1, null, s1, v1, vcc_lo
	global_store_dwordx4 v[0:1], v[3:6], off
                                        ; implicit-def: $vgpr5
                                        ; implicit-def: $vgpr1_vgpr2
                                        ; implicit-def: $vgpr3_vgpr4
                                        ; implicit-def: $vgpr6_vgpr7
.LBB81_21:
	s_andn2_saveexec_b32 s2, s2
	s_cbranch_execz .LBB81_23
; %bb.22:
	v_lshlrev_b32_e32 v10, 1, v5
	v_mul_f64 v[8:9], v[1:2], v[8:9]
	v_mul_f64 v[5:6], v[1:2], v[6:7]
	v_ashrrev_i32_e32 v11, 31, v10
	v_lshlrev_b64 v[10:11], 3, v[10:11]
	s_waitcnt lgkmcnt(0)
	v_add_co_u32 v14, vcc_lo, s0, v10
	v_add_co_ci_u32_e64 v15, null, s1, v11, vcc_lo
	global_load_dwordx4 v[10:13], v[14:15], off
	s_waitcnt vmcnt(0)
	v_fma_f64 v[0:1], v[3:4], v[10:11], v[8:9]
	v_fma_f64 v[2:3], v[3:4], v[12:13], v[5:6]
	global_store_dwordx4 v[14:15], v[0:3], off
.LBB81_23:
	s_endpgm
	.section	.rodata,"a",@progbits
	.p2align	6, 0x0
	.amdhsa_kernel _ZN9rocsparseL19gebsrmvn_2xn_kernelILj128ELj3ELj4EdEEvi20rocsparse_direction_NS_24const_host_device_scalarIT2_EEPKiS6_PKS3_S8_S4_PS3_21rocsparse_index_base_b
		.amdhsa_group_segment_fixed_size 0
		.amdhsa_private_segment_fixed_size 0
		.amdhsa_kernarg_size 72
		.amdhsa_user_sgpr_count 6
		.amdhsa_user_sgpr_private_segment_buffer 1
		.amdhsa_user_sgpr_dispatch_ptr 0
		.amdhsa_user_sgpr_queue_ptr 0
		.amdhsa_user_sgpr_kernarg_segment_ptr 1
		.amdhsa_user_sgpr_dispatch_id 0
		.amdhsa_user_sgpr_flat_scratch_init 0
		.amdhsa_user_sgpr_private_segment_size 0
		.amdhsa_wavefront_size32 1
		.amdhsa_uses_dynamic_stack 0
		.amdhsa_system_sgpr_private_segment_wavefront_offset 0
		.amdhsa_system_sgpr_workgroup_id_x 1
		.amdhsa_system_sgpr_workgroup_id_y 0
		.amdhsa_system_sgpr_workgroup_id_z 0
		.amdhsa_system_sgpr_workgroup_info 0
		.amdhsa_system_vgpr_workitem_id 0
		.amdhsa_next_free_vgpr 36
		.amdhsa_next_free_sgpr 16
		.amdhsa_reserve_vcc 1
		.amdhsa_reserve_flat_scratch 0
		.amdhsa_float_round_mode_32 0
		.amdhsa_float_round_mode_16_64 0
		.amdhsa_float_denorm_mode_32 3
		.amdhsa_float_denorm_mode_16_64 3
		.amdhsa_dx10_clamp 1
		.amdhsa_ieee_mode 1
		.amdhsa_fp16_overflow 0
		.amdhsa_workgroup_processor_mode 1
		.amdhsa_memory_ordered 1
		.amdhsa_forward_progress 1
		.amdhsa_shared_vgpr_count 0
		.amdhsa_exception_fp_ieee_invalid_op 0
		.amdhsa_exception_fp_denorm_src 0
		.amdhsa_exception_fp_ieee_div_zero 0
		.amdhsa_exception_fp_ieee_overflow 0
		.amdhsa_exception_fp_ieee_underflow 0
		.amdhsa_exception_fp_ieee_inexact 0
		.amdhsa_exception_int_div_zero 0
	.end_amdhsa_kernel
	.section	.text._ZN9rocsparseL19gebsrmvn_2xn_kernelILj128ELj3ELj4EdEEvi20rocsparse_direction_NS_24const_host_device_scalarIT2_EEPKiS6_PKS3_S8_S4_PS3_21rocsparse_index_base_b,"axG",@progbits,_ZN9rocsparseL19gebsrmvn_2xn_kernelILj128ELj3ELj4EdEEvi20rocsparse_direction_NS_24const_host_device_scalarIT2_EEPKiS6_PKS3_S8_S4_PS3_21rocsparse_index_base_b,comdat
.Lfunc_end81:
	.size	_ZN9rocsparseL19gebsrmvn_2xn_kernelILj128ELj3ELj4EdEEvi20rocsparse_direction_NS_24const_host_device_scalarIT2_EEPKiS6_PKS3_S8_S4_PS3_21rocsparse_index_base_b, .Lfunc_end81-_ZN9rocsparseL19gebsrmvn_2xn_kernelILj128ELj3ELj4EdEEvi20rocsparse_direction_NS_24const_host_device_scalarIT2_EEPKiS6_PKS3_S8_S4_PS3_21rocsparse_index_base_b
                                        ; -- End function
	.set _ZN9rocsparseL19gebsrmvn_2xn_kernelILj128ELj3ELj4EdEEvi20rocsparse_direction_NS_24const_host_device_scalarIT2_EEPKiS6_PKS3_S8_S4_PS3_21rocsparse_index_base_b.num_vgpr, 36
	.set _ZN9rocsparseL19gebsrmvn_2xn_kernelILj128ELj3ELj4EdEEvi20rocsparse_direction_NS_24const_host_device_scalarIT2_EEPKiS6_PKS3_S8_S4_PS3_21rocsparse_index_base_b.num_agpr, 0
	.set _ZN9rocsparseL19gebsrmvn_2xn_kernelILj128ELj3ELj4EdEEvi20rocsparse_direction_NS_24const_host_device_scalarIT2_EEPKiS6_PKS3_S8_S4_PS3_21rocsparse_index_base_b.numbered_sgpr, 16
	.set _ZN9rocsparseL19gebsrmvn_2xn_kernelILj128ELj3ELj4EdEEvi20rocsparse_direction_NS_24const_host_device_scalarIT2_EEPKiS6_PKS3_S8_S4_PS3_21rocsparse_index_base_b.num_named_barrier, 0
	.set _ZN9rocsparseL19gebsrmvn_2xn_kernelILj128ELj3ELj4EdEEvi20rocsparse_direction_NS_24const_host_device_scalarIT2_EEPKiS6_PKS3_S8_S4_PS3_21rocsparse_index_base_b.private_seg_size, 0
	.set _ZN9rocsparseL19gebsrmvn_2xn_kernelILj128ELj3ELj4EdEEvi20rocsparse_direction_NS_24const_host_device_scalarIT2_EEPKiS6_PKS3_S8_S4_PS3_21rocsparse_index_base_b.uses_vcc, 1
	.set _ZN9rocsparseL19gebsrmvn_2xn_kernelILj128ELj3ELj4EdEEvi20rocsparse_direction_NS_24const_host_device_scalarIT2_EEPKiS6_PKS3_S8_S4_PS3_21rocsparse_index_base_b.uses_flat_scratch, 0
	.set _ZN9rocsparseL19gebsrmvn_2xn_kernelILj128ELj3ELj4EdEEvi20rocsparse_direction_NS_24const_host_device_scalarIT2_EEPKiS6_PKS3_S8_S4_PS3_21rocsparse_index_base_b.has_dyn_sized_stack, 0
	.set _ZN9rocsparseL19gebsrmvn_2xn_kernelILj128ELj3ELj4EdEEvi20rocsparse_direction_NS_24const_host_device_scalarIT2_EEPKiS6_PKS3_S8_S4_PS3_21rocsparse_index_base_b.has_recursion, 0
	.set _ZN9rocsparseL19gebsrmvn_2xn_kernelILj128ELj3ELj4EdEEvi20rocsparse_direction_NS_24const_host_device_scalarIT2_EEPKiS6_PKS3_S8_S4_PS3_21rocsparse_index_base_b.has_indirect_call, 0
	.section	.AMDGPU.csdata,"",@progbits
; Kernel info:
; codeLenInByte = 1548
; TotalNumSgprs: 18
; NumVgprs: 36
; ScratchSize: 0
; MemoryBound: 0
; FloatMode: 240
; IeeeMode: 1
; LDSByteSize: 0 bytes/workgroup (compile time only)
; SGPRBlocks: 0
; VGPRBlocks: 4
; NumSGPRsForWavesPerEU: 18
; NumVGPRsForWavesPerEU: 36
; Occupancy: 16
; WaveLimiterHint : 1
; COMPUTE_PGM_RSRC2:SCRATCH_EN: 0
; COMPUTE_PGM_RSRC2:USER_SGPR: 6
; COMPUTE_PGM_RSRC2:TRAP_HANDLER: 0
; COMPUTE_PGM_RSRC2:TGID_X_EN: 1
; COMPUTE_PGM_RSRC2:TGID_Y_EN: 0
; COMPUTE_PGM_RSRC2:TGID_Z_EN: 0
; COMPUTE_PGM_RSRC2:TIDIG_COMP_CNT: 0
	.section	.text._ZN9rocsparseL19gebsrmvn_2xn_kernelILj128ELj3ELj8EdEEvi20rocsparse_direction_NS_24const_host_device_scalarIT2_EEPKiS6_PKS3_S8_S4_PS3_21rocsparse_index_base_b,"axG",@progbits,_ZN9rocsparseL19gebsrmvn_2xn_kernelILj128ELj3ELj8EdEEvi20rocsparse_direction_NS_24const_host_device_scalarIT2_EEPKiS6_PKS3_S8_S4_PS3_21rocsparse_index_base_b,comdat
	.globl	_ZN9rocsparseL19gebsrmvn_2xn_kernelILj128ELj3ELj8EdEEvi20rocsparse_direction_NS_24const_host_device_scalarIT2_EEPKiS6_PKS3_S8_S4_PS3_21rocsparse_index_base_b ; -- Begin function _ZN9rocsparseL19gebsrmvn_2xn_kernelILj128ELj3ELj8EdEEvi20rocsparse_direction_NS_24const_host_device_scalarIT2_EEPKiS6_PKS3_S8_S4_PS3_21rocsparse_index_base_b
	.p2align	8
	.type	_ZN9rocsparseL19gebsrmvn_2xn_kernelILj128ELj3ELj8EdEEvi20rocsparse_direction_NS_24const_host_device_scalarIT2_EEPKiS6_PKS3_S8_S4_PS3_21rocsparse_index_base_b,@function
_ZN9rocsparseL19gebsrmvn_2xn_kernelILj128ELj3ELj8EdEEvi20rocsparse_direction_NS_24const_host_device_scalarIT2_EEPKiS6_PKS3_S8_S4_PS3_21rocsparse_index_base_b: ; @_ZN9rocsparseL19gebsrmvn_2xn_kernelILj128ELj3ELj8EdEEvi20rocsparse_direction_NS_24const_host_device_scalarIT2_EEPKiS6_PKS3_S8_S4_PS3_21rocsparse_index_base_b
; %bb.0:
	s_clause 0x2
	s_load_dwordx2 s[2:3], s[4:5], 0x40
	s_load_dwordx2 s[8:9], s[4:5], 0x8
	;; [unrolled: 1-line block ×3, first 2 shown]
	s_waitcnt lgkmcnt(0)
	s_bitcmp1_b32 s3, 0
	v_mov_b32_e32 v1, s8
	v_mov_b32_e32 v2, s9
	s_cselect_b32 s3, -1, 0
	s_and_b32 vcc_lo, exec_lo, s3
	s_xor_b32 s3, s3, -1
	s_cbranch_vccnz .LBB82_2
; %bb.1:
	v_mov_b32_e32 v1, s8
	v_mov_b32_e32 v2, s9
	flat_load_dwordx2 v[1:2], v[1:2]
.LBB82_2:
	v_mov_b32_e32 v4, s1
	v_mov_b32_e32 v3, s0
	s_andn2_b32 vcc_lo, exec_lo, s3
	s_cbranch_vccnz .LBB82_4
; %bb.3:
	v_mov_b32_e32 v4, s1
	v_mov_b32_e32 v3, s0
	flat_load_dwordx2 v[3:4], v[3:4]
.LBB82_4:
	s_waitcnt vmcnt(0) lgkmcnt(0)
	v_cmp_neq_f64_e32 vcc_lo, 0, v[1:2]
	v_cmp_neq_f64_e64 s0, 1.0, v[3:4]
	s_or_b32 s0, vcc_lo, s0
	s_and_saveexec_b32 s1, s0
	s_cbranch_execz .LBB82_23
; %bb.5:
	s_load_dwordx2 s[0:1], s[4:5], 0x0
	v_lshrrev_b32_e32 v5, 3, v0
	v_lshl_or_b32 v5, s6, 4, v5
	s_waitcnt lgkmcnt(0)
	v_cmp_gt_i32_e32 vcc_lo, s0, v5
	s_and_b32 exec_lo, exec_lo, vcc_lo
	s_cbranch_execz .LBB82_23
; %bb.6:
	s_load_dwordx8 s[8:15], s[4:5], 0x10
	v_ashrrev_i32_e32 v6, 31, v5
	v_and_b32_e32 v0, 7, v0
	s_cmp_lg_u32 s1, 0
	v_lshlrev_b64 v[6:7], 2, v[5:6]
	s_waitcnt lgkmcnt(0)
	v_add_co_u32 v6, vcc_lo, s8, v6
	v_add_co_ci_u32_e64 v7, null, s9, v7, vcc_lo
	global_load_dwordx2 v[6:7], v[6:7], off
	s_waitcnt vmcnt(0)
	v_subrev_nc_u32_e32 v6, s2, v6
	v_subrev_nc_u32_e32 v16, s2, v7
	v_add_nc_u32_e32 v10, v6, v0
	v_cmp_lt_i32_e64 s0, v10, v16
	s_cbranch_scc0 .LBB82_12
; %bb.7:
	v_mov_b32_e32 v6, 0
	v_mov_b32_e32 v8, 0
	;; [unrolled: 1-line block ×4, first 2 shown]
	s_and_saveexec_b32 s1, s0
	s_cbranch_execz .LBB82_11
; %bb.8:
	v_mul_lo_u32 v11, v10, 6
	v_mov_b32_e32 v6, 0
	v_mov_b32_e32 v8, 0
	;; [unrolled: 1-line block ×6, first 2 shown]
	s_mov_b32 s3, 0
.LBB82_9:                               ; =>This Inner Loop Header: Depth=1
	v_ashrrev_i32_e32 v14, 31, v13
	v_mov_b32_e32 v26, v12
	v_add_nc_u32_e32 v21, 2, v11
	v_mov_b32_e32 v22, v12
	v_mov_b32_e32 v27, v12
	v_lshlrev_b64 v[14:15], 2, v[13:14]
	v_add_nc_u32_e32 v28, 4, v11
	v_mov_b32_e32 v29, v12
	v_lshlrev_b64 v[21:22], 3, v[21:22]
	v_mov_b32_e32 v30, v12
	v_add_nc_u32_e32 v13, 8, v13
	v_add_co_u32 v14, vcc_lo, s10, v14
	v_add_co_ci_u32_e64 v15, null, s11, v15, vcc_lo
	global_load_dword v17, v[14:15], off
	v_lshlrev_b64 v[14:15], 3, v[11:12]
	v_add_nc_u32_e32 v11, 48, v11
	v_add_co_u32 v14, vcc_lo, s12, v14
	v_add_co_ci_u32_e64 v15, null, s13, v15, vcc_lo
	s_waitcnt vmcnt(0)
	v_subrev_nc_u32_e32 v17, s2, v17
	v_lshl_add_u32 v25, v17, 1, v17
	v_lshlrev_b64 v[17:18], 3, v[25:26]
	v_add_nc_u32_e32 v26, 1, v25
	v_add_co_u32 v23, vcc_lo, s14, v17
	v_add_co_ci_u32_e64 v24, null, s15, v18, vcc_lo
	v_add_co_u32 v21, vcc_lo, s12, v21
	global_load_dwordx4 v[17:20], v[14:15], off
	global_load_dwordx2 v[14:15], v[23:24], off
	v_lshlrev_b64 v[23:24], 3, v[26:27]
	v_add_co_ci_u32_e64 v22, null, s13, v22, vcc_lo
	v_add_co_u32 v26, vcc_lo, s14, v23
	v_add_co_ci_u32_e64 v27, null, s15, v24, vcc_lo
	global_load_dwordx4 v[21:24], v[21:22], off
	global_load_dwordx2 v[31:32], v[26:27], off
	v_lshlrev_b64 v[26:27], 3, v[28:29]
	v_add_nc_u32_e32 v29, 2, v25
	v_lshlrev_b64 v[28:29], 3, v[29:30]
	v_add_co_u32 v25, vcc_lo, s12, v26
	v_add_co_ci_u32_e64 v26, null, s13, v27, vcc_lo
	v_add_co_u32 v33, vcc_lo, s14, v28
	v_add_co_ci_u32_e64 v34, null, s15, v29, vcc_lo
	global_load_dwordx4 v[25:28], v[25:26], off
	global_load_dwordx2 v[29:30], v[33:34], off
	v_cmp_ge_i32_e32 vcc_lo, v13, v16
	s_or_b32 s3, vcc_lo, s3
	s_waitcnt vmcnt(4)
	v_fma_f64 v[6:7], v[17:18], v[14:15], v[6:7]
	v_fma_f64 v[8:9], v[19:20], v[14:15], v[8:9]
	s_waitcnt vmcnt(2)
	v_fma_f64 v[6:7], v[21:22], v[31:32], v[6:7]
	v_fma_f64 v[8:9], v[23:24], v[31:32], v[8:9]
	;; [unrolled: 3-line block ×3, first 2 shown]
	s_andn2_b32 exec_lo, exec_lo, s3
	s_cbranch_execnz .LBB82_9
; %bb.10:
	s_or_b32 exec_lo, exec_lo, s3
.LBB82_11:
	s_or_b32 exec_lo, exec_lo, s1
	s_cbranch_execz .LBB82_13
	s_branch .LBB82_18
.LBB82_12:
                                        ; implicit-def: $vgpr6_vgpr7
                                        ; implicit-def: $vgpr8_vgpr9
.LBB82_13:
	v_mov_b32_e32 v6, 0
	v_mov_b32_e32 v8, 0
	;; [unrolled: 1-line block ×4, first 2 shown]
	s_and_saveexec_b32 s1, s0
	s_cbranch_execz .LBB82_17
; %bb.14:
	v_mad_u64_u32 v[12:13], null, v10, 6, 5
	v_mov_b32_e32 v6, 0
	v_mov_b32_e32 v8, 0
	;; [unrolled: 1-line block ×5, first 2 shown]
	s_mov_b32 s3, 0
.LBB82_15:                              ; =>This Inner Loop Header: Depth=1
	v_ashrrev_i32_e32 v11, 31, v10
	v_add_nc_u32_e32 v17, -2, v12
	v_mov_b32_e32 v18, v15
	v_mov_b32_e32 v22, v15
	v_lshlrev_b64 v[13:14], 2, v[10:11]
	v_add_nc_u32_e32 v10, 8, v10
	v_lshlrev_b64 v[17:18], 3, v[17:18]
	v_add_co_u32 v13, vcc_lo, s10, v13
	v_add_co_ci_u32_e64 v14, null, s11, v14, vcc_lo
	global_load_dword v11, v[13:14], off
	v_add_nc_u32_e32 v14, -5, v12
	v_mov_b32_e32 v13, v15
	v_lshlrev_b64 v[19:20], 3, v[14:15]
	v_lshlrev_b64 v[23:24], 3, v[12:13]
	v_add_co_u32 v13, vcc_lo, s12, v19
	v_add_co_ci_u32_e64 v14, null, s13, v20, vcc_lo
	v_add_co_u32 v25, vcc_lo, s12, v17
	v_add_co_ci_u32_e64 v26, null, s13, v18, vcc_lo
	s_clause 0x1
	global_load_dwordx4 v[17:20], v[13:14], off
	global_load_dwordx2 v[25:26], v[25:26], off
	v_add_co_u32 v23, vcc_lo, s12, v23
	v_add_co_ci_u32_e64 v24, null, s13, v24, vcc_lo
	s_waitcnt vmcnt(2)
	v_subrev_nc_u32_e32 v11, s2, v11
	v_lshl_add_u32 v21, v11, 1, v11
	v_lshlrev_b64 v[13:14], 3, v[21:22]
	v_add_co_u32 v27, s0, s14, v13
	v_add_co_ci_u32_e64 v28, null, s15, v14, s0
	v_add_nc_u32_e32 v14, 1, v21
	global_load_dwordx2 v[27:28], v[27:28], off
	v_lshlrev_b64 v[29:30], 3, v[14:15]
	v_add_nc_u32_e32 v14, -1, v12
	v_lshlrev_b64 v[13:14], 3, v[14:15]
	v_add_co_u32 v29, s0, s14, v29
	v_add_co_ci_u32_e64 v30, null, s15, v30, s0
	v_add_co_u32 v13, s0, s12, v13
	v_add_co_ci_u32_e64 v14, null, s13, v14, s0
	global_load_dwordx2 v[29:30], v[29:30], off
	global_load_dwordx2 v[31:32], v[13:14], off
	v_add_nc_u32_e32 v14, -3, v12
	v_add_nc_u32_e32 v12, 48, v12
	v_lshlrev_b64 v[33:34], 3, v[14:15]
	v_add_nc_u32_e32 v14, 2, v21
	v_lshlrev_b64 v[13:14], 3, v[14:15]
	v_add_co_u32 v21, vcc_lo, s12, v33
	v_add_co_ci_u32_e64 v22, null, s13, v34, vcc_lo
	v_add_co_u32 v13, vcc_lo, s14, v13
	v_add_co_ci_u32_e64 v14, null, s15, v14, vcc_lo
	s_clause 0x1
	global_load_dwordx2 v[23:24], v[23:24], off
	global_load_dwordx2 v[21:22], v[21:22], off
	;; [unrolled: 1-line block ×3, first 2 shown]
	v_cmp_ge_i32_e32 vcc_lo, v10, v16
	s_or_b32 s3, vcc_lo, s3
	s_waitcnt vmcnt(5)
	v_fma_f64 v[6:7], v[17:18], v[27:28], v[6:7]
	v_fma_f64 v[8:9], v[25:26], v[27:28], v[8:9]
	s_waitcnt vmcnt(4)
	v_fma_f64 v[6:7], v[19:20], v[29:30], v[6:7]
	s_waitcnt vmcnt(3)
	;; [unrolled: 2-line block ×3, first 2 shown]
	v_fma_f64 v[6:7], v[21:22], v[13:14], v[6:7]
	v_fma_f64 v[8:9], v[23:24], v[13:14], v[8:9]
	s_andn2_b32 exec_lo, exec_lo, s3
	s_cbranch_execnz .LBB82_15
; %bb.16:
	s_or_b32 exec_lo, exec_lo, s3
.LBB82_17:
	s_or_b32 exec_lo, exec_lo, s1
.LBB82_18:
	v_mbcnt_lo_u32_b32 v14, -1, 0
	v_xor_b32_e32 v10, 4, v14
	v_cmp_gt_i32_e32 vcc_lo, 32, v10
	v_cndmask_b32_e32 v10, v14, v10, vcc_lo
	v_lshlrev_b32_e32 v13, 2, v10
	ds_bpermute_b32 v10, v13, v6
	ds_bpermute_b32 v11, v13, v7
	;; [unrolled: 1-line block ×4, first 2 shown]
	s_waitcnt lgkmcnt(2)
	v_add_f64 v[6:7], v[6:7], v[10:11]
	v_xor_b32_e32 v10, 2, v14
	s_waitcnt lgkmcnt(0)
	v_add_f64 v[8:9], v[8:9], v[12:13]
	v_cmp_gt_i32_e32 vcc_lo, 32, v10
	v_cndmask_b32_e32 v10, v14, v10, vcc_lo
	v_lshlrev_b32_e32 v13, 2, v10
	ds_bpermute_b32 v10, v13, v6
	ds_bpermute_b32 v11, v13, v7
	;; [unrolled: 1-line block ×4, first 2 shown]
	s_waitcnt lgkmcnt(2)
	v_add_f64 v[6:7], v[6:7], v[10:11]
	s_waitcnt lgkmcnt(0)
	v_add_f64 v[10:11], v[8:9], v[12:13]
	v_xor_b32_e32 v8, 1, v14
	v_cmp_gt_i32_e32 vcc_lo, 32, v8
	v_cndmask_b32_e32 v8, v14, v8, vcc_lo
	v_cmp_eq_u32_e32 vcc_lo, 7, v0
	v_lshlrev_b32_e32 v13, 2, v8
	ds_bpermute_b32 v8, v13, v6
	ds_bpermute_b32 v9, v13, v7
	;; [unrolled: 1-line block ×4, first 2 shown]
	s_and_b32 exec_lo, exec_lo, vcc_lo
	s_cbranch_execz .LBB82_23
; %bb.19:
	s_waitcnt lgkmcnt(2)
	v_add_f64 v[8:9], v[6:7], v[8:9]
	s_waitcnt lgkmcnt(0)
	v_add_f64 v[6:7], v[10:11], v[12:13]
	s_load_dwordx2 s[0:1], s[4:5], 0x38
	s_mov_b32 s2, exec_lo
	v_cmpx_eq_f64_e32 0, v[3:4]
	s_xor_b32 s2, exec_lo, s2
	s_cbranch_execz .LBB82_21
; %bb.20:
	v_lshlrev_b32_e32 v0, 1, v5
	v_mul_f64 v[3:4], v[1:2], v[8:9]
	v_mul_f64 v[5:6], v[1:2], v[6:7]
                                        ; implicit-def: $vgpr8_vgpr9
	v_ashrrev_i32_e32 v1, 31, v0
	v_lshlrev_b64 v[0:1], 3, v[0:1]
	s_waitcnt lgkmcnt(0)
	v_add_co_u32 v0, vcc_lo, s0, v0
	v_add_co_ci_u32_e64 v1, null, s1, v1, vcc_lo
	global_store_dwordx4 v[0:1], v[3:6], off
                                        ; implicit-def: $vgpr5
                                        ; implicit-def: $vgpr1_vgpr2
                                        ; implicit-def: $vgpr3_vgpr4
                                        ; implicit-def: $vgpr6_vgpr7
.LBB82_21:
	s_andn2_saveexec_b32 s2, s2
	s_cbranch_execz .LBB82_23
; %bb.22:
	v_lshlrev_b32_e32 v10, 1, v5
	v_mul_f64 v[8:9], v[1:2], v[8:9]
	v_mul_f64 v[5:6], v[1:2], v[6:7]
	v_ashrrev_i32_e32 v11, 31, v10
	v_lshlrev_b64 v[10:11], 3, v[10:11]
	s_waitcnt lgkmcnt(0)
	v_add_co_u32 v14, vcc_lo, s0, v10
	v_add_co_ci_u32_e64 v15, null, s1, v11, vcc_lo
	global_load_dwordx4 v[10:13], v[14:15], off
	s_waitcnt vmcnt(0)
	v_fma_f64 v[0:1], v[3:4], v[10:11], v[8:9]
	v_fma_f64 v[2:3], v[3:4], v[12:13], v[5:6]
	global_store_dwordx4 v[14:15], v[0:3], off
.LBB82_23:
	s_endpgm
	.section	.rodata,"a",@progbits
	.p2align	6, 0x0
	.amdhsa_kernel _ZN9rocsparseL19gebsrmvn_2xn_kernelILj128ELj3ELj8EdEEvi20rocsparse_direction_NS_24const_host_device_scalarIT2_EEPKiS6_PKS3_S8_S4_PS3_21rocsparse_index_base_b
		.amdhsa_group_segment_fixed_size 0
		.amdhsa_private_segment_fixed_size 0
		.amdhsa_kernarg_size 72
		.amdhsa_user_sgpr_count 6
		.amdhsa_user_sgpr_private_segment_buffer 1
		.amdhsa_user_sgpr_dispatch_ptr 0
		.amdhsa_user_sgpr_queue_ptr 0
		.amdhsa_user_sgpr_kernarg_segment_ptr 1
		.amdhsa_user_sgpr_dispatch_id 0
		.amdhsa_user_sgpr_flat_scratch_init 0
		.amdhsa_user_sgpr_private_segment_size 0
		.amdhsa_wavefront_size32 1
		.amdhsa_uses_dynamic_stack 0
		.amdhsa_system_sgpr_private_segment_wavefront_offset 0
		.amdhsa_system_sgpr_workgroup_id_x 1
		.amdhsa_system_sgpr_workgroup_id_y 0
		.amdhsa_system_sgpr_workgroup_id_z 0
		.amdhsa_system_sgpr_workgroup_info 0
		.amdhsa_system_vgpr_workitem_id 0
		.amdhsa_next_free_vgpr 35
		.amdhsa_next_free_sgpr 16
		.amdhsa_reserve_vcc 1
		.amdhsa_reserve_flat_scratch 0
		.amdhsa_float_round_mode_32 0
		.amdhsa_float_round_mode_16_64 0
		.amdhsa_float_denorm_mode_32 3
		.amdhsa_float_denorm_mode_16_64 3
		.amdhsa_dx10_clamp 1
		.amdhsa_ieee_mode 1
		.amdhsa_fp16_overflow 0
		.amdhsa_workgroup_processor_mode 1
		.amdhsa_memory_ordered 1
		.amdhsa_forward_progress 1
		.amdhsa_shared_vgpr_count 0
		.amdhsa_exception_fp_ieee_invalid_op 0
		.amdhsa_exception_fp_denorm_src 0
		.amdhsa_exception_fp_ieee_div_zero 0
		.amdhsa_exception_fp_ieee_overflow 0
		.amdhsa_exception_fp_ieee_underflow 0
		.amdhsa_exception_fp_ieee_inexact 0
		.amdhsa_exception_int_div_zero 0
	.end_amdhsa_kernel
	.section	.text._ZN9rocsparseL19gebsrmvn_2xn_kernelILj128ELj3ELj8EdEEvi20rocsparse_direction_NS_24const_host_device_scalarIT2_EEPKiS6_PKS3_S8_S4_PS3_21rocsparse_index_base_b,"axG",@progbits,_ZN9rocsparseL19gebsrmvn_2xn_kernelILj128ELj3ELj8EdEEvi20rocsparse_direction_NS_24const_host_device_scalarIT2_EEPKiS6_PKS3_S8_S4_PS3_21rocsparse_index_base_b,comdat
.Lfunc_end82:
	.size	_ZN9rocsparseL19gebsrmvn_2xn_kernelILj128ELj3ELj8EdEEvi20rocsparse_direction_NS_24const_host_device_scalarIT2_EEPKiS6_PKS3_S8_S4_PS3_21rocsparse_index_base_b, .Lfunc_end82-_ZN9rocsparseL19gebsrmvn_2xn_kernelILj128ELj3ELj8EdEEvi20rocsparse_direction_NS_24const_host_device_scalarIT2_EEPKiS6_PKS3_S8_S4_PS3_21rocsparse_index_base_b
                                        ; -- End function
	.set _ZN9rocsparseL19gebsrmvn_2xn_kernelILj128ELj3ELj8EdEEvi20rocsparse_direction_NS_24const_host_device_scalarIT2_EEPKiS6_PKS3_S8_S4_PS3_21rocsparse_index_base_b.num_vgpr, 35
	.set _ZN9rocsparseL19gebsrmvn_2xn_kernelILj128ELj3ELj8EdEEvi20rocsparse_direction_NS_24const_host_device_scalarIT2_EEPKiS6_PKS3_S8_S4_PS3_21rocsparse_index_base_b.num_agpr, 0
	.set _ZN9rocsparseL19gebsrmvn_2xn_kernelILj128ELj3ELj8EdEEvi20rocsparse_direction_NS_24const_host_device_scalarIT2_EEPKiS6_PKS3_S8_S4_PS3_21rocsparse_index_base_b.numbered_sgpr, 16
	.set _ZN9rocsparseL19gebsrmvn_2xn_kernelILj128ELj3ELj8EdEEvi20rocsparse_direction_NS_24const_host_device_scalarIT2_EEPKiS6_PKS3_S8_S4_PS3_21rocsparse_index_base_b.num_named_barrier, 0
	.set _ZN9rocsparseL19gebsrmvn_2xn_kernelILj128ELj3ELj8EdEEvi20rocsparse_direction_NS_24const_host_device_scalarIT2_EEPKiS6_PKS3_S8_S4_PS3_21rocsparse_index_base_b.private_seg_size, 0
	.set _ZN9rocsparseL19gebsrmvn_2xn_kernelILj128ELj3ELj8EdEEvi20rocsparse_direction_NS_24const_host_device_scalarIT2_EEPKiS6_PKS3_S8_S4_PS3_21rocsparse_index_base_b.uses_vcc, 1
	.set _ZN9rocsparseL19gebsrmvn_2xn_kernelILj128ELj3ELj8EdEEvi20rocsparse_direction_NS_24const_host_device_scalarIT2_EEPKiS6_PKS3_S8_S4_PS3_21rocsparse_index_base_b.uses_flat_scratch, 0
	.set _ZN9rocsparseL19gebsrmvn_2xn_kernelILj128ELj3ELj8EdEEvi20rocsparse_direction_NS_24const_host_device_scalarIT2_EEPKiS6_PKS3_S8_S4_PS3_21rocsparse_index_base_b.has_dyn_sized_stack, 0
	.set _ZN9rocsparseL19gebsrmvn_2xn_kernelILj128ELj3ELj8EdEEvi20rocsparse_direction_NS_24const_host_device_scalarIT2_EEPKiS6_PKS3_S8_S4_PS3_21rocsparse_index_base_b.has_recursion, 0
	.set _ZN9rocsparseL19gebsrmvn_2xn_kernelILj128ELj3ELj8EdEEvi20rocsparse_direction_NS_24const_host_device_scalarIT2_EEPKiS6_PKS3_S8_S4_PS3_21rocsparse_index_base_b.has_indirect_call, 0
	.section	.AMDGPU.csdata,"",@progbits
; Kernel info:
; codeLenInByte = 1620
; TotalNumSgprs: 18
; NumVgprs: 35
; ScratchSize: 0
; MemoryBound: 0
; FloatMode: 240
; IeeeMode: 1
; LDSByteSize: 0 bytes/workgroup (compile time only)
; SGPRBlocks: 0
; VGPRBlocks: 4
; NumSGPRsForWavesPerEU: 18
; NumVGPRsForWavesPerEU: 35
; Occupancy: 16
; WaveLimiterHint : 1
; COMPUTE_PGM_RSRC2:SCRATCH_EN: 0
; COMPUTE_PGM_RSRC2:USER_SGPR: 6
; COMPUTE_PGM_RSRC2:TRAP_HANDLER: 0
; COMPUTE_PGM_RSRC2:TGID_X_EN: 1
; COMPUTE_PGM_RSRC2:TGID_Y_EN: 0
; COMPUTE_PGM_RSRC2:TGID_Z_EN: 0
; COMPUTE_PGM_RSRC2:TIDIG_COMP_CNT: 0
	.section	.text._ZN9rocsparseL19gebsrmvn_2xn_kernelILj128ELj3ELj16EdEEvi20rocsparse_direction_NS_24const_host_device_scalarIT2_EEPKiS6_PKS3_S8_S4_PS3_21rocsparse_index_base_b,"axG",@progbits,_ZN9rocsparseL19gebsrmvn_2xn_kernelILj128ELj3ELj16EdEEvi20rocsparse_direction_NS_24const_host_device_scalarIT2_EEPKiS6_PKS3_S8_S4_PS3_21rocsparse_index_base_b,comdat
	.globl	_ZN9rocsparseL19gebsrmvn_2xn_kernelILj128ELj3ELj16EdEEvi20rocsparse_direction_NS_24const_host_device_scalarIT2_EEPKiS6_PKS3_S8_S4_PS3_21rocsparse_index_base_b ; -- Begin function _ZN9rocsparseL19gebsrmvn_2xn_kernelILj128ELj3ELj16EdEEvi20rocsparse_direction_NS_24const_host_device_scalarIT2_EEPKiS6_PKS3_S8_S4_PS3_21rocsparse_index_base_b
	.p2align	8
	.type	_ZN9rocsparseL19gebsrmvn_2xn_kernelILj128ELj3ELj16EdEEvi20rocsparse_direction_NS_24const_host_device_scalarIT2_EEPKiS6_PKS3_S8_S4_PS3_21rocsparse_index_base_b,@function
_ZN9rocsparseL19gebsrmvn_2xn_kernelILj128ELj3ELj16EdEEvi20rocsparse_direction_NS_24const_host_device_scalarIT2_EEPKiS6_PKS3_S8_S4_PS3_21rocsparse_index_base_b: ; @_ZN9rocsparseL19gebsrmvn_2xn_kernelILj128ELj3ELj16EdEEvi20rocsparse_direction_NS_24const_host_device_scalarIT2_EEPKiS6_PKS3_S8_S4_PS3_21rocsparse_index_base_b
; %bb.0:
	s_clause 0x2
	s_load_dwordx2 s[2:3], s[4:5], 0x40
	s_load_dwordx2 s[8:9], s[4:5], 0x8
	;; [unrolled: 1-line block ×3, first 2 shown]
	s_waitcnt lgkmcnt(0)
	s_bitcmp1_b32 s3, 0
	v_mov_b32_e32 v1, s8
	v_mov_b32_e32 v2, s9
	s_cselect_b32 s3, -1, 0
	s_and_b32 vcc_lo, exec_lo, s3
	s_xor_b32 s3, s3, -1
	s_cbranch_vccnz .LBB83_2
; %bb.1:
	v_mov_b32_e32 v1, s8
	v_mov_b32_e32 v2, s9
	flat_load_dwordx2 v[1:2], v[1:2]
.LBB83_2:
	v_mov_b32_e32 v4, s1
	v_mov_b32_e32 v3, s0
	s_andn2_b32 vcc_lo, exec_lo, s3
	s_cbranch_vccnz .LBB83_4
; %bb.3:
	v_mov_b32_e32 v4, s1
	v_mov_b32_e32 v3, s0
	flat_load_dwordx2 v[3:4], v[3:4]
.LBB83_4:
	s_waitcnt vmcnt(0) lgkmcnt(0)
	v_cmp_neq_f64_e32 vcc_lo, 0, v[1:2]
	v_cmp_neq_f64_e64 s0, 1.0, v[3:4]
	s_or_b32 s0, vcc_lo, s0
	s_and_saveexec_b32 s1, s0
	s_cbranch_execz .LBB83_23
; %bb.5:
	s_load_dwordx2 s[0:1], s[4:5], 0x0
	v_lshrrev_b32_e32 v5, 4, v0
	v_lshl_or_b32 v5, s6, 3, v5
	s_waitcnt lgkmcnt(0)
	v_cmp_gt_i32_e32 vcc_lo, s0, v5
	s_and_b32 exec_lo, exec_lo, vcc_lo
	s_cbranch_execz .LBB83_23
; %bb.6:
	s_load_dwordx8 s[8:15], s[4:5], 0x10
	v_ashrrev_i32_e32 v6, 31, v5
	v_and_b32_e32 v0, 15, v0
	s_cmp_lg_u32 s1, 0
	v_lshlrev_b64 v[6:7], 2, v[5:6]
	s_waitcnt lgkmcnt(0)
	v_add_co_u32 v6, vcc_lo, s8, v6
	v_add_co_ci_u32_e64 v7, null, s9, v7, vcc_lo
	global_load_dwordx2 v[6:7], v[6:7], off
	s_waitcnt vmcnt(0)
	v_subrev_nc_u32_e32 v6, s2, v6
	v_subrev_nc_u32_e32 v16, s2, v7
	v_add_nc_u32_e32 v10, v6, v0
	v_cmp_lt_i32_e64 s0, v10, v16
	s_cbranch_scc0 .LBB83_12
; %bb.7:
	v_mov_b32_e32 v6, 0
	v_mov_b32_e32 v8, 0
	;; [unrolled: 1-line block ×4, first 2 shown]
	s_and_saveexec_b32 s1, s0
	s_cbranch_execz .LBB83_11
; %bb.8:
	v_mul_lo_u32 v11, v10, 6
	v_mov_b32_e32 v6, 0
	v_mov_b32_e32 v8, 0
	;; [unrolled: 1-line block ×6, first 2 shown]
	s_mov_b32 s3, 0
.LBB83_9:                               ; =>This Inner Loop Header: Depth=1
	v_ashrrev_i32_e32 v14, 31, v13
	v_mov_b32_e32 v26, v12
	v_add_nc_u32_e32 v21, 2, v11
	v_mov_b32_e32 v22, v12
	v_mov_b32_e32 v27, v12
	v_lshlrev_b64 v[14:15], 2, v[13:14]
	v_add_nc_u32_e32 v28, 4, v11
	v_mov_b32_e32 v29, v12
	v_lshlrev_b64 v[21:22], 3, v[21:22]
	v_mov_b32_e32 v30, v12
	v_add_nc_u32_e32 v13, 16, v13
	v_add_co_u32 v14, vcc_lo, s10, v14
	v_add_co_ci_u32_e64 v15, null, s11, v15, vcc_lo
	global_load_dword v17, v[14:15], off
	v_lshlrev_b64 v[14:15], 3, v[11:12]
	v_add_nc_u32_e32 v11, 0x60, v11
	v_add_co_u32 v14, vcc_lo, s12, v14
	v_add_co_ci_u32_e64 v15, null, s13, v15, vcc_lo
	s_waitcnt vmcnt(0)
	v_subrev_nc_u32_e32 v17, s2, v17
	v_lshl_add_u32 v25, v17, 1, v17
	v_lshlrev_b64 v[17:18], 3, v[25:26]
	v_add_nc_u32_e32 v26, 1, v25
	v_add_co_u32 v23, vcc_lo, s14, v17
	v_add_co_ci_u32_e64 v24, null, s15, v18, vcc_lo
	v_add_co_u32 v21, vcc_lo, s12, v21
	global_load_dwordx4 v[17:20], v[14:15], off
	global_load_dwordx2 v[14:15], v[23:24], off
	v_lshlrev_b64 v[23:24], 3, v[26:27]
	v_add_co_ci_u32_e64 v22, null, s13, v22, vcc_lo
	v_add_co_u32 v26, vcc_lo, s14, v23
	v_add_co_ci_u32_e64 v27, null, s15, v24, vcc_lo
	global_load_dwordx4 v[21:24], v[21:22], off
	global_load_dwordx2 v[31:32], v[26:27], off
	v_lshlrev_b64 v[26:27], 3, v[28:29]
	v_add_nc_u32_e32 v29, 2, v25
	v_lshlrev_b64 v[28:29], 3, v[29:30]
	v_add_co_u32 v25, vcc_lo, s12, v26
	v_add_co_ci_u32_e64 v26, null, s13, v27, vcc_lo
	v_add_co_u32 v33, vcc_lo, s14, v28
	v_add_co_ci_u32_e64 v34, null, s15, v29, vcc_lo
	global_load_dwordx4 v[25:28], v[25:26], off
	global_load_dwordx2 v[29:30], v[33:34], off
	v_cmp_ge_i32_e32 vcc_lo, v13, v16
	s_or_b32 s3, vcc_lo, s3
	s_waitcnt vmcnt(4)
	v_fma_f64 v[6:7], v[17:18], v[14:15], v[6:7]
	v_fma_f64 v[8:9], v[19:20], v[14:15], v[8:9]
	s_waitcnt vmcnt(2)
	v_fma_f64 v[6:7], v[21:22], v[31:32], v[6:7]
	v_fma_f64 v[8:9], v[23:24], v[31:32], v[8:9]
	;; [unrolled: 3-line block ×3, first 2 shown]
	s_andn2_b32 exec_lo, exec_lo, s3
	s_cbranch_execnz .LBB83_9
; %bb.10:
	s_or_b32 exec_lo, exec_lo, s3
.LBB83_11:
	s_or_b32 exec_lo, exec_lo, s1
	s_cbranch_execz .LBB83_13
	s_branch .LBB83_18
.LBB83_12:
                                        ; implicit-def: $vgpr6_vgpr7
                                        ; implicit-def: $vgpr8_vgpr9
.LBB83_13:
	v_mov_b32_e32 v6, 0
	v_mov_b32_e32 v8, 0
	;; [unrolled: 1-line block ×4, first 2 shown]
	s_and_saveexec_b32 s1, s0
	s_cbranch_execz .LBB83_17
; %bb.14:
	v_mad_u64_u32 v[12:13], null, v10, 6, 5
	v_mov_b32_e32 v6, 0
	v_mov_b32_e32 v8, 0
	;; [unrolled: 1-line block ×5, first 2 shown]
	s_mov_b32 s3, 0
.LBB83_15:                              ; =>This Inner Loop Header: Depth=1
	v_ashrrev_i32_e32 v11, 31, v10
	v_add_nc_u32_e32 v17, -2, v12
	v_mov_b32_e32 v18, v15
	v_mov_b32_e32 v22, v15
	v_lshlrev_b64 v[13:14], 2, v[10:11]
	v_add_nc_u32_e32 v10, 16, v10
	v_lshlrev_b64 v[17:18], 3, v[17:18]
	v_add_co_u32 v13, vcc_lo, s10, v13
	v_add_co_ci_u32_e64 v14, null, s11, v14, vcc_lo
	global_load_dword v11, v[13:14], off
	v_add_nc_u32_e32 v14, -5, v12
	v_mov_b32_e32 v13, v15
	v_lshlrev_b64 v[19:20], 3, v[14:15]
	v_lshlrev_b64 v[23:24], 3, v[12:13]
	v_add_co_u32 v13, vcc_lo, s12, v19
	v_add_co_ci_u32_e64 v14, null, s13, v20, vcc_lo
	v_add_co_u32 v25, vcc_lo, s12, v17
	v_add_co_ci_u32_e64 v26, null, s13, v18, vcc_lo
	s_clause 0x1
	global_load_dwordx4 v[17:20], v[13:14], off
	global_load_dwordx2 v[25:26], v[25:26], off
	v_add_co_u32 v23, vcc_lo, s12, v23
	v_add_co_ci_u32_e64 v24, null, s13, v24, vcc_lo
	s_waitcnt vmcnt(2)
	v_subrev_nc_u32_e32 v11, s2, v11
	v_lshl_add_u32 v21, v11, 1, v11
	v_lshlrev_b64 v[13:14], 3, v[21:22]
	v_add_co_u32 v27, s0, s14, v13
	v_add_co_ci_u32_e64 v28, null, s15, v14, s0
	v_add_nc_u32_e32 v14, 1, v21
	global_load_dwordx2 v[27:28], v[27:28], off
	v_lshlrev_b64 v[29:30], 3, v[14:15]
	v_add_nc_u32_e32 v14, -1, v12
	v_lshlrev_b64 v[13:14], 3, v[14:15]
	v_add_co_u32 v29, s0, s14, v29
	v_add_co_ci_u32_e64 v30, null, s15, v30, s0
	v_add_co_u32 v13, s0, s12, v13
	v_add_co_ci_u32_e64 v14, null, s13, v14, s0
	global_load_dwordx2 v[29:30], v[29:30], off
	global_load_dwordx2 v[31:32], v[13:14], off
	v_add_nc_u32_e32 v14, -3, v12
	v_add_nc_u32_e32 v12, 0x60, v12
	v_lshlrev_b64 v[33:34], 3, v[14:15]
	v_add_nc_u32_e32 v14, 2, v21
	v_lshlrev_b64 v[13:14], 3, v[14:15]
	v_add_co_u32 v21, vcc_lo, s12, v33
	v_add_co_ci_u32_e64 v22, null, s13, v34, vcc_lo
	v_add_co_u32 v13, vcc_lo, s14, v13
	v_add_co_ci_u32_e64 v14, null, s15, v14, vcc_lo
	s_clause 0x1
	global_load_dwordx2 v[23:24], v[23:24], off
	global_load_dwordx2 v[21:22], v[21:22], off
	;; [unrolled: 1-line block ×3, first 2 shown]
	v_cmp_ge_i32_e32 vcc_lo, v10, v16
	s_or_b32 s3, vcc_lo, s3
	s_waitcnt vmcnt(5)
	v_fma_f64 v[6:7], v[17:18], v[27:28], v[6:7]
	v_fma_f64 v[8:9], v[25:26], v[27:28], v[8:9]
	s_waitcnt vmcnt(4)
	v_fma_f64 v[6:7], v[19:20], v[29:30], v[6:7]
	s_waitcnt vmcnt(3)
	;; [unrolled: 2-line block ×3, first 2 shown]
	v_fma_f64 v[6:7], v[21:22], v[13:14], v[6:7]
	v_fma_f64 v[8:9], v[23:24], v[13:14], v[8:9]
	s_andn2_b32 exec_lo, exec_lo, s3
	s_cbranch_execnz .LBB83_15
; %bb.16:
	s_or_b32 exec_lo, exec_lo, s3
.LBB83_17:
	s_or_b32 exec_lo, exec_lo, s1
.LBB83_18:
	v_mbcnt_lo_u32_b32 v14, -1, 0
	v_xor_b32_e32 v10, 8, v14
	v_cmp_gt_i32_e32 vcc_lo, 32, v10
	v_cndmask_b32_e32 v10, v14, v10, vcc_lo
	v_lshlrev_b32_e32 v13, 2, v10
	ds_bpermute_b32 v10, v13, v6
	ds_bpermute_b32 v11, v13, v7
	ds_bpermute_b32 v12, v13, v8
	ds_bpermute_b32 v13, v13, v9
	s_waitcnt lgkmcnt(2)
	v_add_f64 v[6:7], v[6:7], v[10:11]
	v_xor_b32_e32 v10, 4, v14
	s_waitcnt lgkmcnt(0)
	v_add_f64 v[8:9], v[8:9], v[12:13]
	v_cmp_gt_i32_e32 vcc_lo, 32, v10
	v_cndmask_b32_e32 v10, v14, v10, vcc_lo
	v_lshlrev_b32_e32 v13, 2, v10
	ds_bpermute_b32 v10, v13, v6
	ds_bpermute_b32 v11, v13, v7
	;; [unrolled: 1-line block ×4, first 2 shown]
	s_waitcnt lgkmcnt(2)
	v_add_f64 v[6:7], v[6:7], v[10:11]
	v_xor_b32_e32 v10, 2, v14
	s_waitcnt lgkmcnt(0)
	v_add_f64 v[8:9], v[8:9], v[12:13]
	v_cmp_gt_i32_e32 vcc_lo, 32, v10
	v_cndmask_b32_e32 v10, v14, v10, vcc_lo
	v_lshlrev_b32_e32 v13, 2, v10
	ds_bpermute_b32 v10, v13, v6
	ds_bpermute_b32 v11, v13, v7
	;; [unrolled: 1-line block ×4, first 2 shown]
	s_waitcnt lgkmcnt(2)
	v_add_f64 v[6:7], v[6:7], v[10:11]
	s_waitcnt lgkmcnt(0)
	v_add_f64 v[10:11], v[8:9], v[12:13]
	v_xor_b32_e32 v8, 1, v14
	v_cmp_gt_i32_e32 vcc_lo, 32, v8
	v_cndmask_b32_e32 v8, v14, v8, vcc_lo
	v_cmp_eq_u32_e32 vcc_lo, 15, v0
	v_lshlrev_b32_e32 v13, 2, v8
	ds_bpermute_b32 v8, v13, v6
	ds_bpermute_b32 v9, v13, v7
	ds_bpermute_b32 v12, v13, v10
	ds_bpermute_b32 v13, v13, v11
	s_and_b32 exec_lo, exec_lo, vcc_lo
	s_cbranch_execz .LBB83_23
; %bb.19:
	s_waitcnt lgkmcnt(2)
	v_add_f64 v[8:9], v[6:7], v[8:9]
	s_waitcnt lgkmcnt(0)
	v_add_f64 v[6:7], v[10:11], v[12:13]
	s_load_dwordx2 s[0:1], s[4:5], 0x38
	s_mov_b32 s2, exec_lo
	v_cmpx_eq_f64_e32 0, v[3:4]
	s_xor_b32 s2, exec_lo, s2
	s_cbranch_execz .LBB83_21
; %bb.20:
	v_lshlrev_b32_e32 v0, 1, v5
	v_mul_f64 v[3:4], v[1:2], v[8:9]
	v_mul_f64 v[5:6], v[1:2], v[6:7]
                                        ; implicit-def: $vgpr8_vgpr9
	v_ashrrev_i32_e32 v1, 31, v0
	v_lshlrev_b64 v[0:1], 3, v[0:1]
	s_waitcnt lgkmcnt(0)
	v_add_co_u32 v0, vcc_lo, s0, v0
	v_add_co_ci_u32_e64 v1, null, s1, v1, vcc_lo
	global_store_dwordx4 v[0:1], v[3:6], off
                                        ; implicit-def: $vgpr5
                                        ; implicit-def: $vgpr1_vgpr2
                                        ; implicit-def: $vgpr3_vgpr4
                                        ; implicit-def: $vgpr6_vgpr7
.LBB83_21:
	s_andn2_saveexec_b32 s2, s2
	s_cbranch_execz .LBB83_23
; %bb.22:
	v_lshlrev_b32_e32 v10, 1, v5
	v_mul_f64 v[8:9], v[1:2], v[8:9]
	v_mul_f64 v[5:6], v[1:2], v[6:7]
	v_ashrrev_i32_e32 v11, 31, v10
	v_lshlrev_b64 v[10:11], 3, v[10:11]
	s_waitcnt lgkmcnt(0)
	v_add_co_u32 v14, vcc_lo, s0, v10
	v_add_co_ci_u32_e64 v15, null, s1, v11, vcc_lo
	global_load_dwordx4 v[10:13], v[14:15], off
	s_waitcnt vmcnt(0)
	v_fma_f64 v[0:1], v[3:4], v[10:11], v[8:9]
	v_fma_f64 v[2:3], v[3:4], v[12:13], v[5:6]
	global_store_dwordx4 v[14:15], v[0:3], off
.LBB83_23:
	s_endpgm
	.section	.rodata,"a",@progbits
	.p2align	6, 0x0
	.amdhsa_kernel _ZN9rocsparseL19gebsrmvn_2xn_kernelILj128ELj3ELj16EdEEvi20rocsparse_direction_NS_24const_host_device_scalarIT2_EEPKiS6_PKS3_S8_S4_PS3_21rocsparse_index_base_b
		.amdhsa_group_segment_fixed_size 0
		.amdhsa_private_segment_fixed_size 0
		.amdhsa_kernarg_size 72
		.amdhsa_user_sgpr_count 6
		.amdhsa_user_sgpr_private_segment_buffer 1
		.amdhsa_user_sgpr_dispatch_ptr 0
		.amdhsa_user_sgpr_queue_ptr 0
		.amdhsa_user_sgpr_kernarg_segment_ptr 1
		.amdhsa_user_sgpr_dispatch_id 0
		.amdhsa_user_sgpr_flat_scratch_init 0
		.amdhsa_user_sgpr_private_segment_size 0
		.amdhsa_wavefront_size32 1
		.amdhsa_uses_dynamic_stack 0
		.amdhsa_system_sgpr_private_segment_wavefront_offset 0
		.amdhsa_system_sgpr_workgroup_id_x 1
		.amdhsa_system_sgpr_workgroup_id_y 0
		.amdhsa_system_sgpr_workgroup_id_z 0
		.amdhsa_system_sgpr_workgroup_info 0
		.amdhsa_system_vgpr_workitem_id 0
		.amdhsa_next_free_vgpr 35
		.amdhsa_next_free_sgpr 16
		.amdhsa_reserve_vcc 1
		.amdhsa_reserve_flat_scratch 0
		.amdhsa_float_round_mode_32 0
		.amdhsa_float_round_mode_16_64 0
		.amdhsa_float_denorm_mode_32 3
		.amdhsa_float_denorm_mode_16_64 3
		.amdhsa_dx10_clamp 1
		.amdhsa_ieee_mode 1
		.amdhsa_fp16_overflow 0
		.amdhsa_workgroup_processor_mode 1
		.amdhsa_memory_ordered 1
		.amdhsa_forward_progress 1
		.amdhsa_shared_vgpr_count 0
		.amdhsa_exception_fp_ieee_invalid_op 0
		.amdhsa_exception_fp_denorm_src 0
		.amdhsa_exception_fp_ieee_div_zero 0
		.amdhsa_exception_fp_ieee_overflow 0
		.amdhsa_exception_fp_ieee_underflow 0
		.amdhsa_exception_fp_ieee_inexact 0
		.amdhsa_exception_int_div_zero 0
	.end_amdhsa_kernel
	.section	.text._ZN9rocsparseL19gebsrmvn_2xn_kernelILj128ELj3ELj16EdEEvi20rocsparse_direction_NS_24const_host_device_scalarIT2_EEPKiS6_PKS3_S8_S4_PS3_21rocsparse_index_base_b,"axG",@progbits,_ZN9rocsparseL19gebsrmvn_2xn_kernelILj128ELj3ELj16EdEEvi20rocsparse_direction_NS_24const_host_device_scalarIT2_EEPKiS6_PKS3_S8_S4_PS3_21rocsparse_index_base_b,comdat
.Lfunc_end83:
	.size	_ZN9rocsparseL19gebsrmvn_2xn_kernelILj128ELj3ELj16EdEEvi20rocsparse_direction_NS_24const_host_device_scalarIT2_EEPKiS6_PKS3_S8_S4_PS3_21rocsparse_index_base_b, .Lfunc_end83-_ZN9rocsparseL19gebsrmvn_2xn_kernelILj128ELj3ELj16EdEEvi20rocsparse_direction_NS_24const_host_device_scalarIT2_EEPKiS6_PKS3_S8_S4_PS3_21rocsparse_index_base_b
                                        ; -- End function
	.set _ZN9rocsparseL19gebsrmvn_2xn_kernelILj128ELj3ELj16EdEEvi20rocsparse_direction_NS_24const_host_device_scalarIT2_EEPKiS6_PKS3_S8_S4_PS3_21rocsparse_index_base_b.num_vgpr, 35
	.set _ZN9rocsparseL19gebsrmvn_2xn_kernelILj128ELj3ELj16EdEEvi20rocsparse_direction_NS_24const_host_device_scalarIT2_EEPKiS6_PKS3_S8_S4_PS3_21rocsparse_index_base_b.num_agpr, 0
	.set _ZN9rocsparseL19gebsrmvn_2xn_kernelILj128ELj3ELj16EdEEvi20rocsparse_direction_NS_24const_host_device_scalarIT2_EEPKiS6_PKS3_S8_S4_PS3_21rocsparse_index_base_b.numbered_sgpr, 16
	.set _ZN9rocsparseL19gebsrmvn_2xn_kernelILj128ELj3ELj16EdEEvi20rocsparse_direction_NS_24const_host_device_scalarIT2_EEPKiS6_PKS3_S8_S4_PS3_21rocsparse_index_base_b.num_named_barrier, 0
	.set _ZN9rocsparseL19gebsrmvn_2xn_kernelILj128ELj3ELj16EdEEvi20rocsparse_direction_NS_24const_host_device_scalarIT2_EEPKiS6_PKS3_S8_S4_PS3_21rocsparse_index_base_b.private_seg_size, 0
	.set _ZN9rocsparseL19gebsrmvn_2xn_kernelILj128ELj3ELj16EdEEvi20rocsparse_direction_NS_24const_host_device_scalarIT2_EEPKiS6_PKS3_S8_S4_PS3_21rocsparse_index_base_b.uses_vcc, 1
	.set _ZN9rocsparseL19gebsrmvn_2xn_kernelILj128ELj3ELj16EdEEvi20rocsparse_direction_NS_24const_host_device_scalarIT2_EEPKiS6_PKS3_S8_S4_PS3_21rocsparse_index_base_b.uses_flat_scratch, 0
	.set _ZN9rocsparseL19gebsrmvn_2xn_kernelILj128ELj3ELj16EdEEvi20rocsparse_direction_NS_24const_host_device_scalarIT2_EEPKiS6_PKS3_S8_S4_PS3_21rocsparse_index_base_b.has_dyn_sized_stack, 0
	.set _ZN9rocsparseL19gebsrmvn_2xn_kernelILj128ELj3ELj16EdEEvi20rocsparse_direction_NS_24const_host_device_scalarIT2_EEPKiS6_PKS3_S8_S4_PS3_21rocsparse_index_base_b.has_recursion, 0
	.set _ZN9rocsparseL19gebsrmvn_2xn_kernelILj128ELj3ELj16EdEEvi20rocsparse_direction_NS_24const_host_device_scalarIT2_EEPKiS6_PKS3_S8_S4_PS3_21rocsparse_index_base_b.has_indirect_call, 0
	.section	.AMDGPU.csdata,"",@progbits
; Kernel info:
; codeLenInByte = 1700
; TotalNumSgprs: 18
; NumVgprs: 35
; ScratchSize: 0
; MemoryBound: 0
; FloatMode: 240
; IeeeMode: 1
; LDSByteSize: 0 bytes/workgroup (compile time only)
; SGPRBlocks: 0
; VGPRBlocks: 4
; NumSGPRsForWavesPerEU: 18
; NumVGPRsForWavesPerEU: 35
; Occupancy: 16
; WaveLimiterHint : 1
; COMPUTE_PGM_RSRC2:SCRATCH_EN: 0
; COMPUTE_PGM_RSRC2:USER_SGPR: 6
; COMPUTE_PGM_RSRC2:TRAP_HANDLER: 0
; COMPUTE_PGM_RSRC2:TGID_X_EN: 1
; COMPUTE_PGM_RSRC2:TGID_Y_EN: 0
; COMPUTE_PGM_RSRC2:TGID_Z_EN: 0
; COMPUTE_PGM_RSRC2:TIDIG_COMP_CNT: 0
	.section	.text._ZN9rocsparseL19gebsrmvn_2xn_kernelILj128ELj3ELj32EdEEvi20rocsparse_direction_NS_24const_host_device_scalarIT2_EEPKiS6_PKS3_S8_S4_PS3_21rocsparse_index_base_b,"axG",@progbits,_ZN9rocsparseL19gebsrmvn_2xn_kernelILj128ELj3ELj32EdEEvi20rocsparse_direction_NS_24const_host_device_scalarIT2_EEPKiS6_PKS3_S8_S4_PS3_21rocsparse_index_base_b,comdat
	.globl	_ZN9rocsparseL19gebsrmvn_2xn_kernelILj128ELj3ELj32EdEEvi20rocsparse_direction_NS_24const_host_device_scalarIT2_EEPKiS6_PKS3_S8_S4_PS3_21rocsparse_index_base_b ; -- Begin function _ZN9rocsparseL19gebsrmvn_2xn_kernelILj128ELj3ELj32EdEEvi20rocsparse_direction_NS_24const_host_device_scalarIT2_EEPKiS6_PKS3_S8_S4_PS3_21rocsparse_index_base_b
	.p2align	8
	.type	_ZN9rocsparseL19gebsrmvn_2xn_kernelILj128ELj3ELj32EdEEvi20rocsparse_direction_NS_24const_host_device_scalarIT2_EEPKiS6_PKS3_S8_S4_PS3_21rocsparse_index_base_b,@function
_ZN9rocsparseL19gebsrmvn_2xn_kernelILj128ELj3ELj32EdEEvi20rocsparse_direction_NS_24const_host_device_scalarIT2_EEPKiS6_PKS3_S8_S4_PS3_21rocsparse_index_base_b: ; @_ZN9rocsparseL19gebsrmvn_2xn_kernelILj128ELj3ELj32EdEEvi20rocsparse_direction_NS_24const_host_device_scalarIT2_EEPKiS6_PKS3_S8_S4_PS3_21rocsparse_index_base_b
; %bb.0:
	s_clause 0x2
	s_load_dwordx2 s[2:3], s[4:5], 0x40
	s_load_dwordx2 s[8:9], s[4:5], 0x8
	;; [unrolled: 1-line block ×3, first 2 shown]
	s_waitcnt lgkmcnt(0)
	s_bitcmp1_b32 s3, 0
	v_mov_b32_e32 v1, s8
	v_mov_b32_e32 v2, s9
	s_cselect_b32 s3, -1, 0
	s_and_b32 vcc_lo, exec_lo, s3
	s_xor_b32 s3, s3, -1
	s_cbranch_vccnz .LBB84_2
; %bb.1:
	v_mov_b32_e32 v1, s8
	v_mov_b32_e32 v2, s9
	flat_load_dwordx2 v[1:2], v[1:2]
.LBB84_2:
	v_mov_b32_e32 v4, s1
	v_mov_b32_e32 v3, s0
	s_andn2_b32 vcc_lo, exec_lo, s3
	s_cbranch_vccnz .LBB84_4
; %bb.3:
	v_mov_b32_e32 v4, s1
	v_mov_b32_e32 v3, s0
	flat_load_dwordx2 v[3:4], v[3:4]
.LBB84_4:
	s_waitcnt vmcnt(0) lgkmcnt(0)
	v_cmp_neq_f64_e32 vcc_lo, 0, v[1:2]
	v_cmp_neq_f64_e64 s0, 1.0, v[3:4]
	s_or_b32 s0, vcc_lo, s0
	s_and_saveexec_b32 s1, s0
	s_cbranch_execz .LBB84_23
; %bb.5:
	s_load_dwordx2 s[0:1], s[4:5], 0x0
	v_lshrrev_b32_e32 v5, 5, v0
	v_lshl_or_b32 v5, s6, 2, v5
	s_waitcnt lgkmcnt(0)
	v_cmp_gt_i32_e32 vcc_lo, s0, v5
	s_and_b32 exec_lo, exec_lo, vcc_lo
	s_cbranch_execz .LBB84_23
; %bb.6:
	s_load_dwordx8 s[8:15], s[4:5], 0x10
	v_ashrrev_i32_e32 v6, 31, v5
	v_and_b32_e32 v0, 31, v0
	s_cmp_lg_u32 s1, 0
	v_lshlrev_b64 v[6:7], 2, v[5:6]
	s_waitcnt lgkmcnt(0)
	v_add_co_u32 v6, vcc_lo, s8, v6
	v_add_co_ci_u32_e64 v7, null, s9, v7, vcc_lo
	global_load_dwordx2 v[6:7], v[6:7], off
	s_waitcnt vmcnt(0)
	v_subrev_nc_u32_e32 v6, s2, v6
	v_subrev_nc_u32_e32 v16, s2, v7
	v_add_nc_u32_e32 v10, v6, v0
	v_cmp_lt_i32_e64 s0, v10, v16
	s_cbranch_scc0 .LBB84_12
; %bb.7:
	v_mov_b32_e32 v6, 0
	v_mov_b32_e32 v8, 0
	;; [unrolled: 1-line block ×4, first 2 shown]
	s_and_saveexec_b32 s1, s0
	s_cbranch_execz .LBB84_11
; %bb.8:
	v_mul_lo_u32 v11, v10, 6
	v_mov_b32_e32 v6, 0
	v_mov_b32_e32 v8, 0
	;; [unrolled: 1-line block ×6, first 2 shown]
	s_mov_b32 s3, 0
.LBB84_9:                               ; =>This Inner Loop Header: Depth=1
	v_ashrrev_i32_e32 v14, 31, v13
	v_mov_b32_e32 v26, v12
	v_add_nc_u32_e32 v21, 2, v11
	v_mov_b32_e32 v22, v12
	v_mov_b32_e32 v27, v12
	v_lshlrev_b64 v[14:15], 2, v[13:14]
	v_add_nc_u32_e32 v28, 4, v11
	v_mov_b32_e32 v29, v12
	v_lshlrev_b64 v[21:22], 3, v[21:22]
	v_mov_b32_e32 v30, v12
	v_add_nc_u32_e32 v13, 32, v13
	v_add_co_u32 v14, vcc_lo, s10, v14
	v_add_co_ci_u32_e64 v15, null, s11, v15, vcc_lo
	global_load_dword v17, v[14:15], off
	v_lshlrev_b64 v[14:15], 3, v[11:12]
	v_add_nc_u32_e32 v11, 0xc0, v11
	v_add_co_u32 v14, vcc_lo, s12, v14
	v_add_co_ci_u32_e64 v15, null, s13, v15, vcc_lo
	s_waitcnt vmcnt(0)
	v_subrev_nc_u32_e32 v17, s2, v17
	v_lshl_add_u32 v25, v17, 1, v17
	v_lshlrev_b64 v[17:18], 3, v[25:26]
	v_add_nc_u32_e32 v26, 1, v25
	v_add_co_u32 v23, vcc_lo, s14, v17
	v_add_co_ci_u32_e64 v24, null, s15, v18, vcc_lo
	v_add_co_u32 v21, vcc_lo, s12, v21
	global_load_dwordx4 v[17:20], v[14:15], off
	global_load_dwordx2 v[14:15], v[23:24], off
	v_lshlrev_b64 v[23:24], 3, v[26:27]
	v_add_co_ci_u32_e64 v22, null, s13, v22, vcc_lo
	v_add_co_u32 v26, vcc_lo, s14, v23
	v_add_co_ci_u32_e64 v27, null, s15, v24, vcc_lo
	global_load_dwordx4 v[21:24], v[21:22], off
	global_load_dwordx2 v[31:32], v[26:27], off
	v_lshlrev_b64 v[26:27], 3, v[28:29]
	v_add_nc_u32_e32 v29, 2, v25
	v_lshlrev_b64 v[28:29], 3, v[29:30]
	v_add_co_u32 v25, vcc_lo, s12, v26
	v_add_co_ci_u32_e64 v26, null, s13, v27, vcc_lo
	v_add_co_u32 v33, vcc_lo, s14, v28
	v_add_co_ci_u32_e64 v34, null, s15, v29, vcc_lo
	global_load_dwordx4 v[25:28], v[25:26], off
	global_load_dwordx2 v[29:30], v[33:34], off
	v_cmp_ge_i32_e32 vcc_lo, v13, v16
	s_or_b32 s3, vcc_lo, s3
	s_waitcnt vmcnt(4)
	v_fma_f64 v[6:7], v[17:18], v[14:15], v[6:7]
	v_fma_f64 v[8:9], v[19:20], v[14:15], v[8:9]
	s_waitcnt vmcnt(2)
	v_fma_f64 v[6:7], v[21:22], v[31:32], v[6:7]
	v_fma_f64 v[8:9], v[23:24], v[31:32], v[8:9]
	s_waitcnt vmcnt(0)
	v_fma_f64 v[6:7], v[25:26], v[29:30], v[6:7]
	v_fma_f64 v[8:9], v[27:28], v[29:30], v[8:9]
	s_andn2_b32 exec_lo, exec_lo, s3
	s_cbranch_execnz .LBB84_9
; %bb.10:
	s_or_b32 exec_lo, exec_lo, s3
.LBB84_11:
	s_or_b32 exec_lo, exec_lo, s1
	s_cbranch_execz .LBB84_13
	s_branch .LBB84_18
.LBB84_12:
                                        ; implicit-def: $vgpr6_vgpr7
                                        ; implicit-def: $vgpr8_vgpr9
.LBB84_13:
	v_mov_b32_e32 v6, 0
	v_mov_b32_e32 v8, 0
	;; [unrolled: 1-line block ×4, first 2 shown]
	s_and_saveexec_b32 s1, s0
	s_cbranch_execz .LBB84_17
; %bb.14:
	v_mad_u64_u32 v[12:13], null, v10, 6, 5
	v_mov_b32_e32 v6, 0
	v_mov_b32_e32 v8, 0
	v_mov_b32_e32 v7, 0
	v_mov_b32_e32 v9, 0
	v_mov_b32_e32 v15, 0
	s_mov_b32 s3, 0
.LBB84_15:                              ; =>This Inner Loop Header: Depth=1
	v_ashrrev_i32_e32 v11, 31, v10
	v_add_nc_u32_e32 v17, -2, v12
	v_mov_b32_e32 v18, v15
	v_mov_b32_e32 v22, v15
	v_lshlrev_b64 v[13:14], 2, v[10:11]
	v_add_nc_u32_e32 v10, 32, v10
	v_lshlrev_b64 v[17:18], 3, v[17:18]
	v_add_co_u32 v13, vcc_lo, s10, v13
	v_add_co_ci_u32_e64 v14, null, s11, v14, vcc_lo
	global_load_dword v11, v[13:14], off
	v_add_nc_u32_e32 v14, -5, v12
	v_mov_b32_e32 v13, v15
	v_lshlrev_b64 v[19:20], 3, v[14:15]
	v_lshlrev_b64 v[23:24], 3, v[12:13]
	v_add_co_u32 v13, vcc_lo, s12, v19
	v_add_co_ci_u32_e64 v14, null, s13, v20, vcc_lo
	v_add_co_u32 v25, vcc_lo, s12, v17
	v_add_co_ci_u32_e64 v26, null, s13, v18, vcc_lo
	s_clause 0x1
	global_load_dwordx4 v[17:20], v[13:14], off
	global_load_dwordx2 v[25:26], v[25:26], off
	v_add_co_u32 v23, vcc_lo, s12, v23
	v_add_co_ci_u32_e64 v24, null, s13, v24, vcc_lo
	s_waitcnt vmcnt(2)
	v_subrev_nc_u32_e32 v11, s2, v11
	v_lshl_add_u32 v21, v11, 1, v11
	v_lshlrev_b64 v[13:14], 3, v[21:22]
	v_add_co_u32 v27, s0, s14, v13
	v_add_co_ci_u32_e64 v28, null, s15, v14, s0
	v_add_nc_u32_e32 v14, 1, v21
	global_load_dwordx2 v[27:28], v[27:28], off
	v_lshlrev_b64 v[29:30], 3, v[14:15]
	v_add_nc_u32_e32 v14, -1, v12
	v_lshlrev_b64 v[13:14], 3, v[14:15]
	v_add_co_u32 v29, s0, s14, v29
	v_add_co_ci_u32_e64 v30, null, s15, v30, s0
	v_add_co_u32 v13, s0, s12, v13
	v_add_co_ci_u32_e64 v14, null, s13, v14, s0
	global_load_dwordx2 v[29:30], v[29:30], off
	global_load_dwordx2 v[31:32], v[13:14], off
	v_add_nc_u32_e32 v14, -3, v12
	v_add_nc_u32_e32 v12, 0xc0, v12
	v_lshlrev_b64 v[33:34], 3, v[14:15]
	v_add_nc_u32_e32 v14, 2, v21
	v_lshlrev_b64 v[13:14], 3, v[14:15]
	v_add_co_u32 v21, vcc_lo, s12, v33
	v_add_co_ci_u32_e64 v22, null, s13, v34, vcc_lo
	v_add_co_u32 v13, vcc_lo, s14, v13
	v_add_co_ci_u32_e64 v14, null, s15, v14, vcc_lo
	s_clause 0x1
	global_load_dwordx2 v[23:24], v[23:24], off
	global_load_dwordx2 v[21:22], v[21:22], off
	;; [unrolled: 1-line block ×3, first 2 shown]
	v_cmp_ge_i32_e32 vcc_lo, v10, v16
	s_or_b32 s3, vcc_lo, s3
	s_waitcnt vmcnt(5)
	v_fma_f64 v[6:7], v[17:18], v[27:28], v[6:7]
	v_fma_f64 v[8:9], v[25:26], v[27:28], v[8:9]
	s_waitcnt vmcnt(4)
	v_fma_f64 v[6:7], v[19:20], v[29:30], v[6:7]
	s_waitcnt vmcnt(3)
	;; [unrolled: 2-line block ×3, first 2 shown]
	v_fma_f64 v[6:7], v[21:22], v[13:14], v[6:7]
	v_fma_f64 v[8:9], v[23:24], v[13:14], v[8:9]
	s_andn2_b32 exec_lo, exec_lo, s3
	s_cbranch_execnz .LBB84_15
; %bb.16:
	s_or_b32 exec_lo, exec_lo, s3
.LBB84_17:
	s_or_b32 exec_lo, exec_lo, s1
.LBB84_18:
	v_mbcnt_lo_u32_b32 v14, -1, 0
	v_xor_b32_e32 v10, 16, v14
	v_cmp_gt_i32_e32 vcc_lo, 32, v10
	v_cndmask_b32_e32 v10, v14, v10, vcc_lo
	v_lshlrev_b32_e32 v13, 2, v10
	ds_bpermute_b32 v10, v13, v6
	ds_bpermute_b32 v11, v13, v7
	ds_bpermute_b32 v12, v13, v8
	ds_bpermute_b32 v13, v13, v9
	s_waitcnt lgkmcnt(2)
	v_add_f64 v[6:7], v[6:7], v[10:11]
	v_xor_b32_e32 v10, 8, v14
	s_waitcnt lgkmcnt(0)
	v_add_f64 v[8:9], v[8:9], v[12:13]
	v_cmp_gt_i32_e32 vcc_lo, 32, v10
	v_cndmask_b32_e32 v10, v14, v10, vcc_lo
	v_lshlrev_b32_e32 v13, 2, v10
	ds_bpermute_b32 v10, v13, v6
	ds_bpermute_b32 v11, v13, v7
	ds_bpermute_b32 v12, v13, v8
	ds_bpermute_b32 v13, v13, v9
	s_waitcnt lgkmcnt(2)
	v_add_f64 v[6:7], v[6:7], v[10:11]
	v_xor_b32_e32 v10, 4, v14
	s_waitcnt lgkmcnt(0)
	v_add_f64 v[8:9], v[8:9], v[12:13]
	;; [unrolled: 12-line block ×3, first 2 shown]
	v_cmp_gt_i32_e32 vcc_lo, 32, v10
	v_cndmask_b32_e32 v10, v14, v10, vcc_lo
	v_lshlrev_b32_e32 v13, 2, v10
	ds_bpermute_b32 v10, v13, v6
	ds_bpermute_b32 v11, v13, v7
	;; [unrolled: 1-line block ×4, first 2 shown]
	s_waitcnt lgkmcnt(2)
	v_add_f64 v[6:7], v[6:7], v[10:11]
	s_waitcnt lgkmcnt(0)
	v_add_f64 v[10:11], v[8:9], v[12:13]
	v_xor_b32_e32 v8, 1, v14
	v_cmp_gt_i32_e32 vcc_lo, 32, v8
	v_cndmask_b32_e32 v8, v14, v8, vcc_lo
	v_cmp_eq_u32_e32 vcc_lo, 31, v0
	v_lshlrev_b32_e32 v13, 2, v8
	ds_bpermute_b32 v8, v13, v6
	ds_bpermute_b32 v9, v13, v7
	;; [unrolled: 1-line block ×4, first 2 shown]
	s_and_b32 exec_lo, exec_lo, vcc_lo
	s_cbranch_execz .LBB84_23
; %bb.19:
	s_waitcnt lgkmcnt(2)
	v_add_f64 v[8:9], v[6:7], v[8:9]
	s_waitcnt lgkmcnt(0)
	v_add_f64 v[6:7], v[10:11], v[12:13]
	s_load_dwordx2 s[0:1], s[4:5], 0x38
	s_mov_b32 s2, exec_lo
	v_cmpx_eq_f64_e32 0, v[3:4]
	s_xor_b32 s2, exec_lo, s2
	s_cbranch_execz .LBB84_21
; %bb.20:
	v_lshlrev_b32_e32 v0, 1, v5
	v_mul_f64 v[3:4], v[1:2], v[8:9]
	v_mul_f64 v[5:6], v[1:2], v[6:7]
                                        ; implicit-def: $vgpr8_vgpr9
	v_ashrrev_i32_e32 v1, 31, v0
	v_lshlrev_b64 v[0:1], 3, v[0:1]
	s_waitcnt lgkmcnt(0)
	v_add_co_u32 v0, vcc_lo, s0, v0
	v_add_co_ci_u32_e64 v1, null, s1, v1, vcc_lo
	global_store_dwordx4 v[0:1], v[3:6], off
                                        ; implicit-def: $vgpr5
                                        ; implicit-def: $vgpr1_vgpr2
                                        ; implicit-def: $vgpr3_vgpr4
                                        ; implicit-def: $vgpr6_vgpr7
.LBB84_21:
	s_andn2_saveexec_b32 s2, s2
	s_cbranch_execz .LBB84_23
; %bb.22:
	v_lshlrev_b32_e32 v10, 1, v5
	v_mul_f64 v[8:9], v[1:2], v[8:9]
	v_mul_f64 v[5:6], v[1:2], v[6:7]
	v_ashrrev_i32_e32 v11, 31, v10
	v_lshlrev_b64 v[10:11], 3, v[10:11]
	s_waitcnt lgkmcnt(0)
	v_add_co_u32 v14, vcc_lo, s0, v10
	v_add_co_ci_u32_e64 v15, null, s1, v11, vcc_lo
	global_load_dwordx4 v[10:13], v[14:15], off
	s_waitcnt vmcnt(0)
	v_fma_f64 v[0:1], v[3:4], v[10:11], v[8:9]
	v_fma_f64 v[2:3], v[3:4], v[12:13], v[5:6]
	global_store_dwordx4 v[14:15], v[0:3], off
.LBB84_23:
	s_endpgm
	.section	.rodata,"a",@progbits
	.p2align	6, 0x0
	.amdhsa_kernel _ZN9rocsparseL19gebsrmvn_2xn_kernelILj128ELj3ELj32EdEEvi20rocsparse_direction_NS_24const_host_device_scalarIT2_EEPKiS6_PKS3_S8_S4_PS3_21rocsparse_index_base_b
		.amdhsa_group_segment_fixed_size 0
		.amdhsa_private_segment_fixed_size 0
		.amdhsa_kernarg_size 72
		.amdhsa_user_sgpr_count 6
		.amdhsa_user_sgpr_private_segment_buffer 1
		.amdhsa_user_sgpr_dispatch_ptr 0
		.amdhsa_user_sgpr_queue_ptr 0
		.amdhsa_user_sgpr_kernarg_segment_ptr 1
		.amdhsa_user_sgpr_dispatch_id 0
		.amdhsa_user_sgpr_flat_scratch_init 0
		.amdhsa_user_sgpr_private_segment_size 0
		.amdhsa_wavefront_size32 1
		.amdhsa_uses_dynamic_stack 0
		.amdhsa_system_sgpr_private_segment_wavefront_offset 0
		.amdhsa_system_sgpr_workgroup_id_x 1
		.amdhsa_system_sgpr_workgroup_id_y 0
		.amdhsa_system_sgpr_workgroup_id_z 0
		.amdhsa_system_sgpr_workgroup_info 0
		.amdhsa_system_vgpr_workitem_id 0
		.amdhsa_next_free_vgpr 35
		.amdhsa_next_free_sgpr 16
		.amdhsa_reserve_vcc 1
		.amdhsa_reserve_flat_scratch 0
		.amdhsa_float_round_mode_32 0
		.amdhsa_float_round_mode_16_64 0
		.amdhsa_float_denorm_mode_32 3
		.amdhsa_float_denorm_mode_16_64 3
		.amdhsa_dx10_clamp 1
		.amdhsa_ieee_mode 1
		.amdhsa_fp16_overflow 0
		.amdhsa_workgroup_processor_mode 1
		.amdhsa_memory_ordered 1
		.amdhsa_forward_progress 1
		.amdhsa_shared_vgpr_count 0
		.amdhsa_exception_fp_ieee_invalid_op 0
		.amdhsa_exception_fp_denorm_src 0
		.amdhsa_exception_fp_ieee_div_zero 0
		.amdhsa_exception_fp_ieee_overflow 0
		.amdhsa_exception_fp_ieee_underflow 0
		.amdhsa_exception_fp_ieee_inexact 0
		.amdhsa_exception_int_div_zero 0
	.end_amdhsa_kernel
	.section	.text._ZN9rocsparseL19gebsrmvn_2xn_kernelILj128ELj3ELj32EdEEvi20rocsparse_direction_NS_24const_host_device_scalarIT2_EEPKiS6_PKS3_S8_S4_PS3_21rocsparse_index_base_b,"axG",@progbits,_ZN9rocsparseL19gebsrmvn_2xn_kernelILj128ELj3ELj32EdEEvi20rocsparse_direction_NS_24const_host_device_scalarIT2_EEPKiS6_PKS3_S8_S4_PS3_21rocsparse_index_base_b,comdat
.Lfunc_end84:
	.size	_ZN9rocsparseL19gebsrmvn_2xn_kernelILj128ELj3ELj32EdEEvi20rocsparse_direction_NS_24const_host_device_scalarIT2_EEPKiS6_PKS3_S8_S4_PS3_21rocsparse_index_base_b, .Lfunc_end84-_ZN9rocsparseL19gebsrmvn_2xn_kernelILj128ELj3ELj32EdEEvi20rocsparse_direction_NS_24const_host_device_scalarIT2_EEPKiS6_PKS3_S8_S4_PS3_21rocsparse_index_base_b
                                        ; -- End function
	.set _ZN9rocsparseL19gebsrmvn_2xn_kernelILj128ELj3ELj32EdEEvi20rocsparse_direction_NS_24const_host_device_scalarIT2_EEPKiS6_PKS3_S8_S4_PS3_21rocsparse_index_base_b.num_vgpr, 35
	.set _ZN9rocsparseL19gebsrmvn_2xn_kernelILj128ELj3ELj32EdEEvi20rocsparse_direction_NS_24const_host_device_scalarIT2_EEPKiS6_PKS3_S8_S4_PS3_21rocsparse_index_base_b.num_agpr, 0
	.set _ZN9rocsparseL19gebsrmvn_2xn_kernelILj128ELj3ELj32EdEEvi20rocsparse_direction_NS_24const_host_device_scalarIT2_EEPKiS6_PKS3_S8_S4_PS3_21rocsparse_index_base_b.numbered_sgpr, 16
	.set _ZN9rocsparseL19gebsrmvn_2xn_kernelILj128ELj3ELj32EdEEvi20rocsparse_direction_NS_24const_host_device_scalarIT2_EEPKiS6_PKS3_S8_S4_PS3_21rocsparse_index_base_b.num_named_barrier, 0
	.set _ZN9rocsparseL19gebsrmvn_2xn_kernelILj128ELj3ELj32EdEEvi20rocsparse_direction_NS_24const_host_device_scalarIT2_EEPKiS6_PKS3_S8_S4_PS3_21rocsparse_index_base_b.private_seg_size, 0
	.set _ZN9rocsparseL19gebsrmvn_2xn_kernelILj128ELj3ELj32EdEEvi20rocsparse_direction_NS_24const_host_device_scalarIT2_EEPKiS6_PKS3_S8_S4_PS3_21rocsparse_index_base_b.uses_vcc, 1
	.set _ZN9rocsparseL19gebsrmvn_2xn_kernelILj128ELj3ELj32EdEEvi20rocsparse_direction_NS_24const_host_device_scalarIT2_EEPKiS6_PKS3_S8_S4_PS3_21rocsparse_index_base_b.uses_flat_scratch, 0
	.set _ZN9rocsparseL19gebsrmvn_2xn_kernelILj128ELj3ELj32EdEEvi20rocsparse_direction_NS_24const_host_device_scalarIT2_EEPKiS6_PKS3_S8_S4_PS3_21rocsparse_index_base_b.has_dyn_sized_stack, 0
	.set _ZN9rocsparseL19gebsrmvn_2xn_kernelILj128ELj3ELj32EdEEvi20rocsparse_direction_NS_24const_host_device_scalarIT2_EEPKiS6_PKS3_S8_S4_PS3_21rocsparse_index_base_b.has_recursion, 0
	.set _ZN9rocsparseL19gebsrmvn_2xn_kernelILj128ELj3ELj32EdEEvi20rocsparse_direction_NS_24const_host_device_scalarIT2_EEPKiS6_PKS3_S8_S4_PS3_21rocsparse_index_base_b.has_indirect_call, 0
	.section	.AMDGPU.csdata,"",@progbits
; Kernel info:
; codeLenInByte = 1772
; TotalNumSgprs: 18
; NumVgprs: 35
; ScratchSize: 0
; MemoryBound: 0
; FloatMode: 240
; IeeeMode: 1
; LDSByteSize: 0 bytes/workgroup (compile time only)
; SGPRBlocks: 0
; VGPRBlocks: 4
; NumSGPRsForWavesPerEU: 18
; NumVGPRsForWavesPerEU: 35
; Occupancy: 16
; WaveLimiterHint : 1
; COMPUTE_PGM_RSRC2:SCRATCH_EN: 0
; COMPUTE_PGM_RSRC2:USER_SGPR: 6
; COMPUTE_PGM_RSRC2:TRAP_HANDLER: 0
; COMPUTE_PGM_RSRC2:TGID_X_EN: 1
; COMPUTE_PGM_RSRC2:TGID_Y_EN: 0
; COMPUTE_PGM_RSRC2:TGID_Z_EN: 0
; COMPUTE_PGM_RSRC2:TIDIG_COMP_CNT: 0
	.section	.text._ZN9rocsparseL19gebsrmvn_2xn_kernelILj128ELj3ELj64EdEEvi20rocsparse_direction_NS_24const_host_device_scalarIT2_EEPKiS6_PKS3_S8_S4_PS3_21rocsparse_index_base_b,"axG",@progbits,_ZN9rocsparseL19gebsrmvn_2xn_kernelILj128ELj3ELj64EdEEvi20rocsparse_direction_NS_24const_host_device_scalarIT2_EEPKiS6_PKS3_S8_S4_PS3_21rocsparse_index_base_b,comdat
	.globl	_ZN9rocsparseL19gebsrmvn_2xn_kernelILj128ELj3ELj64EdEEvi20rocsparse_direction_NS_24const_host_device_scalarIT2_EEPKiS6_PKS3_S8_S4_PS3_21rocsparse_index_base_b ; -- Begin function _ZN9rocsparseL19gebsrmvn_2xn_kernelILj128ELj3ELj64EdEEvi20rocsparse_direction_NS_24const_host_device_scalarIT2_EEPKiS6_PKS3_S8_S4_PS3_21rocsparse_index_base_b
	.p2align	8
	.type	_ZN9rocsparseL19gebsrmvn_2xn_kernelILj128ELj3ELj64EdEEvi20rocsparse_direction_NS_24const_host_device_scalarIT2_EEPKiS6_PKS3_S8_S4_PS3_21rocsparse_index_base_b,@function
_ZN9rocsparseL19gebsrmvn_2xn_kernelILj128ELj3ELj64EdEEvi20rocsparse_direction_NS_24const_host_device_scalarIT2_EEPKiS6_PKS3_S8_S4_PS3_21rocsparse_index_base_b: ; @_ZN9rocsparseL19gebsrmvn_2xn_kernelILj128ELj3ELj64EdEEvi20rocsparse_direction_NS_24const_host_device_scalarIT2_EEPKiS6_PKS3_S8_S4_PS3_21rocsparse_index_base_b
; %bb.0:
	s_clause 0x2
	s_load_dwordx2 s[2:3], s[4:5], 0x40
	s_load_dwordx2 s[8:9], s[4:5], 0x8
	;; [unrolled: 1-line block ×3, first 2 shown]
	s_waitcnt lgkmcnt(0)
	s_bitcmp1_b32 s3, 0
	v_mov_b32_e32 v1, s8
	v_mov_b32_e32 v2, s9
	s_cselect_b32 s3, -1, 0
	s_and_b32 vcc_lo, exec_lo, s3
	s_xor_b32 s3, s3, -1
	s_cbranch_vccnz .LBB85_2
; %bb.1:
	v_mov_b32_e32 v1, s8
	v_mov_b32_e32 v2, s9
	flat_load_dwordx2 v[1:2], v[1:2]
.LBB85_2:
	v_mov_b32_e32 v4, s1
	v_mov_b32_e32 v3, s0
	s_andn2_b32 vcc_lo, exec_lo, s3
	s_cbranch_vccnz .LBB85_4
; %bb.3:
	v_mov_b32_e32 v4, s1
	v_mov_b32_e32 v3, s0
	flat_load_dwordx2 v[3:4], v[3:4]
.LBB85_4:
	s_waitcnt vmcnt(0) lgkmcnt(0)
	v_cmp_neq_f64_e32 vcc_lo, 0, v[1:2]
	v_cmp_neq_f64_e64 s0, 1.0, v[3:4]
	s_or_b32 s0, vcc_lo, s0
	s_and_saveexec_b32 s1, s0
	s_cbranch_execz .LBB85_23
; %bb.5:
	s_load_dwordx2 s[0:1], s[4:5], 0x0
	v_lshrrev_b32_e32 v5, 6, v0
	v_lshl_or_b32 v5, s6, 1, v5
	s_waitcnt lgkmcnt(0)
	v_cmp_gt_i32_e32 vcc_lo, s0, v5
	s_and_b32 exec_lo, exec_lo, vcc_lo
	s_cbranch_execz .LBB85_23
; %bb.6:
	s_load_dwordx8 s[8:15], s[4:5], 0x10
	v_ashrrev_i32_e32 v6, 31, v5
	v_and_b32_e32 v0, 63, v0
	s_cmp_lg_u32 s1, 0
	v_lshlrev_b64 v[6:7], 2, v[5:6]
	s_waitcnt lgkmcnt(0)
	v_add_co_u32 v6, vcc_lo, s8, v6
	v_add_co_ci_u32_e64 v7, null, s9, v7, vcc_lo
	global_load_dwordx2 v[6:7], v[6:7], off
	s_waitcnt vmcnt(0)
	v_subrev_nc_u32_e32 v6, s2, v6
	v_subrev_nc_u32_e32 v16, s2, v7
	v_add_nc_u32_e32 v10, v6, v0
	v_cmp_lt_i32_e64 s0, v10, v16
	s_cbranch_scc0 .LBB85_12
; %bb.7:
	v_mov_b32_e32 v6, 0
	v_mov_b32_e32 v8, 0
	;; [unrolled: 1-line block ×4, first 2 shown]
	s_and_saveexec_b32 s1, s0
	s_cbranch_execz .LBB85_11
; %bb.8:
	v_mul_lo_u32 v11, v10, 6
	v_mov_b32_e32 v6, 0
	v_mov_b32_e32 v8, 0
	;; [unrolled: 1-line block ×6, first 2 shown]
	s_mov_b32 s3, 0
.LBB85_9:                               ; =>This Inner Loop Header: Depth=1
	v_ashrrev_i32_e32 v14, 31, v13
	v_mov_b32_e32 v26, v12
	v_add_nc_u32_e32 v21, 2, v11
	v_mov_b32_e32 v22, v12
	v_mov_b32_e32 v27, v12
	v_lshlrev_b64 v[14:15], 2, v[13:14]
	v_add_nc_u32_e32 v28, 4, v11
	v_mov_b32_e32 v29, v12
	v_lshlrev_b64 v[21:22], 3, v[21:22]
	v_mov_b32_e32 v30, v12
	v_add_nc_u32_e32 v13, 64, v13
	v_add_co_u32 v14, vcc_lo, s10, v14
	v_add_co_ci_u32_e64 v15, null, s11, v15, vcc_lo
	global_load_dword v17, v[14:15], off
	v_lshlrev_b64 v[14:15], 3, v[11:12]
	v_add_nc_u32_e32 v11, 0x180, v11
	v_add_co_u32 v14, vcc_lo, s12, v14
	v_add_co_ci_u32_e64 v15, null, s13, v15, vcc_lo
	s_waitcnt vmcnt(0)
	v_subrev_nc_u32_e32 v17, s2, v17
	v_lshl_add_u32 v25, v17, 1, v17
	v_lshlrev_b64 v[17:18], 3, v[25:26]
	v_add_nc_u32_e32 v26, 1, v25
	v_add_co_u32 v23, vcc_lo, s14, v17
	v_add_co_ci_u32_e64 v24, null, s15, v18, vcc_lo
	v_add_co_u32 v21, vcc_lo, s12, v21
	global_load_dwordx4 v[17:20], v[14:15], off
	global_load_dwordx2 v[14:15], v[23:24], off
	v_lshlrev_b64 v[23:24], 3, v[26:27]
	v_add_co_ci_u32_e64 v22, null, s13, v22, vcc_lo
	v_add_co_u32 v26, vcc_lo, s14, v23
	v_add_co_ci_u32_e64 v27, null, s15, v24, vcc_lo
	global_load_dwordx4 v[21:24], v[21:22], off
	global_load_dwordx2 v[31:32], v[26:27], off
	v_lshlrev_b64 v[26:27], 3, v[28:29]
	v_add_nc_u32_e32 v29, 2, v25
	v_lshlrev_b64 v[28:29], 3, v[29:30]
	v_add_co_u32 v25, vcc_lo, s12, v26
	v_add_co_ci_u32_e64 v26, null, s13, v27, vcc_lo
	v_add_co_u32 v33, vcc_lo, s14, v28
	v_add_co_ci_u32_e64 v34, null, s15, v29, vcc_lo
	global_load_dwordx4 v[25:28], v[25:26], off
	global_load_dwordx2 v[29:30], v[33:34], off
	v_cmp_ge_i32_e32 vcc_lo, v13, v16
	s_or_b32 s3, vcc_lo, s3
	s_waitcnt vmcnt(4)
	v_fma_f64 v[6:7], v[17:18], v[14:15], v[6:7]
	v_fma_f64 v[8:9], v[19:20], v[14:15], v[8:9]
	s_waitcnt vmcnt(2)
	v_fma_f64 v[6:7], v[21:22], v[31:32], v[6:7]
	v_fma_f64 v[8:9], v[23:24], v[31:32], v[8:9]
	;; [unrolled: 3-line block ×3, first 2 shown]
	s_andn2_b32 exec_lo, exec_lo, s3
	s_cbranch_execnz .LBB85_9
; %bb.10:
	s_or_b32 exec_lo, exec_lo, s3
.LBB85_11:
	s_or_b32 exec_lo, exec_lo, s1
	s_cbranch_execz .LBB85_13
	s_branch .LBB85_18
.LBB85_12:
                                        ; implicit-def: $vgpr6_vgpr7
                                        ; implicit-def: $vgpr8_vgpr9
.LBB85_13:
	v_mov_b32_e32 v6, 0
	v_mov_b32_e32 v8, 0
	;; [unrolled: 1-line block ×4, first 2 shown]
	s_and_saveexec_b32 s1, s0
	s_cbranch_execz .LBB85_17
; %bb.14:
	v_mad_u64_u32 v[12:13], null, v10, 6, 5
	v_mov_b32_e32 v6, 0
	v_mov_b32_e32 v8, 0
	;; [unrolled: 1-line block ×5, first 2 shown]
	s_mov_b32 s3, 0
.LBB85_15:                              ; =>This Inner Loop Header: Depth=1
	v_ashrrev_i32_e32 v11, 31, v10
	v_add_nc_u32_e32 v17, -2, v12
	v_mov_b32_e32 v18, v15
	v_mov_b32_e32 v22, v15
	v_lshlrev_b64 v[13:14], 2, v[10:11]
	v_add_nc_u32_e32 v10, 64, v10
	v_lshlrev_b64 v[17:18], 3, v[17:18]
	v_add_co_u32 v13, vcc_lo, s10, v13
	v_add_co_ci_u32_e64 v14, null, s11, v14, vcc_lo
	global_load_dword v11, v[13:14], off
	v_add_nc_u32_e32 v14, -5, v12
	v_mov_b32_e32 v13, v15
	v_lshlrev_b64 v[19:20], 3, v[14:15]
	v_lshlrev_b64 v[23:24], 3, v[12:13]
	v_add_co_u32 v13, vcc_lo, s12, v19
	v_add_co_ci_u32_e64 v14, null, s13, v20, vcc_lo
	v_add_co_u32 v25, vcc_lo, s12, v17
	v_add_co_ci_u32_e64 v26, null, s13, v18, vcc_lo
	s_clause 0x1
	global_load_dwordx4 v[17:20], v[13:14], off
	global_load_dwordx2 v[25:26], v[25:26], off
	v_add_co_u32 v23, vcc_lo, s12, v23
	v_add_co_ci_u32_e64 v24, null, s13, v24, vcc_lo
	s_waitcnt vmcnt(2)
	v_subrev_nc_u32_e32 v11, s2, v11
	v_lshl_add_u32 v21, v11, 1, v11
	v_lshlrev_b64 v[13:14], 3, v[21:22]
	v_add_co_u32 v27, s0, s14, v13
	v_add_co_ci_u32_e64 v28, null, s15, v14, s0
	v_add_nc_u32_e32 v14, 1, v21
	global_load_dwordx2 v[27:28], v[27:28], off
	v_lshlrev_b64 v[29:30], 3, v[14:15]
	v_add_nc_u32_e32 v14, -1, v12
	v_lshlrev_b64 v[13:14], 3, v[14:15]
	v_add_co_u32 v29, s0, s14, v29
	v_add_co_ci_u32_e64 v30, null, s15, v30, s0
	v_add_co_u32 v13, s0, s12, v13
	v_add_co_ci_u32_e64 v14, null, s13, v14, s0
	global_load_dwordx2 v[29:30], v[29:30], off
	global_load_dwordx2 v[31:32], v[13:14], off
	v_add_nc_u32_e32 v14, -3, v12
	v_add_nc_u32_e32 v12, 0x180, v12
	v_lshlrev_b64 v[33:34], 3, v[14:15]
	v_add_nc_u32_e32 v14, 2, v21
	v_lshlrev_b64 v[13:14], 3, v[14:15]
	v_add_co_u32 v21, vcc_lo, s12, v33
	v_add_co_ci_u32_e64 v22, null, s13, v34, vcc_lo
	v_add_co_u32 v13, vcc_lo, s14, v13
	v_add_co_ci_u32_e64 v14, null, s15, v14, vcc_lo
	s_clause 0x1
	global_load_dwordx2 v[23:24], v[23:24], off
	global_load_dwordx2 v[21:22], v[21:22], off
	;; [unrolled: 1-line block ×3, first 2 shown]
	v_cmp_ge_i32_e32 vcc_lo, v10, v16
	s_or_b32 s3, vcc_lo, s3
	s_waitcnt vmcnt(5)
	v_fma_f64 v[6:7], v[17:18], v[27:28], v[6:7]
	v_fma_f64 v[8:9], v[25:26], v[27:28], v[8:9]
	s_waitcnt vmcnt(4)
	v_fma_f64 v[6:7], v[19:20], v[29:30], v[6:7]
	s_waitcnt vmcnt(3)
	;; [unrolled: 2-line block ×3, first 2 shown]
	v_fma_f64 v[6:7], v[21:22], v[13:14], v[6:7]
	v_fma_f64 v[8:9], v[23:24], v[13:14], v[8:9]
	s_andn2_b32 exec_lo, exec_lo, s3
	s_cbranch_execnz .LBB85_15
; %bb.16:
	s_or_b32 exec_lo, exec_lo, s3
.LBB85_17:
	s_or_b32 exec_lo, exec_lo, s1
.LBB85_18:
	v_mbcnt_lo_u32_b32 v14, -1, 0
	v_or_b32_e32 v10, 32, v14
	v_cmp_gt_i32_e32 vcc_lo, 32, v10
	v_cndmask_b32_e32 v10, v14, v10, vcc_lo
	v_lshlrev_b32_e32 v13, 2, v10
	ds_bpermute_b32 v10, v13, v6
	ds_bpermute_b32 v11, v13, v7
	ds_bpermute_b32 v12, v13, v8
	ds_bpermute_b32 v13, v13, v9
	s_waitcnt lgkmcnt(2)
	v_add_f64 v[6:7], v[6:7], v[10:11]
	v_xor_b32_e32 v10, 16, v14
	s_waitcnt lgkmcnt(0)
	v_add_f64 v[8:9], v[8:9], v[12:13]
	v_cmp_gt_i32_e32 vcc_lo, 32, v10
	v_cndmask_b32_e32 v10, v14, v10, vcc_lo
	v_lshlrev_b32_e32 v13, 2, v10
	ds_bpermute_b32 v10, v13, v6
	ds_bpermute_b32 v11, v13, v7
	ds_bpermute_b32 v12, v13, v8
	ds_bpermute_b32 v13, v13, v9
	s_waitcnt lgkmcnt(2)
	v_add_f64 v[6:7], v[6:7], v[10:11]
	v_xor_b32_e32 v10, 8, v14
	s_waitcnt lgkmcnt(0)
	v_add_f64 v[8:9], v[8:9], v[12:13]
	;; [unrolled: 12-line block ×4, first 2 shown]
	v_cmp_gt_i32_e32 vcc_lo, 32, v10
	v_cndmask_b32_e32 v10, v14, v10, vcc_lo
	v_lshlrev_b32_e32 v13, 2, v10
	ds_bpermute_b32 v10, v13, v6
	ds_bpermute_b32 v11, v13, v7
	;; [unrolled: 1-line block ×4, first 2 shown]
	s_waitcnt lgkmcnt(2)
	v_add_f64 v[6:7], v[6:7], v[10:11]
	s_waitcnt lgkmcnt(0)
	v_add_f64 v[10:11], v[8:9], v[12:13]
	v_xor_b32_e32 v8, 1, v14
	v_cmp_gt_i32_e32 vcc_lo, 32, v8
	v_cndmask_b32_e32 v8, v14, v8, vcc_lo
	v_cmp_eq_u32_e32 vcc_lo, 63, v0
	v_lshlrev_b32_e32 v13, 2, v8
	ds_bpermute_b32 v8, v13, v6
	ds_bpermute_b32 v9, v13, v7
	;; [unrolled: 1-line block ×4, first 2 shown]
	s_and_b32 exec_lo, exec_lo, vcc_lo
	s_cbranch_execz .LBB85_23
; %bb.19:
	s_waitcnt lgkmcnt(2)
	v_add_f64 v[8:9], v[6:7], v[8:9]
	s_waitcnt lgkmcnt(0)
	v_add_f64 v[6:7], v[10:11], v[12:13]
	s_load_dwordx2 s[0:1], s[4:5], 0x38
	s_mov_b32 s2, exec_lo
	v_cmpx_eq_f64_e32 0, v[3:4]
	s_xor_b32 s2, exec_lo, s2
	s_cbranch_execz .LBB85_21
; %bb.20:
	v_lshlrev_b32_e32 v0, 1, v5
	v_mul_f64 v[3:4], v[1:2], v[8:9]
	v_mul_f64 v[5:6], v[1:2], v[6:7]
                                        ; implicit-def: $vgpr8_vgpr9
	v_ashrrev_i32_e32 v1, 31, v0
	v_lshlrev_b64 v[0:1], 3, v[0:1]
	s_waitcnt lgkmcnt(0)
	v_add_co_u32 v0, vcc_lo, s0, v0
	v_add_co_ci_u32_e64 v1, null, s1, v1, vcc_lo
	global_store_dwordx4 v[0:1], v[3:6], off
                                        ; implicit-def: $vgpr5
                                        ; implicit-def: $vgpr1_vgpr2
                                        ; implicit-def: $vgpr3_vgpr4
                                        ; implicit-def: $vgpr6_vgpr7
.LBB85_21:
	s_andn2_saveexec_b32 s2, s2
	s_cbranch_execz .LBB85_23
; %bb.22:
	v_lshlrev_b32_e32 v10, 1, v5
	v_mul_f64 v[8:9], v[1:2], v[8:9]
	v_mul_f64 v[5:6], v[1:2], v[6:7]
	v_ashrrev_i32_e32 v11, 31, v10
	v_lshlrev_b64 v[10:11], 3, v[10:11]
	s_waitcnt lgkmcnt(0)
	v_add_co_u32 v14, vcc_lo, s0, v10
	v_add_co_ci_u32_e64 v15, null, s1, v11, vcc_lo
	global_load_dwordx4 v[10:13], v[14:15], off
	s_waitcnt vmcnt(0)
	v_fma_f64 v[0:1], v[3:4], v[10:11], v[8:9]
	v_fma_f64 v[2:3], v[3:4], v[12:13], v[5:6]
	global_store_dwordx4 v[14:15], v[0:3], off
.LBB85_23:
	s_endpgm
	.section	.rodata,"a",@progbits
	.p2align	6, 0x0
	.amdhsa_kernel _ZN9rocsparseL19gebsrmvn_2xn_kernelILj128ELj3ELj64EdEEvi20rocsparse_direction_NS_24const_host_device_scalarIT2_EEPKiS6_PKS3_S8_S4_PS3_21rocsparse_index_base_b
		.amdhsa_group_segment_fixed_size 0
		.amdhsa_private_segment_fixed_size 0
		.amdhsa_kernarg_size 72
		.amdhsa_user_sgpr_count 6
		.amdhsa_user_sgpr_private_segment_buffer 1
		.amdhsa_user_sgpr_dispatch_ptr 0
		.amdhsa_user_sgpr_queue_ptr 0
		.amdhsa_user_sgpr_kernarg_segment_ptr 1
		.amdhsa_user_sgpr_dispatch_id 0
		.amdhsa_user_sgpr_flat_scratch_init 0
		.amdhsa_user_sgpr_private_segment_size 0
		.amdhsa_wavefront_size32 1
		.amdhsa_uses_dynamic_stack 0
		.amdhsa_system_sgpr_private_segment_wavefront_offset 0
		.amdhsa_system_sgpr_workgroup_id_x 1
		.amdhsa_system_sgpr_workgroup_id_y 0
		.amdhsa_system_sgpr_workgroup_id_z 0
		.amdhsa_system_sgpr_workgroup_info 0
		.amdhsa_system_vgpr_workitem_id 0
		.amdhsa_next_free_vgpr 35
		.amdhsa_next_free_sgpr 16
		.amdhsa_reserve_vcc 1
		.amdhsa_reserve_flat_scratch 0
		.amdhsa_float_round_mode_32 0
		.amdhsa_float_round_mode_16_64 0
		.amdhsa_float_denorm_mode_32 3
		.amdhsa_float_denorm_mode_16_64 3
		.amdhsa_dx10_clamp 1
		.amdhsa_ieee_mode 1
		.amdhsa_fp16_overflow 0
		.amdhsa_workgroup_processor_mode 1
		.amdhsa_memory_ordered 1
		.amdhsa_forward_progress 1
		.amdhsa_shared_vgpr_count 0
		.amdhsa_exception_fp_ieee_invalid_op 0
		.amdhsa_exception_fp_denorm_src 0
		.amdhsa_exception_fp_ieee_div_zero 0
		.amdhsa_exception_fp_ieee_overflow 0
		.amdhsa_exception_fp_ieee_underflow 0
		.amdhsa_exception_fp_ieee_inexact 0
		.amdhsa_exception_int_div_zero 0
	.end_amdhsa_kernel
	.section	.text._ZN9rocsparseL19gebsrmvn_2xn_kernelILj128ELj3ELj64EdEEvi20rocsparse_direction_NS_24const_host_device_scalarIT2_EEPKiS6_PKS3_S8_S4_PS3_21rocsparse_index_base_b,"axG",@progbits,_ZN9rocsparseL19gebsrmvn_2xn_kernelILj128ELj3ELj64EdEEvi20rocsparse_direction_NS_24const_host_device_scalarIT2_EEPKiS6_PKS3_S8_S4_PS3_21rocsparse_index_base_b,comdat
.Lfunc_end85:
	.size	_ZN9rocsparseL19gebsrmvn_2xn_kernelILj128ELj3ELj64EdEEvi20rocsparse_direction_NS_24const_host_device_scalarIT2_EEPKiS6_PKS3_S8_S4_PS3_21rocsparse_index_base_b, .Lfunc_end85-_ZN9rocsparseL19gebsrmvn_2xn_kernelILj128ELj3ELj64EdEEvi20rocsparse_direction_NS_24const_host_device_scalarIT2_EEPKiS6_PKS3_S8_S4_PS3_21rocsparse_index_base_b
                                        ; -- End function
	.set _ZN9rocsparseL19gebsrmvn_2xn_kernelILj128ELj3ELj64EdEEvi20rocsparse_direction_NS_24const_host_device_scalarIT2_EEPKiS6_PKS3_S8_S4_PS3_21rocsparse_index_base_b.num_vgpr, 35
	.set _ZN9rocsparseL19gebsrmvn_2xn_kernelILj128ELj3ELj64EdEEvi20rocsparse_direction_NS_24const_host_device_scalarIT2_EEPKiS6_PKS3_S8_S4_PS3_21rocsparse_index_base_b.num_agpr, 0
	.set _ZN9rocsparseL19gebsrmvn_2xn_kernelILj128ELj3ELj64EdEEvi20rocsparse_direction_NS_24const_host_device_scalarIT2_EEPKiS6_PKS3_S8_S4_PS3_21rocsparse_index_base_b.numbered_sgpr, 16
	.set _ZN9rocsparseL19gebsrmvn_2xn_kernelILj128ELj3ELj64EdEEvi20rocsparse_direction_NS_24const_host_device_scalarIT2_EEPKiS6_PKS3_S8_S4_PS3_21rocsparse_index_base_b.num_named_barrier, 0
	.set _ZN9rocsparseL19gebsrmvn_2xn_kernelILj128ELj3ELj64EdEEvi20rocsparse_direction_NS_24const_host_device_scalarIT2_EEPKiS6_PKS3_S8_S4_PS3_21rocsparse_index_base_b.private_seg_size, 0
	.set _ZN9rocsparseL19gebsrmvn_2xn_kernelILj128ELj3ELj64EdEEvi20rocsparse_direction_NS_24const_host_device_scalarIT2_EEPKiS6_PKS3_S8_S4_PS3_21rocsparse_index_base_b.uses_vcc, 1
	.set _ZN9rocsparseL19gebsrmvn_2xn_kernelILj128ELj3ELj64EdEEvi20rocsparse_direction_NS_24const_host_device_scalarIT2_EEPKiS6_PKS3_S8_S4_PS3_21rocsparse_index_base_b.uses_flat_scratch, 0
	.set _ZN9rocsparseL19gebsrmvn_2xn_kernelILj128ELj3ELj64EdEEvi20rocsparse_direction_NS_24const_host_device_scalarIT2_EEPKiS6_PKS3_S8_S4_PS3_21rocsparse_index_base_b.has_dyn_sized_stack, 0
	.set _ZN9rocsparseL19gebsrmvn_2xn_kernelILj128ELj3ELj64EdEEvi20rocsparse_direction_NS_24const_host_device_scalarIT2_EEPKiS6_PKS3_S8_S4_PS3_21rocsparse_index_base_b.has_recursion, 0
	.set _ZN9rocsparseL19gebsrmvn_2xn_kernelILj128ELj3ELj64EdEEvi20rocsparse_direction_NS_24const_host_device_scalarIT2_EEPKiS6_PKS3_S8_S4_PS3_21rocsparse_index_base_b.has_indirect_call, 0
	.section	.AMDGPU.csdata,"",@progbits
; Kernel info:
; codeLenInByte = 1844
; TotalNumSgprs: 18
; NumVgprs: 35
; ScratchSize: 0
; MemoryBound: 0
; FloatMode: 240
; IeeeMode: 1
; LDSByteSize: 0 bytes/workgroup (compile time only)
; SGPRBlocks: 0
; VGPRBlocks: 4
; NumSGPRsForWavesPerEU: 18
; NumVGPRsForWavesPerEU: 35
; Occupancy: 16
; WaveLimiterHint : 1
; COMPUTE_PGM_RSRC2:SCRATCH_EN: 0
; COMPUTE_PGM_RSRC2:USER_SGPR: 6
; COMPUTE_PGM_RSRC2:TRAP_HANDLER: 0
; COMPUTE_PGM_RSRC2:TGID_X_EN: 1
; COMPUTE_PGM_RSRC2:TGID_Y_EN: 0
; COMPUTE_PGM_RSRC2:TGID_Z_EN: 0
; COMPUTE_PGM_RSRC2:TIDIG_COMP_CNT: 0
	.section	.text._ZN9rocsparseL19gebsrmvn_2xn_kernelILj128ELj4ELj4EdEEvi20rocsparse_direction_NS_24const_host_device_scalarIT2_EEPKiS6_PKS3_S8_S4_PS3_21rocsparse_index_base_b,"axG",@progbits,_ZN9rocsparseL19gebsrmvn_2xn_kernelILj128ELj4ELj4EdEEvi20rocsparse_direction_NS_24const_host_device_scalarIT2_EEPKiS6_PKS3_S8_S4_PS3_21rocsparse_index_base_b,comdat
	.globl	_ZN9rocsparseL19gebsrmvn_2xn_kernelILj128ELj4ELj4EdEEvi20rocsparse_direction_NS_24const_host_device_scalarIT2_EEPKiS6_PKS3_S8_S4_PS3_21rocsparse_index_base_b ; -- Begin function _ZN9rocsparseL19gebsrmvn_2xn_kernelILj128ELj4ELj4EdEEvi20rocsparse_direction_NS_24const_host_device_scalarIT2_EEPKiS6_PKS3_S8_S4_PS3_21rocsparse_index_base_b
	.p2align	8
	.type	_ZN9rocsparseL19gebsrmvn_2xn_kernelILj128ELj4ELj4EdEEvi20rocsparse_direction_NS_24const_host_device_scalarIT2_EEPKiS6_PKS3_S8_S4_PS3_21rocsparse_index_base_b,@function
_ZN9rocsparseL19gebsrmvn_2xn_kernelILj128ELj4ELj4EdEEvi20rocsparse_direction_NS_24const_host_device_scalarIT2_EEPKiS6_PKS3_S8_S4_PS3_21rocsparse_index_base_b: ; @_ZN9rocsparseL19gebsrmvn_2xn_kernelILj128ELj4ELj4EdEEvi20rocsparse_direction_NS_24const_host_device_scalarIT2_EEPKiS6_PKS3_S8_S4_PS3_21rocsparse_index_base_b
; %bb.0:
	s_clause 0x2
	s_load_dwordx2 s[2:3], s[4:5], 0x40
	s_load_dwordx2 s[8:9], s[4:5], 0x8
	;; [unrolled: 1-line block ×3, first 2 shown]
	s_waitcnt lgkmcnt(0)
	s_bitcmp1_b32 s3, 0
	v_mov_b32_e32 v1, s8
	v_mov_b32_e32 v2, s9
	s_cselect_b32 s3, -1, 0
	s_and_b32 vcc_lo, exec_lo, s3
	s_xor_b32 s3, s3, -1
	s_cbranch_vccnz .LBB86_2
; %bb.1:
	v_mov_b32_e32 v1, s8
	v_mov_b32_e32 v2, s9
	flat_load_dwordx2 v[1:2], v[1:2]
.LBB86_2:
	v_mov_b32_e32 v4, s1
	v_mov_b32_e32 v3, s0
	s_andn2_b32 vcc_lo, exec_lo, s3
	s_cbranch_vccnz .LBB86_4
; %bb.3:
	v_mov_b32_e32 v4, s1
	v_mov_b32_e32 v3, s0
	flat_load_dwordx2 v[3:4], v[3:4]
.LBB86_4:
	s_waitcnt vmcnt(0) lgkmcnt(0)
	v_cmp_neq_f64_e32 vcc_lo, 0, v[1:2]
	v_cmp_neq_f64_e64 s0, 1.0, v[3:4]
	s_or_b32 s0, vcc_lo, s0
	s_and_saveexec_b32 s1, s0
	s_cbranch_execz .LBB86_23
; %bb.5:
	s_load_dwordx2 s[0:1], s[4:5], 0x0
	v_lshrrev_b32_e32 v5, 2, v0
	v_lshl_or_b32 v5, s6, 5, v5
	s_waitcnt lgkmcnt(0)
	v_cmp_gt_i32_e32 vcc_lo, s0, v5
	s_and_b32 exec_lo, exec_lo, vcc_lo
	s_cbranch_execz .LBB86_23
; %bb.6:
	s_load_dwordx8 s[8:15], s[4:5], 0x10
	v_ashrrev_i32_e32 v6, 31, v5
	v_and_b32_e32 v0, 3, v0
	s_cmp_lg_u32 s1, 0
	v_lshlrev_b64 v[6:7], 2, v[5:6]
	s_waitcnt lgkmcnt(0)
	v_add_co_u32 v6, vcc_lo, s8, v6
	v_add_co_ci_u32_e64 v7, null, s9, v7, vcc_lo
	global_load_dwordx2 v[6:7], v[6:7], off
	s_waitcnt vmcnt(0)
	v_subrev_nc_u32_e32 v6, s2, v6
	v_subrev_nc_u32_e32 v16, s2, v7
	v_add_nc_u32_e32 v8, v6, v0
	v_cmp_lt_i32_e64 s0, v8, v16
	s_cbranch_scc0 .LBB86_12
; %bb.7:
	v_mov_b32_e32 v6, 0
	v_mov_b32_e32 v10, 0
	v_mov_b32_e32 v7, 0
	v_mov_b32_e32 v11, 0
	s_and_saveexec_b32 s1, s0
	s_cbranch_execz .LBB86_11
; %bb.8:
	v_mov_b32_e32 v6, 0
	v_mov_b32_e32 v10, 0
	v_lshlrev_b32_e32 v12, 3, v8
	v_mov_b32_e32 v7, 0
	v_mov_b32_e32 v13, 0
	;; [unrolled: 1-line block ×4, first 2 shown]
	s_mov_b32 s3, 0
.LBB86_9:                               ; =>This Inner Loop Header: Depth=1
	v_ashrrev_i32_e32 v15, 31, v14
	v_mov_b32_e32 v20, v13
	v_lshlrev_b64 v[17:18], 2, v[14:15]
	v_add_nc_u32_e32 v14, 4, v14
	v_add_co_u32 v17, vcc_lo, s10, v17
	v_add_co_ci_u32_e64 v18, null, s11, v18, vcc_lo
	global_load_dword v9, v[17:18], off
	v_lshlrev_b64 v[17:18], 3, v[12:13]
	v_add_nc_u32_e32 v12, 32, v12
	v_add_co_u32 v37, vcc_lo, s12, v17
	v_add_co_ci_u32_e64 v38, null, s13, v18, vcc_lo
	s_waitcnt vmcnt(0)
	v_subrev_nc_u32_e32 v9, s2, v9
	v_lshlrev_b32_e32 v19, 2, v9
	v_lshlrev_b64 v[19:20], 3, v[19:20]
	v_add_co_u32 v29, vcc_lo, s14, v19
	v_add_co_ci_u32_e64 v30, null, s15, v20, vcc_lo
	v_cmp_ge_i32_e32 vcc_lo, v14, v16
	s_clause 0x1
	global_load_dwordx4 v[17:20], v[37:38], off offset:16
	global_load_dwordx4 v[21:24], v[37:38], off
	s_clause 0x1
	global_load_dwordx4 v[25:28], v[29:30], off
	global_load_dwordx4 v[29:32], v[29:30], off offset:16
	s_clause 0x1
	global_load_dwordx4 v[33:36], v[37:38], off offset:32
	global_load_dwordx4 v[37:40], v[37:38], off offset:48
	s_or_b32 s3, vcc_lo, s3
	s_waitcnt vmcnt(3)
	v_fma_f64 v[6:7], v[21:22], v[25:26], v[6:7]
	v_fma_f64 v[9:10], v[23:24], v[25:26], v[10:11]
	;; [unrolled: 1-line block ×4, first 2 shown]
	s_waitcnt vmcnt(1)
	v_fma_f64 v[6:7], v[33:34], v[29:30], v[6:7]
	v_fma_f64 v[9:10], v[35:36], v[29:30], v[9:10]
	s_waitcnt vmcnt(0)
	v_fma_f64 v[6:7], v[37:38], v[31:32], v[6:7]
	v_fma_f64 v[10:11], v[39:40], v[31:32], v[9:10]
	s_andn2_b32 exec_lo, exec_lo, s3
	s_cbranch_execnz .LBB86_9
; %bb.10:
	s_or_b32 exec_lo, exec_lo, s3
.LBB86_11:
	s_or_b32 exec_lo, exec_lo, s1
	s_cbranch_execz .LBB86_13
	s_branch .LBB86_18
.LBB86_12:
                                        ; implicit-def: $vgpr6_vgpr7
                                        ; implicit-def: $vgpr10_vgpr11
.LBB86_13:
	v_mov_b32_e32 v6, 0
	v_mov_b32_e32 v10, 0
	;; [unrolled: 1-line block ×4, first 2 shown]
	s_and_saveexec_b32 s1, s0
	s_cbranch_execz .LBB86_17
; %bb.14:
	v_mov_b32_e32 v6, 0
	v_mov_b32_e32 v10, 0
	v_lshlrev_b32_e32 v12, 3, v8
	v_mov_b32_e32 v7, 0
	v_mov_b32_e32 v11, 0
	;; [unrolled: 1-line block ×3, first 2 shown]
	s_mov_b32 s0, 0
.LBB86_15:                              ; =>This Inner Loop Header: Depth=1
	v_ashrrev_i32_e32 v9, 31, v8
	v_mov_b32_e32 v18, v13
	v_lshlrev_b64 v[14:15], 2, v[8:9]
	v_add_nc_u32_e32 v8, 4, v8
	v_add_co_u32 v14, vcc_lo, s10, v14
	v_add_co_ci_u32_e64 v15, null, s11, v15, vcc_lo
	global_load_dword v9, v[14:15], off
	v_lshlrev_b64 v[14:15], 3, v[12:13]
	v_add_nc_u32_e32 v12, 32, v12
	v_add_co_u32 v14, vcc_lo, s12, v14
	v_add_co_ci_u32_e64 v15, null, s13, v15, vcc_lo
	s_waitcnt vmcnt(0)
	v_subrev_nc_u32_e32 v9, s2, v9
	v_lshlrev_b32_e32 v17, 2, v9
	v_lshlrev_b64 v[21:22], 3, v[17:18]
	global_load_dwordx4 v[17:20], v[14:15], off offset:48
	v_add_co_u32 v37, vcc_lo, s14, v21
	v_add_co_ci_u32_e64 v38, null, s15, v22, vcc_lo
	s_clause 0x2
	global_load_dwordx4 v[21:24], v[14:15], off offset:32
	global_load_dwordx4 v[25:28], v[14:15], off offset:16
	global_load_dwordx4 v[29:32], v[14:15], off
	s_clause 0x1
	global_load_dwordx4 v[33:36], v[37:38], off
	global_load_dwordx4 v[37:40], v[37:38], off offset:16
	v_cmp_ge_i32_e32 vcc_lo, v8, v16
	s_or_b32 s0, vcc_lo, s0
	s_waitcnt vmcnt(1)
	v_fma_f64 v[6:7], v[29:30], v[33:34], v[6:7]
	v_fma_f64 v[9:10], v[21:22], v[33:34], v[10:11]
	;; [unrolled: 1-line block ×4, first 2 shown]
	s_waitcnt vmcnt(0)
	v_fma_f64 v[6:7], v[25:26], v[37:38], v[6:7]
	v_fma_f64 v[9:10], v[17:18], v[37:38], v[9:10]
	;; [unrolled: 1-line block ×4, first 2 shown]
	s_andn2_b32 exec_lo, exec_lo, s0
	s_cbranch_execnz .LBB86_15
; %bb.16:
	s_or_b32 exec_lo, exec_lo, s0
.LBB86_17:
	s_or_b32 exec_lo, exec_lo, s1
.LBB86_18:
	v_mbcnt_lo_u32_b32 v14, -1, 0
	v_xor_b32_e32 v8, 2, v14
	v_cmp_gt_i32_e32 vcc_lo, 32, v8
	v_cndmask_b32_e32 v8, v14, v8, vcc_lo
	v_lshlrev_b32_e32 v13, 2, v8
	ds_bpermute_b32 v8, v13, v6
	ds_bpermute_b32 v9, v13, v7
	ds_bpermute_b32 v12, v13, v10
	ds_bpermute_b32 v13, v13, v11
	s_waitcnt lgkmcnt(2)
	v_add_f64 v[6:7], v[6:7], v[8:9]
	v_xor_b32_e32 v8, 1, v14
	s_waitcnt lgkmcnt(0)
	v_add_f64 v[10:11], v[10:11], v[12:13]
	v_cmp_gt_i32_e32 vcc_lo, 32, v8
	v_cndmask_b32_e32 v8, v14, v8, vcc_lo
	v_cmp_eq_u32_e32 vcc_lo, 3, v0
	v_lshlrev_b32_e32 v13, 2, v8
	ds_bpermute_b32 v8, v13, v6
	ds_bpermute_b32 v9, v13, v7
	;; [unrolled: 1-line block ×4, first 2 shown]
	s_and_b32 exec_lo, exec_lo, vcc_lo
	s_cbranch_execz .LBB86_23
; %bb.19:
	s_waitcnt lgkmcnt(2)
	v_add_f64 v[8:9], v[6:7], v[8:9]
	s_waitcnt lgkmcnt(0)
	v_add_f64 v[6:7], v[10:11], v[12:13]
	s_load_dwordx2 s[0:1], s[4:5], 0x38
	s_mov_b32 s2, exec_lo
	v_cmpx_eq_f64_e32 0, v[3:4]
	s_xor_b32 s2, exec_lo, s2
	s_cbranch_execz .LBB86_21
; %bb.20:
	v_lshlrev_b32_e32 v0, 1, v5
	v_mul_f64 v[3:4], v[1:2], v[8:9]
	v_mul_f64 v[5:6], v[1:2], v[6:7]
                                        ; implicit-def: $vgpr8_vgpr9
	v_ashrrev_i32_e32 v1, 31, v0
	v_lshlrev_b64 v[0:1], 3, v[0:1]
	s_waitcnt lgkmcnt(0)
	v_add_co_u32 v0, vcc_lo, s0, v0
	v_add_co_ci_u32_e64 v1, null, s1, v1, vcc_lo
	global_store_dwordx4 v[0:1], v[3:6], off
                                        ; implicit-def: $vgpr5
                                        ; implicit-def: $vgpr1_vgpr2
                                        ; implicit-def: $vgpr3_vgpr4
                                        ; implicit-def: $vgpr6_vgpr7
.LBB86_21:
	s_andn2_saveexec_b32 s2, s2
	s_cbranch_execz .LBB86_23
; %bb.22:
	v_lshlrev_b32_e32 v10, 1, v5
	v_mul_f64 v[8:9], v[1:2], v[8:9]
	v_mul_f64 v[5:6], v[1:2], v[6:7]
	v_ashrrev_i32_e32 v11, 31, v10
	v_lshlrev_b64 v[10:11], 3, v[10:11]
	s_waitcnt lgkmcnt(0)
	v_add_co_u32 v14, vcc_lo, s0, v10
	v_add_co_ci_u32_e64 v15, null, s1, v11, vcc_lo
	global_load_dwordx4 v[10:13], v[14:15], off
	s_waitcnt vmcnt(0)
	v_fma_f64 v[0:1], v[3:4], v[10:11], v[8:9]
	v_fma_f64 v[2:3], v[3:4], v[12:13], v[5:6]
	global_store_dwordx4 v[14:15], v[0:3], off
.LBB86_23:
	s_endpgm
	.section	.rodata,"a",@progbits
	.p2align	6, 0x0
	.amdhsa_kernel _ZN9rocsparseL19gebsrmvn_2xn_kernelILj128ELj4ELj4EdEEvi20rocsparse_direction_NS_24const_host_device_scalarIT2_EEPKiS6_PKS3_S8_S4_PS3_21rocsparse_index_base_b
		.amdhsa_group_segment_fixed_size 0
		.amdhsa_private_segment_fixed_size 0
		.amdhsa_kernarg_size 72
		.amdhsa_user_sgpr_count 6
		.amdhsa_user_sgpr_private_segment_buffer 1
		.amdhsa_user_sgpr_dispatch_ptr 0
		.amdhsa_user_sgpr_queue_ptr 0
		.amdhsa_user_sgpr_kernarg_segment_ptr 1
		.amdhsa_user_sgpr_dispatch_id 0
		.amdhsa_user_sgpr_flat_scratch_init 0
		.amdhsa_user_sgpr_private_segment_size 0
		.amdhsa_wavefront_size32 1
		.amdhsa_uses_dynamic_stack 0
		.amdhsa_system_sgpr_private_segment_wavefront_offset 0
		.amdhsa_system_sgpr_workgroup_id_x 1
		.amdhsa_system_sgpr_workgroup_id_y 0
		.amdhsa_system_sgpr_workgroup_id_z 0
		.amdhsa_system_sgpr_workgroup_info 0
		.amdhsa_system_vgpr_workitem_id 0
		.amdhsa_next_free_vgpr 41
		.amdhsa_next_free_sgpr 16
		.amdhsa_reserve_vcc 1
		.amdhsa_reserve_flat_scratch 0
		.amdhsa_float_round_mode_32 0
		.amdhsa_float_round_mode_16_64 0
		.amdhsa_float_denorm_mode_32 3
		.amdhsa_float_denorm_mode_16_64 3
		.amdhsa_dx10_clamp 1
		.amdhsa_ieee_mode 1
		.amdhsa_fp16_overflow 0
		.amdhsa_workgroup_processor_mode 1
		.amdhsa_memory_ordered 1
		.amdhsa_forward_progress 1
		.amdhsa_shared_vgpr_count 0
		.amdhsa_exception_fp_ieee_invalid_op 0
		.amdhsa_exception_fp_denorm_src 0
		.amdhsa_exception_fp_ieee_div_zero 0
		.amdhsa_exception_fp_ieee_overflow 0
		.amdhsa_exception_fp_ieee_underflow 0
		.amdhsa_exception_fp_ieee_inexact 0
		.amdhsa_exception_int_div_zero 0
	.end_amdhsa_kernel
	.section	.text._ZN9rocsparseL19gebsrmvn_2xn_kernelILj128ELj4ELj4EdEEvi20rocsparse_direction_NS_24const_host_device_scalarIT2_EEPKiS6_PKS3_S8_S4_PS3_21rocsparse_index_base_b,"axG",@progbits,_ZN9rocsparseL19gebsrmvn_2xn_kernelILj128ELj4ELj4EdEEvi20rocsparse_direction_NS_24const_host_device_scalarIT2_EEPKiS6_PKS3_S8_S4_PS3_21rocsparse_index_base_b,comdat
.Lfunc_end86:
	.size	_ZN9rocsparseL19gebsrmvn_2xn_kernelILj128ELj4ELj4EdEEvi20rocsparse_direction_NS_24const_host_device_scalarIT2_EEPKiS6_PKS3_S8_S4_PS3_21rocsparse_index_base_b, .Lfunc_end86-_ZN9rocsparseL19gebsrmvn_2xn_kernelILj128ELj4ELj4EdEEvi20rocsparse_direction_NS_24const_host_device_scalarIT2_EEPKiS6_PKS3_S8_S4_PS3_21rocsparse_index_base_b
                                        ; -- End function
	.set _ZN9rocsparseL19gebsrmvn_2xn_kernelILj128ELj4ELj4EdEEvi20rocsparse_direction_NS_24const_host_device_scalarIT2_EEPKiS6_PKS3_S8_S4_PS3_21rocsparse_index_base_b.num_vgpr, 41
	.set _ZN9rocsparseL19gebsrmvn_2xn_kernelILj128ELj4ELj4EdEEvi20rocsparse_direction_NS_24const_host_device_scalarIT2_EEPKiS6_PKS3_S8_S4_PS3_21rocsparse_index_base_b.num_agpr, 0
	.set _ZN9rocsparseL19gebsrmvn_2xn_kernelILj128ELj4ELj4EdEEvi20rocsparse_direction_NS_24const_host_device_scalarIT2_EEPKiS6_PKS3_S8_S4_PS3_21rocsparse_index_base_b.numbered_sgpr, 16
	.set _ZN9rocsparseL19gebsrmvn_2xn_kernelILj128ELj4ELj4EdEEvi20rocsparse_direction_NS_24const_host_device_scalarIT2_EEPKiS6_PKS3_S8_S4_PS3_21rocsparse_index_base_b.num_named_barrier, 0
	.set _ZN9rocsparseL19gebsrmvn_2xn_kernelILj128ELj4ELj4EdEEvi20rocsparse_direction_NS_24const_host_device_scalarIT2_EEPKiS6_PKS3_S8_S4_PS3_21rocsparse_index_base_b.private_seg_size, 0
	.set _ZN9rocsparseL19gebsrmvn_2xn_kernelILj128ELj4ELj4EdEEvi20rocsparse_direction_NS_24const_host_device_scalarIT2_EEPKiS6_PKS3_S8_S4_PS3_21rocsparse_index_base_b.uses_vcc, 1
	.set _ZN9rocsparseL19gebsrmvn_2xn_kernelILj128ELj4ELj4EdEEvi20rocsparse_direction_NS_24const_host_device_scalarIT2_EEPKiS6_PKS3_S8_S4_PS3_21rocsparse_index_base_b.uses_flat_scratch, 0
	.set _ZN9rocsparseL19gebsrmvn_2xn_kernelILj128ELj4ELj4EdEEvi20rocsparse_direction_NS_24const_host_device_scalarIT2_EEPKiS6_PKS3_S8_S4_PS3_21rocsparse_index_base_b.has_dyn_sized_stack, 0
	.set _ZN9rocsparseL19gebsrmvn_2xn_kernelILj128ELj4ELj4EdEEvi20rocsparse_direction_NS_24const_host_device_scalarIT2_EEPKiS6_PKS3_S8_S4_PS3_21rocsparse_index_base_b.has_recursion, 0
	.set _ZN9rocsparseL19gebsrmvn_2xn_kernelILj128ELj4ELj4EdEEvi20rocsparse_direction_NS_24const_host_device_scalarIT2_EEPKiS6_PKS3_S8_S4_PS3_21rocsparse_index_base_b.has_indirect_call, 0
	.section	.AMDGPU.csdata,"",@progbits
; Kernel info:
; codeLenInByte = 1248
; TotalNumSgprs: 18
; NumVgprs: 41
; ScratchSize: 0
; MemoryBound: 1
; FloatMode: 240
; IeeeMode: 1
; LDSByteSize: 0 bytes/workgroup (compile time only)
; SGPRBlocks: 0
; VGPRBlocks: 5
; NumSGPRsForWavesPerEU: 18
; NumVGPRsForWavesPerEU: 41
; Occupancy: 16
; WaveLimiterHint : 1
; COMPUTE_PGM_RSRC2:SCRATCH_EN: 0
; COMPUTE_PGM_RSRC2:USER_SGPR: 6
; COMPUTE_PGM_RSRC2:TRAP_HANDLER: 0
; COMPUTE_PGM_RSRC2:TGID_X_EN: 1
; COMPUTE_PGM_RSRC2:TGID_Y_EN: 0
; COMPUTE_PGM_RSRC2:TGID_Z_EN: 0
; COMPUTE_PGM_RSRC2:TIDIG_COMP_CNT: 0
	.section	.text._ZN9rocsparseL19gebsrmvn_2xn_kernelILj128ELj4ELj8EdEEvi20rocsparse_direction_NS_24const_host_device_scalarIT2_EEPKiS6_PKS3_S8_S4_PS3_21rocsparse_index_base_b,"axG",@progbits,_ZN9rocsparseL19gebsrmvn_2xn_kernelILj128ELj4ELj8EdEEvi20rocsparse_direction_NS_24const_host_device_scalarIT2_EEPKiS6_PKS3_S8_S4_PS3_21rocsparse_index_base_b,comdat
	.globl	_ZN9rocsparseL19gebsrmvn_2xn_kernelILj128ELj4ELj8EdEEvi20rocsparse_direction_NS_24const_host_device_scalarIT2_EEPKiS6_PKS3_S8_S4_PS3_21rocsparse_index_base_b ; -- Begin function _ZN9rocsparseL19gebsrmvn_2xn_kernelILj128ELj4ELj8EdEEvi20rocsparse_direction_NS_24const_host_device_scalarIT2_EEPKiS6_PKS3_S8_S4_PS3_21rocsparse_index_base_b
	.p2align	8
	.type	_ZN9rocsparseL19gebsrmvn_2xn_kernelILj128ELj4ELj8EdEEvi20rocsparse_direction_NS_24const_host_device_scalarIT2_EEPKiS6_PKS3_S8_S4_PS3_21rocsparse_index_base_b,@function
_ZN9rocsparseL19gebsrmvn_2xn_kernelILj128ELj4ELj8EdEEvi20rocsparse_direction_NS_24const_host_device_scalarIT2_EEPKiS6_PKS3_S8_S4_PS3_21rocsparse_index_base_b: ; @_ZN9rocsparseL19gebsrmvn_2xn_kernelILj128ELj4ELj8EdEEvi20rocsparse_direction_NS_24const_host_device_scalarIT2_EEPKiS6_PKS3_S8_S4_PS3_21rocsparse_index_base_b
; %bb.0:
	s_clause 0x2
	s_load_dwordx2 s[2:3], s[4:5], 0x40
	s_load_dwordx2 s[8:9], s[4:5], 0x8
	;; [unrolled: 1-line block ×3, first 2 shown]
	s_waitcnt lgkmcnt(0)
	s_bitcmp1_b32 s3, 0
	v_mov_b32_e32 v1, s8
	v_mov_b32_e32 v2, s9
	s_cselect_b32 s3, -1, 0
	s_and_b32 vcc_lo, exec_lo, s3
	s_xor_b32 s3, s3, -1
	s_cbranch_vccnz .LBB87_2
; %bb.1:
	v_mov_b32_e32 v1, s8
	v_mov_b32_e32 v2, s9
	flat_load_dwordx2 v[1:2], v[1:2]
.LBB87_2:
	v_mov_b32_e32 v4, s1
	v_mov_b32_e32 v3, s0
	s_andn2_b32 vcc_lo, exec_lo, s3
	s_cbranch_vccnz .LBB87_4
; %bb.3:
	v_mov_b32_e32 v4, s1
	v_mov_b32_e32 v3, s0
	flat_load_dwordx2 v[3:4], v[3:4]
.LBB87_4:
	s_waitcnt vmcnt(0) lgkmcnt(0)
	v_cmp_neq_f64_e32 vcc_lo, 0, v[1:2]
	v_cmp_neq_f64_e64 s0, 1.0, v[3:4]
	s_or_b32 s0, vcc_lo, s0
	s_and_saveexec_b32 s1, s0
	s_cbranch_execz .LBB87_23
; %bb.5:
	s_load_dwordx2 s[0:1], s[4:5], 0x0
	v_lshrrev_b32_e32 v5, 3, v0
	v_lshl_or_b32 v5, s6, 4, v5
	s_waitcnt lgkmcnt(0)
	v_cmp_gt_i32_e32 vcc_lo, s0, v5
	s_and_b32 exec_lo, exec_lo, vcc_lo
	s_cbranch_execz .LBB87_23
; %bb.6:
	s_load_dwordx8 s[8:15], s[4:5], 0x10
	v_ashrrev_i32_e32 v6, 31, v5
	v_and_b32_e32 v0, 7, v0
	s_cmp_lg_u32 s1, 0
	v_lshlrev_b64 v[6:7], 2, v[5:6]
	s_waitcnt lgkmcnt(0)
	v_add_co_u32 v6, vcc_lo, s8, v6
	v_add_co_ci_u32_e64 v7, null, s9, v7, vcc_lo
	global_load_dwordx2 v[6:7], v[6:7], off
	s_waitcnt vmcnt(0)
	v_subrev_nc_u32_e32 v6, s2, v6
	v_subrev_nc_u32_e32 v15, s2, v7
	v_add_nc_u32_e32 v10, v6, v0
	v_cmp_lt_i32_e64 s0, v10, v15
	s_cbranch_scc0 .LBB87_12
; %bb.7:
	v_mov_b32_e32 v6, 0
	v_mov_b32_e32 v8, 0
	;; [unrolled: 1-line block ×4, first 2 shown]
	s_and_saveexec_b32 s1, s0
	s_cbranch_execz .LBB87_11
; %bb.8:
	v_mov_b32_e32 v6, 0
	v_mov_b32_e32 v8, 0
	v_lshlrev_b32_e32 v11, 3, v10
	v_mov_b32_e32 v7, 0
	v_mov_b32_e32 v12, 0
	;; [unrolled: 1-line block ×4, first 2 shown]
	s_mov_b32 s3, 0
.LBB87_9:                               ; =>This Inner Loop Header: Depth=1
	v_ashrrev_i32_e32 v14, 31, v13
	v_mov_b32_e32 v19, v12
	v_lshlrev_b64 v[16:17], 2, v[13:14]
	v_add_nc_u32_e32 v13, 8, v13
	v_add_co_u32 v16, vcc_lo, s10, v16
	v_add_co_ci_u32_e64 v17, null, s11, v17, vcc_lo
	global_load_dword v14, v[16:17], off
	v_lshlrev_b64 v[16:17], 3, v[11:12]
	v_add_nc_u32_e32 v11, 64, v11
	v_add_co_u32 v36, vcc_lo, s12, v16
	v_add_co_ci_u32_e64 v37, null, s13, v17, vcc_lo
	s_waitcnt vmcnt(0)
	v_subrev_nc_u32_e32 v14, s2, v14
	v_lshlrev_b32_e32 v18, 2, v14
	v_lshlrev_b64 v[18:19], 3, v[18:19]
	v_add_co_u32 v28, vcc_lo, s14, v18
	v_add_co_ci_u32_e64 v29, null, s15, v19, vcc_lo
	v_cmp_ge_i32_e32 vcc_lo, v13, v15
	s_clause 0x1
	global_load_dwordx4 v[16:19], v[36:37], off offset:16
	global_load_dwordx4 v[20:23], v[36:37], off
	s_clause 0x1
	global_load_dwordx4 v[24:27], v[28:29], off
	global_load_dwordx4 v[28:31], v[28:29], off offset:16
	s_clause 0x1
	global_load_dwordx4 v[32:35], v[36:37], off offset:32
	global_load_dwordx4 v[36:39], v[36:37], off offset:48
	s_or_b32 s3, vcc_lo, s3
	s_waitcnt vmcnt(3)
	v_fma_f64 v[6:7], v[20:21], v[24:25], v[6:7]
	v_fma_f64 v[8:9], v[22:23], v[24:25], v[8:9]
	;; [unrolled: 1-line block ×4, first 2 shown]
	s_waitcnt vmcnt(1)
	v_fma_f64 v[6:7], v[32:33], v[28:29], v[6:7]
	v_fma_f64 v[8:9], v[34:35], v[28:29], v[8:9]
	s_waitcnt vmcnt(0)
	v_fma_f64 v[6:7], v[36:37], v[30:31], v[6:7]
	v_fma_f64 v[8:9], v[38:39], v[30:31], v[8:9]
	s_andn2_b32 exec_lo, exec_lo, s3
	s_cbranch_execnz .LBB87_9
; %bb.10:
	s_or_b32 exec_lo, exec_lo, s3
.LBB87_11:
	s_or_b32 exec_lo, exec_lo, s1
	s_cbranch_execz .LBB87_13
	s_branch .LBB87_18
.LBB87_12:
                                        ; implicit-def: $vgpr6_vgpr7
                                        ; implicit-def: $vgpr8_vgpr9
.LBB87_13:
	v_mov_b32_e32 v6, 0
	v_mov_b32_e32 v8, 0
	;; [unrolled: 1-line block ×4, first 2 shown]
	s_and_saveexec_b32 s1, s0
	s_cbranch_execz .LBB87_17
; %bb.14:
	v_mov_b32_e32 v6, 0
	v_mov_b32_e32 v8, 0
	v_lshlrev_b32_e32 v12, 3, v10
	v_mov_b32_e32 v7, 0
	v_mov_b32_e32 v9, 0
	;; [unrolled: 1-line block ×3, first 2 shown]
	s_mov_b32 s0, 0
.LBB87_15:                              ; =>This Inner Loop Header: Depth=1
	v_ashrrev_i32_e32 v11, 31, v10
	v_mov_b32_e32 v19, v13
	v_lshlrev_b64 v[16:17], 2, v[10:11]
	v_add_nc_u32_e32 v10, 8, v10
	v_add_co_u32 v16, vcc_lo, s10, v16
	v_add_co_ci_u32_e64 v17, null, s11, v17, vcc_lo
	global_load_dword v11, v[16:17], off
	v_lshlrev_b64 v[16:17], 3, v[12:13]
	v_add_nc_u32_e32 v12, 64, v12
	v_add_co_u32 v28, vcc_lo, s12, v16
	v_add_co_ci_u32_e64 v29, null, s13, v17, vcc_lo
	s_waitcnt vmcnt(0)
	v_subrev_nc_u32_e32 v11, s2, v11
	v_lshlrev_b32_e32 v18, 2, v11
	v_lshlrev_b64 v[20:21], 3, v[18:19]
	global_load_dwordx4 v[16:19], v[28:29], off offset:48
	v_add_co_u32 v36, vcc_lo, s14, v20
	v_add_co_ci_u32_e64 v37, null, s15, v21, vcc_lo
	s_clause 0x2
	global_load_dwordx4 v[20:23], v[28:29], off offset:32
	global_load_dwordx4 v[24:27], v[28:29], off offset:16
	global_load_dwordx4 v[28:31], v[28:29], off
	s_clause 0x1
	global_load_dwordx4 v[32:35], v[36:37], off
	global_load_dwordx4 v[36:39], v[36:37], off offset:16
	v_cmp_ge_i32_e32 vcc_lo, v10, v15
	s_or_b32 s0, vcc_lo, s0
	s_waitcnt vmcnt(1)
	v_fma_f64 v[6:7], v[28:29], v[32:33], v[6:7]
	v_fma_f64 v[8:9], v[20:21], v[32:33], v[8:9]
	;; [unrolled: 1-line block ×4, first 2 shown]
	s_waitcnt vmcnt(0)
	v_fma_f64 v[6:7], v[24:25], v[36:37], v[6:7]
	v_fma_f64 v[8:9], v[16:17], v[36:37], v[8:9]
	;; [unrolled: 1-line block ×4, first 2 shown]
	s_andn2_b32 exec_lo, exec_lo, s0
	s_cbranch_execnz .LBB87_15
; %bb.16:
	s_or_b32 exec_lo, exec_lo, s0
.LBB87_17:
	s_or_b32 exec_lo, exec_lo, s1
.LBB87_18:
	v_mbcnt_lo_u32_b32 v14, -1, 0
	v_xor_b32_e32 v10, 4, v14
	v_cmp_gt_i32_e32 vcc_lo, 32, v10
	v_cndmask_b32_e32 v10, v14, v10, vcc_lo
	v_lshlrev_b32_e32 v13, 2, v10
	ds_bpermute_b32 v10, v13, v6
	ds_bpermute_b32 v11, v13, v7
	ds_bpermute_b32 v12, v13, v8
	ds_bpermute_b32 v13, v13, v9
	s_waitcnt lgkmcnt(2)
	v_add_f64 v[6:7], v[6:7], v[10:11]
	v_xor_b32_e32 v10, 2, v14
	s_waitcnt lgkmcnt(0)
	v_add_f64 v[8:9], v[8:9], v[12:13]
	v_cmp_gt_i32_e32 vcc_lo, 32, v10
	v_cndmask_b32_e32 v10, v14, v10, vcc_lo
	v_lshlrev_b32_e32 v13, 2, v10
	ds_bpermute_b32 v10, v13, v6
	ds_bpermute_b32 v11, v13, v7
	;; [unrolled: 1-line block ×4, first 2 shown]
	s_waitcnt lgkmcnt(2)
	v_add_f64 v[6:7], v[6:7], v[10:11]
	s_waitcnt lgkmcnt(0)
	v_add_f64 v[10:11], v[8:9], v[12:13]
	v_xor_b32_e32 v8, 1, v14
	v_cmp_gt_i32_e32 vcc_lo, 32, v8
	v_cndmask_b32_e32 v8, v14, v8, vcc_lo
	v_cmp_eq_u32_e32 vcc_lo, 7, v0
	v_lshlrev_b32_e32 v13, 2, v8
	ds_bpermute_b32 v8, v13, v6
	ds_bpermute_b32 v9, v13, v7
	;; [unrolled: 1-line block ×4, first 2 shown]
	s_and_b32 exec_lo, exec_lo, vcc_lo
	s_cbranch_execz .LBB87_23
; %bb.19:
	s_waitcnt lgkmcnt(2)
	v_add_f64 v[8:9], v[6:7], v[8:9]
	s_waitcnt lgkmcnt(0)
	v_add_f64 v[6:7], v[10:11], v[12:13]
	s_load_dwordx2 s[0:1], s[4:5], 0x38
	s_mov_b32 s2, exec_lo
	v_cmpx_eq_f64_e32 0, v[3:4]
	s_xor_b32 s2, exec_lo, s2
	s_cbranch_execz .LBB87_21
; %bb.20:
	v_lshlrev_b32_e32 v0, 1, v5
	v_mul_f64 v[3:4], v[1:2], v[8:9]
	v_mul_f64 v[5:6], v[1:2], v[6:7]
                                        ; implicit-def: $vgpr8_vgpr9
	v_ashrrev_i32_e32 v1, 31, v0
	v_lshlrev_b64 v[0:1], 3, v[0:1]
	s_waitcnt lgkmcnt(0)
	v_add_co_u32 v0, vcc_lo, s0, v0
	v_add_co_ci_u32_e64 v1, null, s1, v1, vcc_lo
	global_store_dwordx4 v[0:1], v[3:6], off
                                        ; implicit-def: $vgpr5
                                        ; implicit-def: $vgpr1_vgpr2
                                        ; implicit-def: $vgpr3_vgpr4
                                        ; implicit-def: $vgpr6_vgpr7
.LBB87_21:
	s_andn2_saveexec_b32 s2, s2
	s_cbranch_execz .LBB87_23
; %bb.22:
	v_lshlrev_b32_e32 v10, 1, v5
	v_mul_f64 v[8:9], v[1:2], v[8:9]
	v_mul_f64 v[5:6], v[1:2], v[6:7]
	v_ashrrev_i32_e32 v11, 31, v10
	v_lshlrev_b64 v[10:11], 3, v[10:11]
	s_waitcnt lgkmcnt(0)
	v_add_co_u32 v14, vcc_lo, s0, v10
	v_add_co_ci_u32_e64 v15, null, s1, v11, vcc_lo
	global_load_dwordx4 v[10:13], v[14:15], off
	s_waitcnt vmcnt(0)
	v_fma_f64 v[0:1], v[3:4], v[10:11], v[8:9]
	v_fma_f64 v[2:3], v[3:4], v[12:13], v[5:6]
	global_store_dwordx4 v[14:15], v[0:3], off
.LBB87_23:
	s_endpgm
	.section	.rodata,"a",@progbits
	.p2align	6, 0x0
	.amdhsa_kernel _ZN9rocsparseL19gebsrmvn_2xn_kernelILj128ELj4ELj8EdEEvi20rocsparse_direction_NS_24const_host_device_scalarIT2_EEPKiS6_PKS3_S8_S4_PS3_21rocsparse_index_base_b
		.amdhsa_group_segment_fixed_size 0
		.amdhsa_private_segment_fixed_size 0
		.amdhsa_kernarg_size 72
		.amdhsa_user_sgpr_count 6
		.amdhsa_user_sgpr_private_segment_buffer 1
		.amdhsa_user_sgpr_dispatch_ptr 0
		.amdhsa_user_sgpr_queue_ptr 0
		.amdhsa_user_sgpr_kernarg_segment_ptr 1
		.amdhsa_user_sgpr_dispatch_id 0
		.amdhsa_user_sgpr_flat_scratch_init 0
		.amdhsa_user_sgpr_private_segment_size 0
		.amdhsa_wavefront_size32 1
		.amdhsa_uses_dynamic_stack 0
		.amdhsa_system_sgpr_private_segment_wavefront_offset 0
		.amdhsa_system_sgpr_workgroup_id_x 1
		.amdhsa_system_sgpr_workgroup_id_y 0
		.amdhsa_system_sgpr_workgroup_id_z 0
		.amdhsa_system_sgpr_workgroup_info 0
		.amdhsa_system_vgpr_workitem_id 0
		.amdhsa_next_free_vgpr 40
		.amdhsa_next_free_sgpr 16
		.amdhsa_reserve_vcc 1
		.amdhsa_reserve_flat_scratch 0
		.amdhsa_float_round_mode_32 0
		.amdhsa_float_round_mode_16_64 0
		.amdhsa_float_denorm_mode_32 3
		.amdhsa_float_denorm_mode_16_64 3
		.amdhsa_dx10_clamp 1
		.amdhsa_ieee_mode 1
		.amdhsa_fp16_overflow 0
		.amdhsa_workgroup_processor_mode 1
		.amdhsa_memory_ordered 1
		.amdhsa_forward_progress 1
		.amdhsa_shared_vgpr_count 0
		.amdhsa_exception_fp_ieee_invalid_op 0
		.amdhsa_exception_fp_denorm_src 0
		.amdhsa_exception_fp_ieee_div_zero 0
		.amdhsa_exception_fp_ieee_overflow 0
		.amdhsa_exception_fp_ieee_underflow 0
		.amdhsa_exception_fp_ieee_inexact 0
		.amdhsa_exception_int_div_zero 0
	.end_amdhsa_kernel
	.section	.text._ZN9rocsparseL19gebsrmvn_2xn_kernelILj128ELj4ELj8EdEEvi20rocsparse_direction_NS_24const_host_device_scalarIT2_EEPKiS6_PKS3_S8_S4_PS3_21rocsparse_index_base_b,"axG",@progbits,_ZN9rocsparseL19gebsrmvn_2xn_kernelILj128ELj4ELj8EdEEvi20rocsparse_direction_NS_24const_host_device_scalarIT2_EEPKiS6_PKS3_S8_S4_PS3_21rocsparse_index_base_b,comdat
.Lfunc_end87:
	.size	_ZN9rocsparseL19gebsrmvn_2xn_kernelILj128ELj4ELj8EdEEvi20rocsparse_direction_NS_24const_host_device_scalarIT2_EEPKiS6_PKS3_S8_S4_PS3_21rocsparse_index_base_b, .Lfunc_end87-_ZN9rocsparseL19gebsrmvn_2xn_kernelILj128ELj4ELj8EdEEvi20rocsparse_direction_NS_24const_host_device_scalarIT2_EEPKiS6_PKS3_S8_S4_PS3_21rocsparse_index_base_b
                                        ; -- End function
	.set _ZN9rocsparseL19gebsrmvn_2xn_kernelILj128ELj4ELj8EdEEvi20rocsparse_direction_NS_24const_host_device_scalarIT2_EEPKiS6_PKS3_S8_S4_PS3_21rocsparse_index_base_b.num_vgpr, 40
	.set _ZN9rocsparseL19gebsrmvn_2xn_kernelILj128ELj4ELj8EdEEvi20rocsparse_direction_NS_24const_host_device_scalarIT2_EEPKiS6_PKS3_S8_S4_PS3_21rocsparse_index_base_b.num_agpr, 0
	.set _ZN9rocsparseL19gebsrmvn_2xn_kernelILj128ELj4ELj8EdEEvi20rocsparse_direction_NS_24const_host_device_scalarIT2_EEPKiS6_PKS3_S8_S4_PS3_21rocsparse_index_base_b.numbered_sgpr, 16
	.set _ZN9rocsparseL19gebsrmvn_2xn_kernelILj128ELj4ELj8EdEEvi20rocsparse_direction_NS_24const_host_device_scalarIT2_EEPKiS6_PKS3_S8_S4_PS3_21rocsparse_index_base_b.num_named_barrier, 0
	.set _ZN9rocsparseL19gebsrmvn_2xn_kernelILj128ELj4ELj8EdEEvi20rocsparse_direction_NS_24const_host_device_scalarIT2_EEPKiS6_PKS3_S8_S4_PS3_21rocsparse_index_base_b.private_seg_size, 0
	.set _ZN9rocsparseL19gebsrmvn_2xn_kernelILj128ELj4ELj8EdEEvi20rocsparse_direction_NS_24const_host_device_scalarIT2_EEPKiS6_PKS3_S8_S4_PS3_21rocsparse_index_base_b.uses_vcc, 1
	.set _ZN9rocsparseL19gebsrmvn_2xn_kernelILj128ELj4ELj8EdEEvi20rocsparse_direction_NS_24const_host_device_scalarIT2_EEPKiS6_PKS3_S8_S4_PS3_21rocsparse_index_base_b.uses_flat_scratch, 0
	.set _ZN9rocsparseL19gebsrmvn_2xn_kernelILj128ELj4ELj8EdEEvi20rocsparse_direction_NS_24const_host_device_scalarIT2_EEPKiS6_PKS3_S8_S4_PS3_21rocsparse_index_base_b.has_dyn_sized_stack, 0
	.set _ZN9rocsparseL19gebsrmvn_2xn_kernelILj128ELj4ELj8EdEEvi20rocsparse_direction_NS_24const_host_device_scalarIT2_EEPKiS6_PKS3_S8_S4_PS3_21rocsparse_index_base_b.has_recursion, 0
	.set _ZN9rocsparseL19gebsrmvn_2xn_kernelILj128ELj4ELj8EdEEvi20rocsparse_direction_NS_24const_host_device_scalarIT2_EEPKiS6_PKS3_S8_S4_PS3_21rocsparse_index_base_b.has_indirect_call, 0
	.section	.AMDGPU.csdata,"",@progbits
; Kernel info:
; codeLenInByte = 1320
; TotalNumSgprs: 18
; NumVgprs: 40
; ScratchSize: 0
; MemoryBound: 1
; FloatMode: 240
; IeeeMode: 1
; LDSByteSize: 0 bytes/workgroup (compile time only)
; SGPRBlocks: 0
; VGPRBlocks: 4
; NumSGPRsForWavesPerEU: 18
; NumVGPRsForWavesPerEU: 40
; Occupancy: 16
; WaveLimiterHint : 1
; COMPUTE_PGM_RSRC2:SCRATCH_EN: 0
; COMPUTE_PGM_RSRC2:USER_SGPR: 6
; COMPUTE_PGM_RSRC2:TRAP_HANDLER: 0
; COMPUTE_PGM_RSRC2:TGID_X_EN: 1
; COMPUTE_PGM_RSRC2:TGID_Y_EN: 0
; COMPUTE_PGM_RSRC2:TGID_Z_EN: 0
; COMPUTE_PGM_RSRC2:TIDIG_COMP_CNT: 0
	.section	.text._ZN9rocsparseL19gebsrmvn_2xn_kernelILj128ELj4ELj16EdEEvi20rocsparse_direction_NS_24const_host_device_scalarIT2_EEPKiS6_PKS3_S8_S4_PS3_21rocsparse_index_base_b,"axG",@progbits,_ZN9rocsparseL19gebsrmvn_2xn_kernelILj128ELj4ELj16EdEEvi20rocsparse_direction_NS_24const_host_device_scalarIT2_EEPKiS6_PKS3_S8_S4_PS3_21rocsparse_index_base_b,comdat
	.globl	_ZN9rocsparseL19gebsrmvn_2xn_kernelILj128ELj4ELj16EdEEvi20rocsparse_direction_NS_24const_host_device_scalarIT2_EEPKiS6_PKS3_S8_S4_PS3_21rocsparse_index_base_b ; -- Begin function _ZN9rocsparseL19gebsrmvn_2xn_kernelILj128ELj4ELj16EdEEvi20rocsparse_direction_NS_24const_host_device_scalarIT2_EEPKiS6_PKS3_S8_S4_PS3_21rocsparse_index_base_b
	.p2align	8
	.type	_ZN9rocsparseL19gebsrmvn_2xn_kernelILj128ELj4ELj16EdEEvi20rocsparse_direction_NS_24const_host_device_scalarIT2_EEPKiS6_PKS3_S8_S4_PS3_21rocsparse_index_base_b,@function
_ZN9rocsparseL19gebsrmvn_2xn_kernelILj128ELj4ELj16EdEEvi20rocsparse_direction_NS_24const_host_device_scalarIT2_EEPKiS6_PKS3_S8_S4_PS3_21rocsparse_index_base_b: ; @_ZN9rocsparseL19gebsrmvn_2xn_kernelILj128ELj4ELj16EdEEvi20rocsparse_direction_NS_24const_host_device_scalarIT2_EEPKiS6_PKS3_S8_S4_PS3_21rocsparse_index_base_b
; %bb.0:
	s_clause 0x2
	s_load_dwordx2 s[2:3], s[4:5], 0x40
	s_load_dwordx2 s[8:9], s[4:5], 0x8
	;; [unrolled: 1-line block ×3, first 2 shown]
	s_waitcnt lgkmcnt(0)
	s_bitcmp1_b32 s3, 0
	v_mov_b32_e32 v1, s8
	v_mov_b32_e32 v2, s9
	s_cselect_b32 s3, -1, 0
	s_and_b32 vcc_lo, exec_lo, s3
	s_xor_b32 s3, s3, -1
	s_cbranch_vccnz .LBB88_2
; %bb.1:
	v_mov_b32_e32 v1, s8
	v_mov_b32_e32 v2, s9
	flat_load_dwordx2 v[1:2], v[1:2]
.LBB88_2:
	v_mov_b32_e32 v4, s1
	v_mov_b32_e32 v3, s0
	s_andn2_b32 vcc_lo, exec_lo, s3
	s_cbranch_vccnz .LBB88_4
; %bb.3:
	v_mov_b32_e32 v4, s1
	v_mov_b32_e32 v3, s0
	flat_load_dwordx2 v[3:4], v[3:4]
.LBB88_4:
	s_waitcnt vmcnt(0) lgkmcnt(0)
	v_cmp_neq_f64_e32 vcc_lo, 0, v[1:2]
	v_cmp_neq_f64_e64 s0, 1.0, v[3:4]
	s_or_b32 s0, vcc_lo, s0
	s_and_saveexec_b32 s1, s0
	s_cbranch_execz .LBB88_23
; %bb.5:
	s_load_dwordx2 s[0:1], s[4:5], 0x0
	v_lshrrev_b32_e32 v5, 4, v0
	v_lshl_or_b32 v5, s6, 3, v5
	s_waitcnt lgkmcnt(0)
	v_cmp_gt_i32_e32 vcc_lo, s0, v5
	s_and_b32 exec_lo, exec_lo, vcc_lo
	s_cbranch_execz .LBB88_23
; %bb.6:
	s_load_dwordx8 s[8:15], s[4:5], 0x10
	v_ashrrev_i32_e32 v6, 31, v5
	v_and_b32_e32 v0, 15, v0
	s_cmp_lg_u32 s1, 0
	v_lshlrev_b64 v[6:7], 2, v[5:6]
	s_waitcnt lgkmcnt(0)
	v_add_co_u32 v6, vcc_lo, s8, v6
	v_add_co_ci_u32_e64 v7, null, s9, v7, vcc_lo
	global_load_dwordx2 v[6:7], v[6:7], off
	s_waitcnt vmcnt(0)
	v_subrev_nc_u32_e32 v6, s2, v6
	v_subrev_nc_u32_e32 v15, s2, v7
	v_add_nc_u32_e32 v10, v6, v0
	v_cmp_lt_i32_e64 s0, v10, v15
	s_cbranch_scc0 .LBB88_12
; %bb.7:
	v_mov_b32_e32 v6, 0
	v_mov_b32_e32 v8, 0
	;; [unrolled: 1-line block ×4, first 2 shown]
	s_and_saveexec_b32 s1, s0
	s_cbranch_execz .LBB88_11
; %bb.8:
	v_mov_b32_e32 v6, 0
	v_mov_b32_e32 v8, 0
	v_lshlrev_b32_e32 v11, 3, v10
	v_mov_b32_e32 v7, 0
	v_mov_b32_e32 v12, 0
	;; [unrolled: 1-line block ×4, first 2 shown]
	s_mov_b32 s3, 0
.LBB88_9:                               ; =>This Inner Loop Header: Depth=1
	v_ashrrev_i32_e32 v14, 31, v13
	v_mov_b32_e32 v19, v12
	v_lshlrev_b64 v[16:17], 2, v[13:14]
	v_add_nc_u32_e32 v13, 16, v13
	v_add_co_u32 v16, vcc_lo, s10, v16
	v_add_co_ci_u32_e64 v17, null, s11, v17, vcc_lo
	global_load_dword v14, v[16:17], off
	v_lshlrev_b64 v[16:17], 3, v[11:12]
	v_add_nc_u32_e32 v11, 0x80, v11
	v_add_co_u32 v36, vcc_lo, s12, v16
	v_add_co_ci_u32_e64 v37, null, s13, v17, vcc_lo
	s_waitcnt vmcnt(0)
	v_subrev_nc_u32_e32 v14, s2, v14
	v_lshlrev_b32_e32 v18, 2, v14
	v_lshlrev_b64 v[18:19], 3, v[18:19]
	v_add_co_u32 v28, vcc_lo, s14, v18
	v_add_co_ci_u32_e64 v29, null, s15, v19, vcc_lo
	v_cmp_ge_i32_e32 vcc_lo, v13, v15
	s_clause 0x1
	global_load_dwordx4 v[16:19], v[36:37], off offset:16
	global_load_dwordx4 v[20:23], v[36:37], off
	s_clause 0x1
	global_load_dwordx4 v[24:27], v[28:29], off
	global_load_dwordx4 v[28:31], v[28:29], off offset:16
	s_clause 0x1
	global_load_dwordx4 v[32:35], v[36:37], off offset:32
	global_load_dwordx4 v[36:39], v[36:37], off offset:48
	s_or_b32 s3, vcc_lo, s3
	s_waitcnt vmcnt(3)
	v_fma_f64 v[6:7], v[20:21], v[24:25], v[6:7]
	v_fma_f64 v[8:9], v[22:23], v[24:25], v[8:9]
	v_fma_f64 v[6:7], v[16:17], v[26:27], v[6:7]
	v_fma_f64 v[8:9], v[18:19], v[26:27], v[8:9]
	s_waitcnt vmcnt(1)
	v_fma_f64 v[6:7], v[32:33], v[28:29], v[6:7]
	v_fma_f64 v[8:9], v[34:35], v[28:29], v[8:9]
	s_waitcnt vmcnt(0)
	v_fma_f64 v[6:7], v[36:37], v[30:31], v[6:7]
	v_fma_f64 v[8:9], v[38:39], v[30:31], v[8:9]
	s_andn2_b32 exec_lo, exec_lo, s3
	s_cbranch_execnz .LBB88_9
; %bb.10:
	s_or_b32 exec_lo, exec_lo, s3
.LBB88_11:
	s_or_b32 exec_lo, exec_lo, s1
	s_cbranch_execz .LBB88_13
	s_branch .LBB88_18
.LBB88_12:
                                        ; implicit-def: $vgpr6_vgpr7
                                        ; implicit-def: $vgpr8_vgpr9
.LBB88_13:
	v_mov_b32_e32 v6, 0
	v_mov_b32_e32 v8, 0
	;; [unrolled: 1-line block ×4, first 2 shown]
	s_and_saveexec_b32 s1, s0
	s_cbranch_execz .LBB88_17
; %bb.14:
	v_mov_b32_e32 v6, 0
	v_mov_b32_e32 v8, 0
	v_lshlrev_b32_e32 v12, 3, v10
	v_mov_b32_e32 v7, 0
	v_mov_b32_e32 v9, 0
	;; [unrolled: 1-line block ×3, first 2 shown]
	s_mov_b32 s0, 0
.LBB88_15:                              ; =>This Inner Loop Header: Depth=1
	v_ashrrev_i32_e32 v11, 31, v10
	v_mov_b32_e32 v19, v13
	v_lshlrev_b64 v[16:17], 2, v[10:11]
	v_add_nc_u32_e32 v10, 16, v10
	v_add_co_u32 v16, vcc_lo, s10, v16
	v_add_co_ci_u32_e64 v17, null, s11, v17, vcc_lo
	global_load_dword v11, v[16:17], off
	v_lshlrev_b64 v[16:17], 3, v[12:13]
	v_add_nc_u32_e32 v12, 0x80, v12
	v_add_co_u32 v28, vcc_lo, s12, v16
	v_add_co_ci_u32_e64 v29, null, s13, v17, vcc_lo
	s_waitcnt vmcnt(0)
	v_subrev_nc_u32_e32 v11, s2, v11
	v_lshlrev_b32_e32 v18, 2, v11
	v_lshlrev_b64 v[20:21], 3, v[18:19]
	global_load_dwordx4 v[16:19], v[28:29], off offset:48
	v_add_co_u32 v36, vcc_lo, s14, v20
	v_add_co_ci_u32_e64 v37, null, s15, v21, vcc_lo
	s_clause 0x2
	global_load_dwordx4 v[20:23], v[28:29], off offset:32
	global_load_dwordx4 v[24:27], v[28:29], off offset:16
	global_load_dwordx4 v[28:31], v[28:29], off
	s_clause 0x1
	global_load_dwordx4 v[32:35], v[36:37], off
	global_load_dwordx4 v[36:39], v[36:37], off offset:16
	v_cmp_ge_i32_e32 vcc_lo, v10, v15
	s_or_b32 s0, vcc_lo, s0
	s_waitcnt vmcnt(1)
	v_fma_f64 v[6:7], v[28:29], v[32:33], v[6:7]
	v_fma_f64 v[8:9], v[20:21], v[32:33], v[8:9]
	;; [unrolled: 1-line block ×4, first 2 shown]
	s_waitcnt vmcnt(0)
	v_fma_f64 v[6:7], v[24:25], v[36:37], v[6:7]
	v_fma_f64 v[8:9], v[16:17], v[36:37], v[8:9]
	;; [unrolled: 1-line block ×4, first 2 shown]
	s_andn2_b32 exec_lo, exec_lo, s0
	s_cbranch_execnz .LBB88_15
; %bb.16:
	s_or_b32 exec_lo, exec_lo, s0
.LBB88_17:
	s_or_b32 exec_lo, exec_lo, s1
.LBB88_18:
	v_mbcnt_lo_u32_b32 v14, -1, 0
	v_xor_b32_e32 v10, 8, v14
	v_cmp_gt_i32_e32 vcc_lo, 32, v10
	v_cndmask_b32_e32 v10, v14, v10, vcc_lo
	v_lshlrev_b32_e32 v13, 2, v10
	ds_bpermute_b32 v10, v13, v6
	ds_bpermute_b32 v11, v13, v7
	ds_bpermute_b32 v12, v13, v8
	ds_bpermute_b32 v13, v13, v9
	s_waitcnt lgkmcnt(2)
	v_add_f64 v[6:7], v[6:7], v[10:11]
	v_xor_b32_e32 v10, 4, v14
	s_waitcnt lgkmcnt(0)
	v_add_f64 v[8:9], v[8:9], v[12:13]
	v_cmp_gt_i32_e32 vcc_lo, 32, v10
	v_cndmask_b32_e32 v10, v14, v10, vcc_lo
	v_lshlrev_b32_e32 v13, 2, v10
	ds_bpermute_b32 v10, v13, v6
	ds_bpermute_b32 v11, v13, v7
	;; [unrolled: 1-line block ×4, first 2 shown]
	s_waitcnt lgkmcnt(2)
	v_add_f64 v[6:7], v[6:7], v[10:11]
	v_xor_b32_e32 v10, 2, v14
	s_waitcnt lgkmcnt(0)
	v_add_f64 v[8:9], v[8:9], v[12:13]
	v_cmp_gt_i32_e32 vcc_lo, 32, v10
	v_cndmask_b32_e32 v10, v14, v10, vcc_lo
	v_lshlrev_b32_e32 v13, 2, v10
	ds_bpermute_b32 v10, v13, v6
	ds_bpermute_b32 v11, v13, v7
	;; [unrolled: 1-line block ×4, first 2 shown]
	s_waitcnt lgkmcnt(2)
	v_add_f64 v[6:7], v[6:7], v[10:11]
	s_waitcnt lgkmcnt(0)
	v_add_f64 v[10:11], v[8:9], v[12:13]
	v_xor_b32_e32 v8, 1, v14
	v_cmp_gt_i32_e32 vcc_lo, 32, v8
	v_cndmask_b32_e32 v8, v14, v8, vcc_lo
	v_cmp_eq_u32_e32 vcc_lo, 15, v0
	v_lshlrev_b32_e32 v13, 2, v8
	ds_bpermute_b32 v8, v13, v6
	ds_bpermute_b32 v9, v13, v7
	;; [unrolled: 1-line block ×4, first 2 shown]
	s_and_b32 exec_lo, exec_lo, vcc_lo
	s_cbranch_execz .LBB88_23
; %bb.19:
	s_waitcnt lgkmcnt(2)
	v_add_f64 v[8:9], v[6:7], v[8:9]
	s_waitcnt lgkmcnt(0)
	v_add_f64 v[6:7], v[10:11], v[12:13]
	s_load_dwordx2 s[0:1], s[4:5], 0x38
	s_mov_b32 s2, exec_lo
	v_cmpx_eq_f64_e32 0, v[3:4]
	s_xor_b32 s2, exec_lo, s2
	s_cbranch_execz .LBB88_21
; %bb.20:
	v_lshlrev_b32_e32 v0, 1, v5
	v_mul_f64 v[3:4], v[1:2], v[8:9]
	v_mul_f64 v[5:6], v[1:2], v[6:7]
                                        ; implicit-def: $vgpr8_vgpr9
	v_ashrrev_i32_e32 v1, 31, v0
	v_lshlrev_b64 v[0:1], 3, v[0:1]
	s_waitcnt lgkmcnt(0)
	v_add_co_u32 v0, vcc_lo, s0, v0
	v_add_co_ci_u32_e64 v1, null, s1, v1, vcc_lo
	global_store_dwordx4 v[0:1], v[3:6], off
                                        ; implicit-def: $vgpr5
                                        ; implicit-def: $vgpr1_vgpr2
                                        ; implicit-def: $vgpr3_vgpr4
                                        ; implicit-def: $vgpr6_vgpr7
.LBB88_21:
	s_andn2_saveexec_b32 s2, s2
	s_cbranch_execz .LBB88_23
; %bb.22:
	v_lshlrev_b32_e32 v10, 1, v5
	v_mul_f64 v[8:9], v[1:2], v[8:9]
	v_mul_f64 v[5:6], v[1:2], v[6:7]
	v_ashrrev_i32_e32 v11, 31, v10
	v_lshlrev_b64 v[10:11], 3, v[10:11]
	s_waitcnt lgkmcnt(0)
	v_add_co_u32 v14, vcc_lo, s0, v10
	v_add_co_ci_u32_e64 v15, null, s1, v11, vcc_lo
	global_load_dwordx4 v[10:13], v[14:15], off
	s_waitcnt vmcnt(0)
	v_fma_f64 v[0:1], v[3:4], v[10:11], v[8:9]
	v_fma_f64 v[2:3], v[3:4], v[12:13], v[5:6]
	global_store_dwordx4 v[14:15], v[0:3], off
.LBB88_23:
	s_endpgm
	.section	.rodata,"a",@progbits
	.p2align	6, 0x0
	.amdhsa_kernel _ZN9rocsparseL19gebsrmvn_2xn_kernelILj128ELj4ELj16EdEEvi20rocsparse_direction_NS_24const_host_device_scalarIT2_EEPKiS6_PKS3_S8_S4_PS3_21rocsparse_index_base_b
		.amdhsa_group_segment_fixed_size 0
		.amdhsa_private_segment_fixed_size 0
		.amdhsa_kernarg_size 72
		.amdhsa_user_sgpr_count 6
		.amdhsa_user_sgpr_private_segment_buffer 1
		.amdhsa_user_sgpr_dispatch_ptr 0
		.amdhsa_user_sgpr_queue_ptr 0
		.amdhsa_user_sgpr_kernarg_segment_ptr 1
		.amdhsa_user_sgpr_dispatch_id 0
		.amdhsa_user_sgpr_flat_scratch_init 0
		.amdhsa_user_sgpr_private_segment_size 0
		.amdhsa_wavefront_size32 1
		.amdhsa_uses_dynamic_stack 0
		.amdhsa_system_sgpr_private_segment_wavefront_offset 0
		.amdhsa_system_sgpr_workgroup_id_x 1
		.amdhsa_system_sgpr_workgroup_id_y 0
		.amdhsa_system_sgpr_workgroup_id_z 0
		.amdhsa_system_sgpr_workgroup_info 0
		.amdhsa_system_vgpr_workitem_id 0
		.amdhsa_next_free_vgpr 40
		.amdhsa_next_free_sgpr 16
		.amdhsa_reserve_vcc 1
		.amdhsa_reserve_flat_scratch 0
		.amdhsa_float_round_mode_32 0
		.amdhsa_float_round_mode_16_64 0
		.amdhsa_float_denorm_mode_32 3
		.amdhsa_float_denorm_mode_16_64 3
		.amdhsa_dx10_clamp 1
		.amdhsa_ieee_mode 1
		.amdhsa_fp16_overflow 0
		.amdhsa_workgroup_processor_mode 1
		.amdhsa_memory_ordered 1
		.amdhsa_forward_progress 1
		.amdhsa_shared_vgpr_count 0
		.amdhsa_exception_fp_ieee_invalid_op 0
		.amdhsa_exception_fp_denorm_src 0
		.amdhsa_exception_fp_ieee_div_zero 0
		.amdhsa_exception_fp_ieee_overflow 0
		.amdhsa_exception_fp_ieee_underflow 0
		.amdhsa_exception_fp_ieee_inexact 0
		.amdhsa_exception_int_div_zero 0
	.end_amdhsa_kernel
	.section	.text._ZN9rocsparseL19gebsrmvn_2xn_kernelILj128ELj4ELj16EdEEvi20rocsparse_direction_NS_24const_host_device_scalarIT2_EEPKiS6_PKS3_S8_S4_PS3_21rocsparse_index_base_b,"axG",@progbits,_ZN9rocsparseL19gebsrmvn_2xn_kernelILj128ELj4ELj16EdEEvi20rocsparse_direction_NS_24const_host_device_scalarIT2_EEPKiS6_PKS3_S8_S4_PS3_21rocsparse_index_base_b,comdat
.Lfunc_end88:
	.size	_ZN9rocsparseL19gebsrmvn_2xn_kernelILj128ELj4ELj16EdEEvi20rocsparse_direction_NS_24const_host_device_scalarIT2_EEPKiS6_PKS3_S8_S4_PS3_21rocsparse_index_base_b, .Lfunc_end88-_ZN9rocsparseL19gebsrmvn_2xn_kernelILj128ELj4ELj16EdEEvi20rocsparse_direction_NS_24const_host_device_scalarIT2_EEPKiS6_PKS3_S8_S4_PS3_21rocsparse_index_base_b
                                        ; -- End function
	.set _ZN9rocsparseL19gebsrmvn_2xn_kernelILj128ELj4ELj16EdEEvi20rocsparse_direction_NS_24const_host_device_scalarIT2_EEPKiS6_PKS3_S8_S4_PS3_21rocsparse_index_base_b.num_vgpr, 40
	.set _ZN9rocsparseL19gebsrmvn_2xn_kernelILj128ELj4ELj16EdEEvi20rocsparse_direction_NS_24const_host_device_scalarIT2_EEPKiS6_PKS3_S8_S4_PS3_21rocsparse_index_base_b.num_agpr, 0
	.set _ZN9rocsparseL19gebsrmvn_2xn_kernelILj128ELj4ELj16EdEEvi20rocsparse_direction_NS_24const_host_device_scalarIT2_EEPKiS6_PKS3_S8_S4_PS3_21rocsparse_index_base_b.numbered_sgpr, 16
	.set _ZN9rocsparseL19gebsrmvn_2xn_kernelILj128ELj4ELj16EdEEvi20rocsparse_direction_NS_24const_host_device_scalarIT2_EEPKiS6_PKS3_S8_S4_PS3_21rocsparse_index_base_b.num_named_barrier, 0
	.set _ZN9rocsparseL19gebsrmvn_2xn_kernelILj128ELj4ELj16EdEEvi20rocsparse_direction_NS_24const_host_device_scalarIT2_EEPKiS6_PKS3_S8_S4_PS3_21rocsparse_index_base_b.private_seg_size, 0
	.set _ZN9rocsparseL19gebsrmvn_2xn_kernelILj128ELj4ELj16EdEEvi20rocsparse_direction_NS_24const_host_device_scalarIT2_EEPKiS6_PKS3_S8_S4_PS3_21rocsparse_index_base_b.uses_vcc, 1
	.set _ZN9rocsparseL19gebsrmvn_2xn_kernelILj128ELj4ELj16EdEEvi20rocsparse_direction_NS_24const_host_device_scalarIT2_EEPKiS6_PKS3_S8_S4_PS3_21rocsparse_index_base_b.uses_flat_scratch, 0
	.set _ZN9rocsparseL19gebsrmvn_2xn_kernelILj128ELj4ELj16EdEEvi20rocsparse_direction_NS_24const_host_device_scalarIT2_EEPKiS6_PKS3_S8_S4_PS3_21rocsparse_index_base_b.has_dyn_sized_stack, 0
	.set _ZN9rocsparseL19gebsrmvn_2xn_kernelILj128ELj4ELj16EdEEvi20rocsparse_direction_NS_24const_host_device_scalarIT2_EEPKiS6_PKS3_S8_S4_PS3_21rocsparse_index_base_b.has_recursion, 0
	.set _ZN9rocsparseL19gebsrmvn_2xn_kernelILj128ELj4ELj16EdEEvi20rocsparse_direction_NS_24const_host_device_scalarIT2_EEPKiS6_PKS3_S8_S4_PS3_21rocsparse_index_base_b.has_indirect_call, 0
	.section	.AMDGPU.csdata,"",@progbits
; Kernel info:
; codeLenInByte = 1400
; TotalNumSgprs: 18
; NumVgprs: 40
; ScratchSize: 0
; MemoryBound: 1
; FloatMode: 240
; IeeeMode: 1
; LDSByteSize: 0 bytes/workgroup (compile time only)
; SGPRBlocks: 0
; VGPRBlocks: 4
; NumSGPRsForWavesPerEU: 18
; NumVGPRsForWavesPerEU: 40
; Occupancy: 16
; WaveLimiterHint : 1
; COMPUTE_PGM_RSRC2:SCRATCH_EN: 0
; COMPUTE_PGM_RSRC2:USER_SGPR: 6
; COMPUTE_PGM_RSRC2:TRAP_HANDLER: 0
; COMPUTE_PGM_RSRC2:TGID_X_EN: 1
; COMPUTE_PGM_RSRC2:TGID_Y_EN: 0
; COMPUTE_PGM_RSRC2:TGID_Z_EN: 0
; COMPUTE_PGM_RSRC2:TIDIG_COMP_CNT: 0
	.section	.text._ZN9rocsparseL19gebsrmvn_2xn_kernelILj128ELj4ELj32EdEEvi20rocsparse_direction_NS_24const_host_device_scalarIT2_EEPKiS6_PKS3_S8_S4_PS3_21rocsparse_index_base_b,"axG",@progbits,_ZN9rocsparseL19gebsrmvn_2xn_kernelILj128ELj4ELj32EdEEvi20rocsparse_direction_NS_24const_host_device_scalarIT2_EEPKiS6_PKS3_S8_S4_PS3_21rocsparse_index_base_b,comdat
	.globl	_ZN9rocsparseL19gebsrmvn_2xn_kernelILj128ELj4ELj32EdEEvi20rocsparse_direction_NS_24const_host_device_scalarIT2_EEPKiS6_PKS3_S8_S4_PS3_21rocsparse_index_base_b ; -- Begin function _ZN9rocsparseL19gebsrmvn_2xn_kernelILj128ELj4ELj32EdEEvi20rocsparse_direction_NS_24const_host_device_scalarIT2_EEPKiS6_PKS3_S8_S4_PS3_21rocsparse_index_base_b
	.p2align	8
	.type	_ZN9rocsparseL19gebsrmvn_2xn_kernelILj128ELj4ELj32EdEEvi20rocsparse_direction_NS_24const_host_device_scalarIT2_EEPKiS6_PKS3_S8_S4_PS3_21rocsparse_index_base_b,@function
_ZN9rocsparseL19gebsrmvn_2xn_kernelILj128ELj4ELj32EdEEvi20rocsparse_direction_NS_24const_host_device_scalarIT2_EEPKiS6_PKS3_S8_S4_PS3_21rocsparse_index_base_b: ; @_ZN9rocsparseL19gebsrmvn_2xn_kernelILj128ELj4ELj32EdEEvi20rocsparse_direction_NS_24const_host_device_scalarIT2_EEPKiS6_PKS3_S8_S4_PS3_21rocsparse_index_base_b
; %bb.0:
	s_clause 0x2
	s_load_dwordx2 s[2:3], s[4:5], 0x40
	s_load_dwordx2 s[8:9], s[4:5], 0x8
	;; [unrolled: 1-line block ×3, first 2 shown]
	s_waitcnt lgkmcnt(0)
	s_bitcmp1_b32 s3, 0
	v_mov_b32_e32 v1, s8
	v_mov_b32_e32 v2, s9
	s_cselect_b32 s3, -1, 0
	s_and_b32 vcc_lo, exec_lo, s3
	s_xor_b32 s3, s3, -1
	s_cbranch_vccnz .LBB89_2
; %bb.1:
	v_mov_b32_e32 v1, s8
	v_mov_b32_e32 v2, s9
	flat_load_dwordx2 v[1:2], v[1:2]
.LBB89_2:
	v_mov_b32_e32 v4, s1
	v_mov_b32_e32 v3, s0
	s_andn2_b32 vcc_lo, exec_lo, s3
	s_cbranch_vccnz .LBB89_4
; %bb.3:
	v_mov_b32_e32 v4, s1
	v_mov_b32_e32 v3, s0
	flat_load_dwordx2 v[3:4], v[3:4]
.LBB89_4:
	s_waitcnt vmcnt(0) lgkmcnt(0)
	v_cmp_neq_f64_e32 vcc_lo, 0, v[1:2]
	v_cmp_neq_f64_e64 s0, 1.0, v[3:4]
	s_or_b32 s0, vcc_lo, s0
	s_and_saveexec_b32 s1, s0
	s_cbranch_execz .LBB89_23
; %bb.5:
	s_load_dwordx2 s[0:1], s[4:5], 0x0
	v_lshrrev_b32_e32 v5, 5, v0
	v_lshl_or_b32 v5, s6, 2, v5
	s_waitcnt lgkmcnt(0)
	v_cmp_gt_i32_e32 vcc_lo, s0, v5
	s_and_b32 exec_lo, exec_lo, vcc_lo
	s_cbranch_execz .LBB89_23
; %bb.6:
	s_load_dwordx8 s[8:15], s[4:5], 0x10
	v_ashrrev_i32_e32 v6, 31, v5
	v_and_b32_e32 v0, 31, v0
	s_cmp_lg_u32 s1, 0
	v_lshlrev_b64 v[6:7], 2, v[5:6]
	s_waitcnt lgkmcnt(0)
	v_add_co_u32 v6, vcc_lo, s8, v6
	v_add_co_ci_u32_e64 v7, null, s9, v7, vcc_lo
	global_load_dwordx2 v[6:7], v[6:7], off
	s_waitcnt vmcnt(0)
	v_subrev_nc_u32_e32 v6, s2, v6
	v_subrev_nc_u32_e32 v15, s2, v7
	v_add_nc_u32_e32 v10, v6, v0
	v_cmp_lt_i32_e64 s0, v10, v15
	s_cbranch_scc0 .LBB89_12
; %bb.7:
	v_mov_b32_e32 v6, 0
	v_mov_b32_e32 v8, 0
	;; [unrolled: 1-line block ×4, first 2 shown]
	s_and_saveexec_b32 s1, s0
	s_cbranch_execz .LBB89_11
; %bb.8:
	v_mov_b32_e32 v6, 0
	v_mov_b32_e32 v8, 0
	v_lshlrev_b32_e32 v11, 3, v10
	v_mov_b32_e32 v7, 0
	v_mov_b32_e32 v12, 0
	;; [unrolled: 1-line block ×4, first 2 shown]
	s_mov_b32 s3, 0
.LBB89_9:                               ; =>This Inner Loop Header: Depth=1
	v_ashrrev_i32_e32 v14, 31, v13
	v_mov_b32_e32 v19, v12
	v_lshlrev_b64 v[16:17], 2, v[13:14]
	v_add_nc_u32_e32 v13, 32, v13
	v_add_co_u32 v16, vcc_lo, s10, v16
	v_add_co_ci_u32_e64 v17, null, s11, v17, vcc_lo
	global_load_dword v14, v[16:17], off
	v_lshlrev_b64 v[16:17], 3, v[11:12]
	v_add_nc_u32_e32 v11, 0x100, v11
	v_add_co_u32 v36, vcc_lo, s12, v16
	v_add_co_ci_u32_e64 v37, null, s13, v17, vcc_lo
	s_waitcnt vmcnt(0)
	v_subrev_nc_u32_e32 v14, s2, v14
	v_lshlrev_b32_e32 v18, 2, v14
	v_lshlrev_b64 v[18:19], 3, v[18:19]
	v_add_co_u32 v28, vcc_lo, s14, v18
	v_add_co_ci_u32_e64 v29, null, s15, v19, vcc_lo
	v_cmp_ge_i32_e32 vcc_lo, v13, v15
	s_clause 0x1
	global_load_dwordx4 v[16:19], v[36:37], off offset:16
	global_load_dwordx4 v[20:23], v[36:37], off
	s_clause 0x1
	global_load_dwordx4 v[24:27], v[28:29], off
	global_load_dwordx4 v[28:31], v[28:29], off offset:16
	s_clause 0x1
	global_load_dwordx4 v[32:35], v[36:37], off offset:32
	global_load_dwordx4 v[36:39], v[36:37], off offset:48
	s_or_b32 s3, vcc_lo, s3
	s_waitcnt vmcnt(3)
	v_fma_f64 v[6:7], v[20:21], v[24:25], v[6:7]
	v_fma_f64 v[8:9], v[22:23], v[24:25], v[8:9]
	;; [unrolled: 1-line block ×4, first 2 shown]
	s_waitcnt vmcnt(1)
	v_fma_f64 v[6:7], v[32:33], v[28:29], v[6:7]
	v_fma_f64 v[8:9], v[34:35], v[28:29], v[8:9]
	s_waitcnt vmcnt(0)
	v_fma_f64 v[6:7], v[36:37], v[30:31], v[6:7]
	v_fma_f64 v[8:9], v[38:39], v[30:31], v[8:9]
	s_andn2_b32 exec_lo, exec_lo, s3
	s_cbranch_execnz .LBB89_9
; %bb.10:
	s_or_b32 exec_lo, exec_lo, s3
.LBB89_11:
	s_or_b32 exec_lo, exec_lo, s1
	s_cbranch_execz .LBB89_13
	s_branch .LBB89_18
.LBB89_12:
                                        ; implicit-def: $vgpr6_vgpr7
                                        ; implicit-def: $vgpr8_vgpr9
.LBB89_13:
	v_mov_b32_e32 v6, 0
	v_mov_b32_e32 v8, 0
	v_mov_b32_e32 v7, 0
	v_mov_b32_e32 v9, 0
	s_and_saveexec_b32 s1, s0
	s_cbranch_execz .LBB89_17
; %bb.14:
	v_mov_b32_e32 v6, 0
	v_mov_b32_e32 v8, 0
	v_lshlrev_b32_e32 v12, 3, v10
	v_mov_b32_e32 v7, 0
	v_mov_b32_e32 v9, 0
	;; [unrolled: 1-line block ×3, first 2 shown]
	s_mov_b32 s0, 0
.LBB89_15:                              ; =>This Inner Loop Header: Depth=1
	v_ashrrev_i32_e32 v11, 31, v10
	v_mov_b32_e32 v19, v13
	v_lshlrev_b64 v[16:17], 2, v[10:11]
	v_add_nc_u32_e32 v10, 32, v10
	v_add_co_u32 v16, vcc_lo, s10, v16
	v_add_co_ci_u32_e64 v17, null, s11, v17, vcc_lo
	global_load_dword v11, v[16:17], off
	v_lshlrev_b64 v[16:17], 3, v[12:13]
	v_add_nc_u32_e32 v12, 0x100, v12
	v_add_co_u32 v28, vcc_lo, s12, v16
	v_add_co_ci_u32_e64 v29, null, s13, v17, vcc_lo
	s_waitcnt vmcnt(0)
	v_subrev_nc_u32_e32 v11, s2, v11
	v_lshlrev_b32_e32 v18, 2, v11
	v_lshlrev_b64 v[20:21], 3, v[18:19]
	global_load_dwordx4 v[16:19], v[28:29], off offset:48
	v_add_co_u32 v36, vcc_lo, s14, v20
	v_add_co_ci_u32_e64 v37, null, s15, v21, vcc_lo
	s_clause 0x2
	global_load_dwordx4 v[20:23], v[28:29], off offset:32
	global_load_dwordx4 v[24:27], v[28:29], off offset:16
	global_load_dwordx4 v[28:31], v[28:29], off
	s_clause 0x1
	global_load_dwordx4 v[32:35], v[36:37], off
	global_load_dwordx4 v[36:39], v[36:37], off offset:16
	v_cmp_ge_i32_e32 vcc_lo, v10, v15
	s_or_b32 s0, vcc_lo, s0
	s_waitcnt vmcnt(1)
	v_fma_f64 v[6:7], v[28:29], v[32:33], v[6:7]
	v_fma_f64 v[8:9], v[20:21], v[32:33], v[8:9]
	;; [unrolled: 1-line block ×4, first 2 shown]
	s_waitcnt vmcnt(0)
	v_fma_f64 v[6:7], v[24:25], v[36:37], v[6:7]
	v_fma_f64 v[8:9], v[16:17], v[36:37], v[8:9]
	;; [unrolled: 1-line block ×4, first 2 shown]
	s_andn2_b32 exec_lo, exec_lo, s0
	s_cbranch_execnz .LBB89_15
; %bb.16:
	s_or_b32 exec_lo, exec_lo, s0
.LBB89_17:
	s_or_b32 exec_lo, exec_lo, s1
.LBB89_18:
	v_mbcnt_lo_u32_b32 v14, -1, 0
	v_xor_b32_e32 v10, 16, v14
	v_cmp_gt_i32_e32 vcc_lo, 32, v10
	v_cndmask_b32_e32 v10, v14, v10, vcc_lo
	v_lshlrev_b32_e32 v13, 2, v10
	ds_bpermute_b32 v10, v13, v6
	ds_bpermute_b32 v11, v13, v7
	ds_bpermute_b32 v12, v13, v8
	ds_bpermute_b32 v13, v13, v9
	s_waitcnt lgkmcnt(2)
	v_add_f64 v[6:7], v[6:7], v[10:11]
	v_xor_b32_e32 v10, 8, v14
	s_waitcnt lgkmcnt(0)
	v_add_f64 v[8:9], v[8:9], v[12:13]
	v_cmp_gt_i32_e32 vcc_lo, 32, v10
	v_cndmask_b32_e32 v10, v14, v10, vcc_lo
	v_lshlrev_b32_e32 v13, 2, v10
	ds_bpermute_b32 v10, v13, v6
	ds_bpermute_b32 v11, v13, v7
	ds_bpermute_b32 v12, v13, v8
	ds_bpermute_b32 v13, v13, v9
	s_waitcnt lgkmcnt(2)
	v_add_f64 v[6:7], v[6:7], v[10:11]
	v_xor_b32_e32 v10, 4, v14
	s_waitcnt lgkmcnt(0)
	v_add_f64 v[8:9], v[8:9], v[12:13]
	;; [unrolled: 12-line block ×3, first 2 shown]
	v_cmp_gt_i32_e32 vcc_lo, 32, v10
	v_cndmask_b32_e32 v10, v14, v10, vcc_lo
	v_lshlrev_b32_e32 v13, 2, v10
	ds_bpermute_b32 v10, v13, v6
	ds_bpermute_b32 v11, v13, v7
	;; [unrolled: 1-line block ×4, first 2 shown]
	s_waitcnt lgkmcnt(2)
	v_add_f64 v[6:7], v[6:7], v[10:11]
	s_waitcnt lgkmcnt(0)
	v_add_f64 v[10:11], v[8:9], v[12:13]
	v_xor_b32_e32 v8, 1, v14
	v_cmp_gt_i32_e32 vcc_lo, 32, v8
	v_cndmask_b32_e32 v8, v14, v8, vcc_lo
	v_cmp_eq_u32_e32 vcc_lo, 31, v0
	v_lshlrev_b32_e32 v13, 2, v8
	ds_bpermute_b32 v8, v13, v6
	ds_bpermute_b32 v9, v13, v7
	;; [unrolled: 1-line block ×4, first 2 shown]
	s_and_b32 exec_lo, exec_lo, vcc_lo
	s_cbranch_execz .LBB89_23
; %bb.19:
	s_waitcnt lgkmcnt(2)
	v_add_f64 v[8:9], v[6:7], v[8:9]
	s_waitcnt lgkmcnt(0)
	v_add_f64 v[6:7], v[10:11], v[12:13]
	s_load_dwordx2 s[0:1], s[4:5], 0x38
	s_mov_b32 s2, exec_lo
	v_cmpx_eq_f64_e32 0, v[3:4]
	s_xor_b32 s2, exec_lo, s2
	s_cbranch_execz .LBB89_21
; %bb.20:
	v_lshlrev_b32_e32 v0, 1, v5
	v_mul_f64 v[3:4], v[1:2], v[8:9]
	v_mul_f64 v[5:6], v[1:2], v[6:7]
                                        ; implicit-def: $vgpr8_vgpr9
	v_ashrrev_i32_e32 v1, 31, v0
	v_lshlrev_b64 v[0:1], 3, v[0:1]
	s_waitcnt lgkmcnt(0)
	v_add_co_u32 v0, vcc_lo, s0, v0
	v_add_co_ci_u32_e64 v1, null, s1, v1, vcc_lo
	global_store_dwordx4 v[0:1], v[3:6], off
                                        ; implicit-def: $vgpr5
                                        ; implicit-def: $vgpr1_vgpr2
                                        ; implicit-def: $vgpr3_vgpr4
                                        ; implicit-def: $vgpr6_vgpr7
.LBB89_21:
	s_andn2_saveexec_b32 s2, s2
	s_cbranch_execz .LBB89_23
; %bb.22:
	v_lshlrev_b32_e32 v10, 1, v5
	v_mul_f64 v[8:9], v[1:2], v[8:9]
	v_mul_f64 v[5:6], v[1:2], v[6:7]
	v_ashrrev_i32_e32 v11, 31, v10
	v_lshlrev_b64 v[10:11], 3, v[10:11]
	s_waitcnt lgkmcnt(0)
	v_add_co_u32 v14, vcc_lo, s0, v10
	v_add_co_ci_u32_e64 v15, null, s1, v11, vcc_lo
	global_load_dwordx4 v[10:13], v[14:15], off
	s_waitcnt vmcnt(0)
	v_fma_f64 v[0:1], v[3:4], v[10:11], v[8:9]
	v_fma_f64 v[2:3], v[3:4], v[12:13], v[5:6]
	global_store_dwordx4 v[14:15], v[0:3], off
.LBB89_23:
	s_endpgm
	.section	.rodata,"a",@progbits
	.p2align	6, 0x0
	.amdhsa_kernel _ZN9rocsparseL19gebsrmvn_2xn_kernelILj128ELj4ELj32EdEEvi20rocsparse_direction_NS_24const_host_device_scalarIT2_EEPKiS6_PKS3_S8_S4_PS3_21rocsparse_index_base_b
		.amdhsa_group_segment_fixed_size 0
		.amdhsa_private_segment_fixed_size 0
		.amdhsa_kernarg_size 72
		.amdhsa_user_sgpr_count 6
		.amdhsa_user_sgpr_private_segment_buffer 1
		.amdhsa_user_sgpr_dispatch_ptr 0
		.amdhsa_user_sgpr_queue_ptr 0
		.amdhsa_user_sgpr_kernarg_segment_ptr 1
		.amdhsa_user_sgpr_dispatch_id 0
		.amdhsa_user_sgpr_flat_scratch_init 0
		.amdhsa_user_sgpr_private_segment_size 0
		.amdhsa_wavefront_size32 1
		.amdhsa_uses_dynamic_stack 0
		.amdhsa_system_sgpr_private_segment_wavefront_offset 0
		.amdhsa_system_sgpr_workgroup_id_x 1
		.amdhsa_system_sgpr_workgroup_id_y 0
		.amdhsa_system_sgpr_workgroup_id_z 0
		.amdhsa_system_sgpr_workgroup_info 0
		.amdhsa_system_vgpr_workitem_id 0
		.amdhsa_next_free_vgpr 40
		.amdhsa_next_free_sgpr 16
		.amdhsa_reserve_vcc 1
		.amdhsa_reserve_flat_scratch 0
		.amdhsa_float_round_mode_32 0
		.amdhsa_float_round_mode_16_64 0
		.amdhsa_float_denorm_mode_32 3
		.amdhsa_float_denorm_mode_16_64 3
		.amdhsa_dx10_clamp 1
		.amdhsa_ieee_mode 1
		.amdhsa_fp16_overflow 0
		.amdhsa_workgroup_processor_mode 1
		.amdhsa_memory_ordered 1
		.amdhsa_forward_progress 1
		.amdhsa_shared_vgpr_count 0
		.amdhsa_exception_fp_ieee_invalid_op 0
		.amdhsa_exception_fp_denorm_src 0
		.amdhsa_exception_fp_ieee_div_zero 0
		.amdhsa_exception_fp_ieee_overflow 0
		.amdhsa_exception_fp_ieee_underflow 0
		.amdhsa_exception_fp_ieee_inexact 0
		.amdhsa_exception_int_div_zero 0
	.end_amdhsa_kernel
	.section	.text._ZN9rocsparseL19gebsrmvn_2xn_kernelILj128ELj4ELj32EdEEvi20rocsparse_direction_NS_24const_host_device_scalarIT2_EEPKiS6_PKS3_S8_S4_PS3_21rocsparse_index_base_b,"axG",@progbits,_ZN9rocsparseL19gebsrmvn_2xn_kernelILj128ELj4ELj32EdEEvi20rocsparse_direction_NS_24const_host_device_scalarIT2_EEPKiS6_PKS3_S8_S4_PS3_21rocsparse_index_base_b,comdat
.Lfunc_end89:
	.size	_ZN9rocsparseL19gebsrmvn_2xn_kernelILj128ELj4ELj32EdEEvi20rocsparse_direction_NS_24const_host_device_scalarIT2_EEPKiS6_PKS3_S8_S4_PS3_21rocsparse_index_base_b, .Lfunc_end89-_ZN9rocsparseL19gebsrmvn_2xn_kernelILj128ELj4ELj32EdEEvi20rocsparse_direction_NS_24const_host_device_scalarIT2_EEPKiS6_PKS3_S8_S4_PS3_21rocsparse_index_base_b
                                        ; -- End function
	.set _ZN9rocsparseL19gebsrmvn_2xn_kernelILj128ELj4ELj32EdEEvi20rocsparse_direction_NS_24const_host_device_scalarIT2_EEPKiS6_PKS3_S8_S4_PS3_21rocsparse_index_base_b.num_vgpr, 40
	.set _ZN9rocsparseL19gebsrmvn_2xn_kernelILj128ELj4ELj32EdEEvi20rocsparse_direction_NS_24const_host_device_scalarIT2_EEPKiS6_PKS3_S8_S4_PS3_21rocsparse_index_base_b.num_agpr, 0
	.set _ZN9rocsparseL19gebsrmvn_2xn_kernelILj128ELj4ELj32EdEEvi20rocsparse_direction_NS_24const_host_device_scalarIT2_EEPKiS6_PKS3_S8_S4_PS3_21rocsparse_index_base_b.numbered_sgpr, 16
	.set _ZN9rocsparseL19gebsrmvn_2xn_kernelILj128ELj4ELj32EdEEvi20rocsparse_direction_NS_24const_host_device_scalarIT2_EEPKiS6_PKS3_S8_S4_PS3_21rocsparse_index_base_b.num_named_barrier, 0
	.set _ZN9rocsparseL19gebsrmvn_2xn_kernelILj128ELj4ELj32EdEEvi20rocsparse_direction_NS_24const_host_device_scalarIT2_EEPKiS6_PKS3_S8_S4_PS3_21rocsparse_index_base_b.private_seg_size, 0
	.set _ZN9rocsparseL19gebsrmvn_2xn_kernelILj128ELj4ELj32EdEEvi20rocsparse_direction_NS_24const_host_device_scalarIT2_EEPKiS6_PKS3_S8_S4_PS3_21rocsparse_index_base_b.uses_vcc, 1
	.set _ZN9rocsparseL19gebsrmvn_2xn_kernelILj128ELj4ELj32EdEEvi20rocsparse_direction_NS_24const_host_device_scalarIT2_EEPKiS6_PKS3_S8_S4_PS3_21rocsparse_index_base_b.uses_flat_scratch, 0
	.set _ZN9rocsparseL19gebsrmvn_2xn_kernelILj128ELj4ELj32EdEEvi20rocsparse_direction_NS_24const_host_device_scalarIT2_EEPKiS6_PKS3_S8_S4_PS3_21rocsparse_index_base_b.has_dyn_sized_stack, 0
	.set _ZN9rocsparseL19gebsrmvn_2xn_kernelILj128ELj4ELj32EdEEvi20rocsparse_direction_NS_24const_host_device_scalarIT2_EEPKiS6_PKS3_S8_S4_PS3_21rocsparse_index_base_b.has_recursion, 0
	.set _ZN9rocsparseL19gebsrmvn_2xn_kernelILj128ELj4ELj32EdEEvi20rocsparse_direction_NS_24const_host_device_scalarIT2_EEPKiS6_PKS3_S8_S4_PS3_21rocsparse_index_base_b.has_indirect_call, 0
	.section	.AMDGPU.csdata,"",@progbits
; Kernel info:
; codeLenInByte = 1472
; TotalNumSgprs: 18
; NumVgprs: 40
; ScratchSize: 0
; MemoryBound: 1
; FloatMode: 240
; IeeeMode: 1
; LDSByteSize: 0 bytes/workgroup (compile time only)
; SGPRBlocks: 0
; VGPRBlocks: 4
; NumSGPRsForWavesPerEU: 18
; NumVGPRsForWavesPerEU: 40
; Occupancy: 16
; WaveLimiterHint : 1
; COMPUTE_PGM_RSRC2:SCRATCH_EN: 0
; COMPUTE_PGM_RSRC2:USER_SGPR: 6
; COMPUTE_PGM_RSRC2:TRAP_HANDLER: 0
; COMPUTE_PGM_RSRC2:TGID_X_EN: 1
; COMPUTE_PGM_RSRC2:TGID_Y_EN: 0
; COMPUTE_PGM_RSRC2:TGID_Z_EN: 0
; COMPUTE_PGM_RSRC2:TIDIG_COMP_CNT: 0
	.section	.text._ZN9rocsparseL19gebsrmvn_2xn_kernelILj128ELj4ELj64EdEEvi20rocsparse_direction_NS_24const_host_device_scalarIT2_EEPKiS6_PKS3_S8_S4_PS3_21rocsparse_index_base_b,"axG",@progbits,_ZN9rocsparseL19gebsrmvn_2xn_kernelILj128ELj4ELj64EdEEvi20rocsparse_direction_NS_24const_host_device_scalarIT2_EEPKiS6_PKS3_S8_S4_PS3_21rocsparse_index_base_b,comdat
	.globl	_ZN9rocsparseL19gebsrmvn_2xn_kernelILj128ELj4ELj64EdEEvi20rocsparse_direction_NS_24const_host_device_scalarIT2_EEPKiS6_PKS3_S8_S4_PS3_21rocsparse_index_base_b ; -- Begin function _ZN9rocsparseL19gebsrmvn_2xn_kernelILj128ELj4ELj64EdEEvi20rocsparse_direction_NS_24const_host_device_scalarIT2_EEPKiS6_PKS3_S8_S4_PS3_21rocsparse_index_base_b
	.p2align	8
	.type	_ZN9rocsparseL19gebsrmvn_2xn_kernelILj128ELj4ELj64EdEEvi20rocsparse_direction_NS_24const_host_device_scalarIT2_EEPKiS6_PKS3_S8_S4_PS3_21rocsparse_index_base_b,@function
_ZN9rocsparseL19gebsrmvn_2xn_kernelILj128ELj4ELj64EdEEvi20rocsparse_direction_NS_24const_host_device_scalarIT2_EEPKiS6_PKS3_S8_S4_PS3_21rocsparse_index_base_b: ; @_ZN9rocsparseL19gebsrmvn_2xn_kernelILj128ELj4ELj64EdEEvi20rocsparse_direction_NS_24const_host_device_scalarIT2_EEPKiS6_PKS3_S8_S4_PS3_21rocsparse_index_base_b
; %bb.0:
	s_clause 0x2
	s_load_dwordx2 s[2:3], s[4:5], 0x40
	s_load_dwordx2 s[8:9], s[4:5], 0x8
	;; [unrolled: 1-line block ×3, first 2 shown]
	s_waitcnt lgkmcnt(0)
	s_bitcmp1_b32 s3, 0
	v_mov_b32_e32 v1, s8
	v_mov_b32_e32 v2, s9
	s_cselect_b32 s3, -1, 0
	s_and_b32 vcc_lo, exec_lo, s3
	s_xor_b32 s3, s3, -1
	s_cbranch_vccnz .LBB90_2
; %bb.1:
	v_mov_b32_e32 v1, s8
	v_mov_b32_e32 v2, s9
	flat_load_dwordx2 v[1:2], v[1:2]
.LBB90_2:
	v_mov_b32_e32 v4, s1
	v_mov_b32_e32 v3, s0
	s_andn2_b32 vcc_lo, exec_lo, s3
	s_cbranch_vccnz .LBB90_4
; %bb.3:
	v_mov_b32_e32 v4, s1
	v_mov_b32_e32 v3, s0
	flat_load_dwordx2 v[3:4], v[3:4]
.LBB90_4:
	s_waitcnt vmcnt(0) lgkmcnt(0)
	v_cmp_neq_f64_e32 vcc_lo, 0, v[1:2]
	v_cmp_neq_f64_e64 s0, 1.0, v[3:4]
	s_or_b32 s0, vcc_lo, s0
	s_and_saveexec_b32 s1, s0
	s_cbranch_execz .LBB90_23
; %bb.5:
	s_load_dwordx2 s[0:1], s[4:5], 0x0
	v_lshrrev_b32_e32 v5, 6, v0
	v_lshl_or_b32 v5, s6, 1, v5
	s_waitcnt lgkmcnt(0)
	v_cmp_gt_i32_e32 vcc_lo, s0, v5
	s_and_b32 exec_lo, exec_lo, vcc_lo
	s_cbranch_execz .LBB90_23
; %bb.6:
	s_load_dwordx8 s[8:15], s[4:5], 0x10
	v_ashrrev_i32_e32 v6, 31, v5
	v_and_b32_e32 v0, 63, v0
	s_cmp_lg_u32 s1, 0
	v_lshlrev_b64 v[6:7], 2, v[5:6]
	s_waitcnt lgkmcnt(0)
	v_add_co_u32 v6, vcc_lo, s8, v6
	v_add_co_ci_u32_e64 v7, null, s9, v7, vcc_lo
	global_load_dwordx2 v[6:7], v[6:7], off
	s_waitcnt vmcnt(0)
	v_subrev_nc_u32_e32 v6, s2, v6
	v_subrev_nc_u32_e32 v15, s2, v7
	v_add_nc_u32_e32 v10, v6, v0
	v_cmp_lt_i32_e64 s0, v10, v15
	s_cbranch_scc0 .LBB90_12
; %bb.7:
	v_mov_b32_e32 v6, 0
	v_mov_b32_e32 v8, 0
	;; [unrolled: 1-line block ×4, first 2 shown]
	s_and_saveexec_b32 s1, s0
	s_cbranch_execz .LBB90_11
; %bb.8:
	v_mov_b32_e32 v6, 0
	v_mov_b32_e32 v8, 0
	v_lshlrev_b32_e32 v11, 3, v10
	v_mov_b32_e32 v7, 0
	v_mov_b32_e32 v12, 0
	;; [unrolled: 1-line block ×4, first 2 shown]
	s_mov_b32 s3, 0
.LBB90_9:                               ; =>This Inner Loop Header: Depth=1
	v_ashrrev_i32_e32 v14, 31, v13
	v_mov_b32_e32 v19, v12
	v_lshlrev_b64 v[16:17], 2, v[13:14]
	v_add_nc_u32_e32 v13, 64, v13
	v_add_co_u32 v16, vcc_lo, s10, v16
	v_add_co_ci_u32_e64 v17, null, s11, v17, vcc_lo
	global_load_dword v14, v[16:17], off
	v_lshlrev_b64 v[16:17], 3, v[11:12]
	v_add_nc_u32_e32 v11, 0x200, v11
	v_add_co_u32 v36, vcc_lo, s12, v16
	v_add_co_ci_u32_e64 v37, null, s13, v17, vcc_lo
	s_waitcnt vmcnt(0)
	v_subrev_nc_u32_e32 v14, s2, v14
	v_lshlrev_b32_e32 v18, 2, v14
	v_lshlrev_b64 v[18:19], 3, v[18:19]
	v_add_co_u32 v28, vcc_lo, s14, v18
	v_add_co_ci_u32_e64 v29, null, s15, v19, vcc_lo
	v_cmp_ge_i32_e32 vcc_lo, v13, v15
	s_clause 0x1
	global_load_dwordx4 v[16:19], v[36:37], off offset:16
	global_load_dwordx4 v[20:23], v[36:37], off
	s_clause 0x1
	global_load_dwordx4 v[24:27], v[28:29], off
	global_load_dwordx4 v[28:31], v[28:29], off offset:16
	s_clause 0x1
	global_load_dwordx4 v[32:35], v[36:37], off offset:32
	global_load_dwordx4 v[36:39], v[36:37], off offset:48
	s_or_b32 s3, vcc_lo, s3
	s_waitcnt vmcnt(3)
	v_fma_f64 v[6:7], v[20:21], v[24:25], v[6:7]
	v_fma_f64 v[8:9], v[22:23], v[24:25], v[8:9]
	;; [unrolled: 1-line block ×4, first 2 shown]
	s_waitcnt vmcnt(1)
	v_fma_f64 v[6:7], v[32:33], v[28:29], v[6:7]
	v_fma_f64 v[8:9], v[34:35], v[28:29], v[8:9]
	s_waitcnt vmcnt(0)
	v_fma_f64 v[6:7], v[36:37], v[30:31], v[6:7]
	v_fma_f64 v[8:9], v[38:39], v[30:31], v[8:9]
	s_andn2_b32 exec_lo, exec_lo, s3
	s_cbranch_execnz .LBB90_9
; %bb.10:
	s_or_b32 exec_lo, exec_lo, s3
.LBB90_11:
	s_or_b32 exec_lo, exec_lo, s1
	s_cbranch_execz .LBB90_13
	s_branch .LBB90_18
.LBB90_12:
                                        ; implicit-def: $vgpr6_vgpr7
                                        ; implicit-def: $vgpr8_vgpr9
.LBB90_13:
	v_mov_b32_e32 v6, 0
	v_mov_b32_e32 v8, 0
	;; [unrolled: 1-line block ×4, first 2 shown]
	s_and_saveexec_b32 s1, s0
	s_cbranch_execz .LBB90_17
; %bb.14:
	v_mov_b32_e32 v6, 0
	v_mov_b32_e32 v8, 0
	v_lshlrev_b32_e32 v12, 3, v10
	v_mov_b32_e32 v7, 0
	v_mov_b32_e32 v9, 0
	v_mov_b32_e32 v13, 0
	s_mov_b32 s0, 0
.LBB90_15:                              ; =>This Inner Loop Header: Depth=1
	v_ashrrev_i32_e32 v11, 31, v10
	v_mov_b32_e32 v19, v13
	v_lshlrev_b64 v[16:17], 2, v[10:11]
	v_add_nc_u32_e32 v10, 64, v10
	v_add_co_u32 v16, vcc_lo, s10, v16
	v_add_co_ci_u32_e64 v17, null, s11, v17, vcc_lo
	global_load_dword v11, v[16:17], off
	v_lshlrev_b64 v[16:17], 3, v[12:13]
	v_add_nc_u32_e32 v12, 0x200, v12
	v_add_co_u32 v28, vcc_lo, s12, v16
	v_add_co_ci_u32_e64 v29, null, s13, v17, vcc_lo
	s_waitcnt vmcnt(0)
	v_subrev_nc_u32_e32 v11, s2, v11
	v_lshlrev_b32_e32 v18, 2, v11
	v_lshlrev_b64 v[20:21], 3, v[18:19]
	global_load_dwordx4 v[16:19], v[28:29], off offset:48
	v_add_co_u32 v36, vcc_lo, s14, v20
	v_add_co_ci_u32_e64 v37, null, s15, v21, vcc_lo
	s_clause 0x2
	global_load_dwordx4 v[20:23], v[28:29], off offset:32
	global_load_dwordx4 v[24:27], v[28:29], off offset:16
	global_load_dwordx4 v[28:31], v[28:29], off
	s_clause 0x1
	global_load_dwordx4 v[32:35], v[36:37], off
	global_load_dwordx4 v[36:39], v[36:37], off offset:16
	v_cmp_ge_i32_e32 vcc_lo, v10, v15
	s_or_b32 s0, vcc_lo, s0
	s_waitcnt vmcnt(1)
	v_fma_f64 v[6:7], v[28:29], v[32:33], v[6:7]
	v_fma_f64 v[8:9], v[20:21], v[32:33], v[8:9]
	v_fma_f64 v[6:7], v[30:31], v[34:35], v[6:7]
	v_fma_f64 v[8:9], v[22:23], v[34:35], v[8:9]
	s_waitcnt vmcnt(0)
	v_fma_f64 v[6:7], v[24:25], v[36:37], v[6:7]
	v_fma_f64 v[8:9], v[16:17], v[36:37], v[8:9]
	;; [unrolled: 1-line block ×4, first 2 shown]
	s_andn2_b32 exec_lo, exec_lo, s0
	s_cbranch_execnz .LBB90_15
; %bb.16:
	s_or_b32 exec_lo, exec_lo, s0
.LBB90_17:
	s_or_b32 exec_lo, exec_lo, s1
.LBB90_18:
	v_mbcnt_lo_u32_b32 v14, -1, 0
	v_or_b32_e32 v10, 32, v14
	v_cmp_gt_i32_e32 vcc_lo, 32, v10
	v_cndmask_b32_e32 v10, v14, v10, vcc_lo
	v_lshlrev_b32_e32 v13, 2, v10
	ds_bpermute_b32 v10, v13, v6
	ds_bpermute_b32 v11, v13, v7
	ds_bpermute_b32 v12, v13, v8
	ds_bpermute_b32 v13, v13, v9
	s_waitcnt lgkmcnt(2)
	v_add_f64 v[6:7], v[6:7], v[10:11]
	v_xor_b32_e32 v10, 16, v14
	s_waitcnt lgkmcnt(0)
	v_add_f64 v[8:9], v[8:9], v[12:13]
	v_cmp_gt_i32_e32 vcc_lo, 32, v10
	v_cndmask_b32_e32 v10, v14, v10, vcc_lo
	v_lshlrev_b32_e32 v13, 2, v10
	ds_bpermute_b32 v10, v13, v6
	ds_bpermute_b32 v11, v13, v7
	ds_bpermute_b32 v12, v13, v8
	ds_bpermute_b32 v13, v13, v9
	s_waitcnt lgkmcnt(2)
	v_add_f64 v[6:7], v[6:7], v[10:11]
	v_xor_b32_e32 v10, 8, v14
	s_waitcnt lgkmcnt(0)
	v_add_f64 v[8:9], v[8:9], v[12:13]
	v_cmp_gt_i32_e32 vcc_lo, 32, v10
	v_cndmask_b32_e32 v10, v14, v10, vcc_lo
	v_lshlrev_b32_e32 v13, 2, v10
	ds_bpermute_b32 v10, v13, v6
	ds_bpermute_b32 v11, v13, v7
	ds_bpermute_b32 v12, v13, v8
	ds_bpermute_b32 v13, v13, v9
	s_waitcnt lgkmcnt(2)
	v_add_f64 v[6:7], v[6:7], v[10:11]
	v_xor_b32_e32 v10, 4, v14
	s_waitcnt lgkmcnt(0)
	v_add_f64 v[8:9], v[8:9], v[12:13]
	v_cmp_gt_i32_e32 vcc_lo, 32, v10
	v_cndmask_b32_e32 v10, v14, v10, vcc_lo
	v_lshlrev_b32_e32 v13, 2, v10
	ds_bpermute_b32 v10, v13, v6
	ds_bpermute_b32 v11, v13, v7
	ds_bpermute_b32 v12, v13, v8
	ds_bpermute_b32 v13, v13, v9
	s_waitcnt lgkmcnt(2)
	v_add_f64 v[6:7], v[6:7], v[10:11]
	v_xor_b32_e32 v10, 2, v14
	s_waitcnt lgkmcnt(0)
	v_add_f64 v[8:9], v[8:9], v[12:13]
	v_cmp_gt_i32_e32 vcc_lo, 32, v10
	v_cndmask_b32_e32 v10, v14, v10, vcc_lo
	v_lshlrev_b32_e32 v13, 2, v10
	ds_bpermute_b32 v10, v13, v6
	ds_bpermute_b32 v11, v13, v7
	;; [unrolled: 1-line block ×4, first 2 shown]
	s_waitcnt lgkmcnt(2)
	v_add_f64 v[6:7], v[6:7], v[10:11]
	s_waitcnt lgkmcnt(0)
	v_add_f64 v[10:11], v[8:9], v[12:13]
	v_xor_b32_e32 v8, 1, v14
	v_cmp_gt_i32_e32 vcc_lo, 32, v8
	v_cndmask_b32_e32 v8, v14, v8, vcc_lo
	v_cmp_eq_u32_e32 vcc_lo, 63, v0
	v_lshlrev_b32_e32 v13, 2, v8
	ds_bpermute_b32 v8, v13, v6
	ds_bpermute_b32 v9, v13, v7
	;; [unrolled: 1-line block ×4, first 2 shown]
	s_and_b32 exec_lo, exec_lo, vcc_lo
	s_cbranch_execz .LBB90_23
; %bb.19:
	s_waitcnt lgkmcnt(2)
	v_add_f64 v[8:9], v[6:7], v[8:9]
	s_waitcnt lgkmcnt(0)
	v_add_f64 v[6:7], v[10:11], v[12:13]
	s_load_dwordx2 s[0:1], s[4:5], 0x38
	s_mov_b32 s2, exec_lo
	v_cmpx_eq_f64_e32 0, v[3:4]
	s_xor_b32 s2, exec_lo, s2
	s_cbranch_execz .LBB90_21
; %bb.20:
	v_lshlrev_b32_e32 v0, 1, v5
	v_mul_f64 v[3:4], v[1:2], v[8:9]
	v_mul_f64 v[5:6], v[1:2], v[6:7]
                                        ; implicit-def: $vgpr8_vgpr9
	v_ashrrev_i32_e32 v1, 31, v0
	v_lshlrev_b64 v[0:1], 3, v[0:1]
	s_waitcnt lgkmcnt(0)
	v_add_co_u32 v0, vcc_lo, s0, v0
	v_add_co_ci_u32_e64 v1, null, s1, v1, vcc_lo
	global_store_dwordx4 v[0:1], v[3:6], off
                                        ; implicit-def: $vgpr5
                                        ; implicit-def: $vgpr1_vgpr2
                                        ; implicit-def: $vgpr3_vgpr4
                                        ; implicit-def: $vgpr6_vgpr7
.LBB90_21:
	s_andn2_saveexec_b32 s2, s2
	s_cbranch_execz .LBB90_23
; %bb.22:
	v_lshlrev_b32_e32 v10, 1, v5
	v_mul_f64 v[8:9], v[1:2], v[8:9]
	v_mul_f64 v[5:6], v[1:2], v[6:7]
	v_ashrrev_i32_e32 v11, 31, v10
	v_lshlrev_b64 v[10:11], 3, v[10:11]
	s_waitcnt lgkmcnt(0)
	v_add_co_u32 v14, vcc_lo, s0, v10
	v_add_co_ci_u32_e64 v15, null, s1, v11, vcc_lo
	global_load_dwordx4 v[10:13], v[14:15], off
	s_waitcnt vmcnt(0)
	v_fma_f64 v[0:1], v[3:4], v[10:11], v[8:9]
	v_fma_f64 v[2:3], v[3:4], v[12:13], v[5:6]
	global_store_dwordx4 v[14:15], v[0:3], off
.LBB90_23:
	s_endpgm
	.section	.rodata,"a",@progbits
	.p2align	6, 0x0
	.amdhsa_kernel _ZN9rocsparseL19gebsrmvn_2xn_kernelILj128ELj4ELj64EdEEvi20rocsparse_direction_NS_24const_host_device_scalarIT2_EEPKiS6_PKS3_S8_S4_PS3_21rocsparse_index_base_b
		.amdhsa_group_segment_fixed_size 0
		.amdhsa_private_segment_fixed_size 0
		.amdhsa_kernarg_size 72
		.amdhsa_user_sgpr_count 6
		.amdhsa_user_sgpr_private_segment_buffer 1
		.amdhsa_user_sgpr_dispatch_ptr 0
		.amdhsa_user_sgpr_queue_ptr 0
		.amdhsa_user_sgpr_kernarg_segment_ptr 1
		.amdhsa_user_sgpr_dispatch_id 0
		.amdhsa_user_sgpr_flat_scratch_init 0
		.amdhsa_user_sgpr_private_segment_size 0
		.amdhsa_wavefront_size32 1
		.amdhsa_uses_dynamic_stack 0
		.amdhsa_system_sgpr_private_segment_wavefront_offset 0
		.amdhsa_system_sgpr_workgroup_id_x 1
		.amdhsa_system_sgpr_workgroup_id_y 0
		.amdhsa_system_sgpr_workgroup_id_z 0
		.amdhsa_system_sgpr_workgroup_info 0
		.amdhsa_system_vgpr_workitem_id 0
		.amdhsa_next_free_vgpr 40
		.amdhsa_next_free_sgpr 16
		.amdhsa_reserve_vcc 1
		.amdhsa_reserve_flat_scratch 0
		.amdhsa_float_round_mode_32 0
		.amdhsa_float_round_mode_16_64 0
		.amdhsa_float_denorm_mode_32 3
		.amdhsa_float_denorm_mode_16_64 3
		.amdhsa_dx10_clamp 1
		.amdhsa_ieee_mode 1
		.amdhsa_fp16_overflow 0
		.amdhsa_workgroup_processor_mode 1
		.amdhsa_memory_ordered 1
		.amdhsa_forward_progress 1
		.amdhsa_shared_vgpr_count 0
		.amdhsa_exception_fp_ieee_invalid_op 0
		.amdhsa_exception_fp_denorm_src 0
		.amdhsa_exception_fp_ieee_div_zero 0
		.amdhsa_exception_fp_ieee_overflow 0
		.amdhsa_exception_fp_ieee_underflow 0
		.amdhsa_exception_fp_ieee_inexact 0
		.amdhsa_exception_int_div_zero 0
	.end_amdhsa_kernel
	.section	.text._ZN9rocsparseL19gebsrmvn_2xn_kernelILj128ELj4ELj64EdEEvi20rocsparse_direction_NS_24const_host_device_scalarIT2_EEPKiS6_PKS3_S8_S4_PS3_21rocsparse_index_base_b,"axG",@progbits,_ZN9rocsparseL19gebsrmvn_2xn_kernelILj128ELj4ELj64EdEEvi20rocsparse_direction_NS_24const_host_device_scalarIT2_EEPKiS6_PKS3_S8_S4_PS3_21rocsparse_index_base_b,comdat
.Lfunc_end90:
	.size	_ZN9rocsparseL19gebsrmvn_2xn_kernelILj128ELj4ELj64EdEEvi20rocsparse_direction_NS_24const_host_device_scalarIT2_EEPKiS6_PKS3_S8_S4_PS3_21rocsparse_index_base_b, .Lfunc_end90-_ZN9rocsparseL19gebsrmvn_2xn_kernelILj128ELj4ELj64EdEEvi20rocsparse_direction_NS_24const_host_device_scalarIT2_EEPKiS6_PKS3_S8_S4_PS3_21rocsparse_index_base_b
                                        ; -- End function
	.set _ZN9rocsparseL19gebsrmvn_2xn_kernelILj128ELj4ELj64EdEEvi20rocsparse_direction_NS_24const_host_device_scalarIT2_EEPKiS6_PKS3_S8_S4_PS3_21rocsparse_index_base_b.num_vgpr, 40
	.set _ZN9rocsparseL19gebsrmvn_2xn_kernelILj128ELj4ELj64EdEEvi20rocsparse_direction_NS_24const_host_device_scalarIT2_EEPKiS6_PKS3_S8_S4_PS3_21rocsparse_index_base_b.num_agpr, 0
	.set _ZN9rocsparseL19gebsrmvn_2xn_kernelILj128ELj4ELj64EdEEvi20rocsparse_direction_NS_24const_host_device_scalarIT2_EEPKiS6_PKS3_S8_S4_PS3_21rocsparse_index_base_b.numbered_sgpr, 16
	.set _ZN9rocsparseL19gebsrmvn_2xn_kernelILj128ELj4ELj64EdEEvi20rocsparse_direction_NS_24const_host_device_scalarIT2_EEPKiS6_PKS3_S8_S4_PS3_21rocsparse_index_base_b.num_named_barrier, 0
	.set _ZN9rocsparseL19gebsrmvn_2xn_kernelILj128ELj4ELj64EdEEvi20rocsparse_direction_NS_24const_host_device_scalarIT2_EEPKiS6_PKS3_S8_S4_PS3_21rocsparse_index_base_b.private_seg_size, 0
	.set _ZN9rocsparseL19gebsrmvn_2xn_kernelILj128ELj4ELj64EdEEvi20rocsparse_direction_NS_24const_host_device_scalarIT2_EEPKiS6_PKS3_S8_S4_PS3_21rocsparse_index_base_b.uses_vcc, 1
	.set _ZN9rocsparseL19gebsrmvn_2xn_kernelILj128ELj4ELj64EdEEvi20rocsparse_direction_NS_24const_host_device_scalarIT2_EEPKiS6_PKS3_S8_S4_PS3_21rocsparse_index_base_b.uses_flat_scratch, 0
	.set _ZN9rocsparseL19gebsrmvn_2xn_kernelILj128ELj4ELj64EdEEvi20rocsparse_direction_NS_24const_host_device_scalarIT2_EEPKiS6_PKS3_S8_S4_PS3_21rocsparse_index_base_b.has_dyn_sized_stack, 0
	.set _ZN9rocsparseL19gebsrmvn_2xn_kernelILj128ELj4ELj64EdEEvi20rocsparse_direction_NS_24const_host_device_scalarIT2_EEPKiS6_PKS3_S8_S4_PS3_21rocsparse_index_base_b.has_recursion, 0
	.set _ZN9rocsparseL19gebsrmvn_2xn_kernelILj128ELj4ELj64EdEEvi20rocsparse_direction_NS_24const_host_device_scalarIT2_EEPKiS6_PKS3_S8_S4_PS3_21rocsparse_index_base_b.has_indirect_call, 0
	.section	.AMDGPU.csdata,"",@progbits
; Kernel info:
; codeLenInByte = 1544
; TotalNumSgprs: 18
; NumVgprs: 40
; ScratchSize: 0
; MemoryBound: 1
; FloatMode: 240
; IeeeMode: 1
; LDSByteSize: 0 bytes/workgroup (compile time only)
; SGPRBlocks: 0
; VGPRBlocks: 4
; NumSGPRsForWavesPerEU: 18
; NumVGPRsForWavesPerEU: 40
; Occupancy: 16
; WaveLimiterHint : 1
; COMPUTE_PGM_RSRC2:SCRATCH_EN: 0
; COMPUTE_PGM_RSRC2:USER_SGPR: 6
; COMPUTE_PGM_RSRC2:TRAP_HANDLER: 0
; COMPUTE_PGM_RSRC2:TGID_X_EN: 1
; COMPUTE_PGM_RSRC2:TGID_Y_EN: 0
; COMPUTE_PGM_RSRC2:TGID_Z_EN: 0
; COMPUTE_PGM_RSRC2:TIDIG_COMP_CNT: 0
	.section	.text._ZN9rocsparseL19gebsrmvn_2xn_kernelILj128ELj5ELj4EdEEvi20rocsparse_direction_NS_24const_host_device_scalarIT2_EEPKiS6_PKS3_S8_S4_PS3_21rocsparse_index_base_b,"axG",@progbits,_ZN9rocsparseL19gebsrmvn_2xn_kernelILj128ELj5ELj4EdEEvi20rocsparse_direction_NS_24const_host_device_scalarIT2_EEPKiS6_PKS3_S8_S4_PS3_21rocsparse_index_base_b,comdat
	.globl	_ZN9rocsparseL19gebsrmvn_2xn_kernelILj128ELj5ELj4EdEEvi20rocsparse_direction_NS_24const_host_device_scalarIT2_EEPKiS6_PKS3_S8_S4_PS3_21rocsparse_index_base_b ; -- Begin function _ZN9rocsparseL19gebsrmvn_2xn_kernelILj128ELj5ELj4EdEEvi20rocsparse_direction_NS_24const_host_device_scalarIT2_EEPKiS6_PKS3_S8_S4_PS3_21rocsparse_index_base_b
	.p2align	8
	.type	_ZN9rocsparseL19gebsrmvn_2xn_kernelILj128ELj5ELj4EdEEvi20rocsparse_direction_NS_24const_host_device_scalarIT2_EEPKiS6_PKS3_S8_S4_PS3_21rocsparse_index_base_b,@function
_ZN9rocsparseL19gebsrmvn_2xn_kernelILj128ELj5ELj4EdEEvi20rocsparse_direction_NS_24const_host_device_scalarIT2_EEPKiS6_PKS3_S8_S4_PS3_21rocsparse_index_base_b: ; @_ZN9rocsparseL19gebsrmvn_2xn_kernelILj128ELj5ELj4EdEEvi20rocsparse_direction_NS_24const_host_device_scalarIT2_EEPKiS6_PKS3_S8_S4_PS3_21rocsparse_index_base_b
; %bb.0:
	s_clause 0x2
	s_load_dwordx2 s[2:3], s[4:5], 0x40
	s_load_dwordx2 s[8:9], s[4:5], 0x8
	s_load_dwordx2 s[0:1], s[4:5], 0x30
	s_waitcnt lgkmcnt(0)
	s_bitcmp1_b32 s3, 0
	v_mov_b32_e32 v1, s8
	v_mov_b32_e32 v2, s9
	s_cselect_b32 s3, -1, 0
	s_and_b32 vcc_lo, exec_lo, s3
	s_xor_b32 s3, s3, -1
	s_cbranch_vccnz .LBB91_2
; %bb.1:
	v_mov_b32_e32 v1, s8
	v_mov_b32_e32 v2, s9
	flat_load_dwordx2 v[1:2], v[1:2]
.LBB91_2:
	v_mov_b32_e32 v4, s1
	v_mov_b32_e32 v3, s0
	s_andn2_b32 vcc_lo, exec_lo, s3
	s_cbranch_vccnz .LBB91_4
; %bb.3:
	v_mov_b32_e32 v4, s1
	v_mov_b32_e32 v3, s0
	flat_load_dwordx2 v[3:4], v[3:4]
.LBB91_4:
	s_waitcnt vmcnt(0) lgkmcnt(0)
	v_cmp_neq_f64_e32 vcc_lo, 0, v[1:2]
	v_cmp_neq_f64_e64 s0, 1.0, v[3:4]
	s_or_b32 s0, vcc_lo, s0
	s_and_saveexec_b32 s1, s0
	s_cbranch_execz .LBB91_23
; %bb.5:
	s_load_dwordx2 s[0:1], s[4:5], 0x0
	v_lshrrev_b32_e32 v5, 2, v0
	v_lshl_or_b32 v5, s6, 5, v5
	s_waitcnt lgkmcnt(0)
	v_cmp_gt_i32_e32 vcc_lo, s0, v5
	s_and_b32 exec_lo, exec_lo, vcc_lo
	s_cbranch_execz .LBB91_23
; %bb.6:
	s_load_dwordx8 s[8:15], s[4:5], 0x10
	v_ashrrev_i32_e32 v6, 31, v5
	v_and_b32_e32 v0, 3, v0
	s_cmp_lg_u32 s1, 0
	v_lshlrev_b64 v[6:7], 2, v[5:6]
	s_waitcnt lgkmcnt(0)
	v_add_co_u32 v6, vcc_lo, s8, v6
	v_add_co_ci_u32_e64 v7, null, s9, v7, vcc_lo
	global_load_dwordx2 v[6:7], v[6:7], off
	s_waitcnt vmcnt(0)
	v_subrev_nc_u32_e32 v6, s2, v6
	v_subrev_nc_u32_e32 v17, s2, v7
	v_add_nc_u32_e32 v8, v6, v0
	v_cmp_lt_i32_e64 s0, v8, v17
	s_cbranch_scc0 .LBB91_12
; %bb.7:
	v_mov_b32_e32 v6, 0
	v_mov_b32_e32 v10, 0
	;; [unrolled: 1-line block ×4, first 2 shown]
	s_and_saveexec_b32 s3, s0
	s_cbranch_execz .LBB91_11
; %bb.8:
	v_mad_u64_u32 v[12:13], null, v8, 10, 8
	v_mov_b32_e32 v6, 0
	v_mov_b32_e32 v10, 0
	;; [unrolled: 1-line block ×6, first 2 shown]
	s_mov_b32 s6, 0
.LBB91_9:                               ; =>This Inner Loop Header: Depth=1
	v_ashrrev_i32_e32 v16, 31, v15
	v_add_nc_u32_e32 v13, -8, v12
	v_mov_b32_e32 v35, v14
	v_lshlrev_b64 v[18:19], 2, v[15:16]
	v_add_nc_u32_e32 v15, 4, v15
	v_add_co_u32 v18, vcc_lo, s10, v18
	v_add_co_ci_u32_e64 v19, null, s11, v19, vcc_lo
	global_load_dword v9, v[18:19], off
	v_lshlrev_b64 v[18:19], 3, v[13:14]
	v_add_nc_u32_e32 v13, -6, v12
	v_lshlrev_b64 v[20:21], 3, v[13:14]
	v_add_co_u32 v18, vcc_lo, s12, v18
	v_add_co_ci_u32_e64 v19, null, s13, v19, vcc_lo
	v_add_co_u32 v22, vcc_lo, s12, v20
	s_waitcnt vmcnt(0)
	v_subrev_nc_u32_e32 v9, s2, v9
	v_lshl_add_u32 v34, v9, 2, v9
	v_lshlrev_b64 v[23:24], 3, v[34:35]
	v_add_nc_u32_e32 v13, 1, v34
	v_add_co_u32 v26, s1, s14, v23
	v_add_co_ci_u32_e64 v23, null, s13, v21, vcc_lo
	v_add_co_ci_u32_e64 v27, null, s15, v24, s1
	s_clause 0x1
	global_load_dwordx4 v[18:21], v[18:19], off
	global_load_dwordx4 v[22:25], v[22:23], off
	global_load_dwordx2 v[38:39], v[26:27], off
	v_lshlrev_b64 v[26:27], 3, v[13:14]
	v_add_nc_u32_e32 v13, -4, v12
	v_lshlrev_b64 v[28:29], 3, v[13:14]
	v_add_co_u32 v26, vcc_lo, s14, v26
	v_add_co_ci_u32_e64 v27, null, s15, v27, vcc_lo
	v_add_nc_u32_e32 v13, 2, v34
	v_add_co_u32 v28, vcc_lo, s12, v28
	global_load_dwordx2 v[40:41], v[26:27], off
	v_add_co_ci_u32_e64 v29, null, s13, v29, vcc_lo
	v_lshlrev_b64 v[26:27], 3, v[13:14]
	v_add_nc_u32_e32 v13, -2, v12
	v_add_co_u32 v30, vcc_lo, s14, v26
	v_add_co_ci_u32_e64 v31, null, s15, v27, vcc_lo
	global_load_dwordx4 v[26:29], v[28:29], off
	global_load_dwordx2 v[42:43], v[30:31], off
	v_lshlrev_b64 v[30:31], 3, v[13:14]
	v_add_nc_u32_e32 v13, 3, v34
	v_lshlrev_b64 v[32:33], 3, v[13:14]
	v_add_co_u32 v30, vcc_lo, s12, v30
	v_add_co_ci_u32_e64 v31, null, s13, v31, vcc_lo
	v_mov_b32_e32 v13, v14
	v_add_co_u32 v35, vcc_lo, s14, v32
	v_add_co_ci_u32_e64 v36, null, s15, v33, vcc_lo
	global_load_dwordx4 v[30:33], v[30:31], off
	global_load_dwordx2 v[44:45], v[35:36], off
	v_lshlrev_b64 v[35:36], 3, v[12:13]
	v_add_nc_u32_e32 v13, 4, v34
	v_add_nc_u32_e32 v12, 40, v12
	v_lshlrev_b64 v[46:47], 3, v[13:14]
	v_add_co_u32 v34, vcc_lo, s12, v35
	v_add_co_ci_u32_e64 v35, null, s13, v36, vcc_lo
	v_add_co_u32 v46, vcc_lo, s14, v46
	v_add_co_ci_u32_e64 v47, null, s15, v47, vcc_lo
	global_load_dwordx4 v[34:37], v[34:35], off
	global_load_dwordx2 v[46:47], v[46:47], off
	v_cmp_ge_i32_e32 vcc_lo, v15, v17
	s_or_b32 s6, vcc_lo, s6
	s_waitcnt vmcnt(7)
	v_fma_f64 v[6:7], v[18:19], v[38:39], v[6:7]
	v_fma_f64 v[9:10], v[20:21], v[38:39], v[10:11]
	s_waitcnt vmcnt(6)
	v_fma_f64 v[6:7], v[22:23], v[40:41], v[6:7]
	v_fma_f64 v[9:10], v[24:25], v[40:41], v[9:10]
	;; [unrolled: 3-line block ×5, first 2 shown]
	s_andn2_b32 exec_lo, exec_lo, s6
	s_cbranch_execnz .LBB91_9
; %bb.10:
	s_or_b32 exec_lo, exec_lo, s6
.LBB91_11:
	s_or_b32 exec_lo, exec_lo, s3
	s_cbranch_execz .LBB91_13
	s_branch .LBB91_18
.LBB91_12:
                                        ; implicit-def: $vgpr6_vgpr7
                                        ; implicit-def: $vgpr10_vgpr11
.LBB91_13:
	v_mov_b32_e32 v6, 0
	v_mov_b32_e32 v10, 0
	v_mov_b32_e32 v7, 0
	v_mov_b32_e32 v11, 0
	s_and_saveexec_b32 s1, s0
	s_cbranch_execz .LBB91_17
; %bb.14:
	v_mad_u64_u32 v[12:13], null, v8, 10, 9
	v_mov_b32_e32 v6, 0
	v_mov_b32_e32 v10, 0
	;; [unrolled: 1-line block ×5, first 2 shown]
	s_mov_b32 s3, 0
.LBB91_15:                              ; =>This Inner Loop Header: Depth=1
	v_ashrrev_i32_e32 v9, 31, v8
	v_add_nc_u32_e32 v18, -4, v12
	v_mov_b32_e32 v23, v15
	v_mov_b32_e32 v19, v15
	v_lshlrev_b64 v[13:14], 2, v[8:9]
	v_add_nc_u32_e32 v8, 4, v8
	v_lshlrev_b64 v[18:19], 3, v[18:19]
	v_add_co_u32 v13, vcc_lo, s10, v13
	v_add_co_ci_u32_e64 v14, null, s11, v14, vcc_lo
	global_load_dword v9, v[13:14], off
	v_add_nc_u32_e32 v14, -9, v12
	v_mov_b32_e32 v13, v15
	v_lshlrev_b64 v[20:21], 3, v[14:15]
	v_lshlrev_b64 v[24:25], 3, v[12:13]
	v_add_co_u32 v13, vcc_lo, s12, v20
	v_add_co_ci_u32_e64 v14, null, s13, v21, vcc_lo
	v_add_co_u32 v26, vcc_lo, s12, v18
	v_add_co_ci_u32_e64 v27, null, s13, v19, vcc_lo
	s_clause 0x1
	global_load_dwordx4 v[18:21], v[13:14], off
	global_load_dwordx2 v[26:27], v[26:27], off
	v_add_co_u32 v24, vcc_lo, s12, v24
	v_add_co_ci_u32_e64 v25, null, s13, v25, vcc_lo
	s_waitcnt vmcnt(2)
	v_subrev_nc_u32_e32 v9, s2, v9
	v_lshl_add_u32 v22, v9, 2, v9
	v_lshlrev_b64 v[28:29], 3, v[22:23]
	v_add_nc_u32_e32 v14, 1, v22
	v_lshlrev_b64 v[30:31], 3, v[14:15]
	v_add_co_u32 v28, s0, s14, v28
	v_add_co_ci_u32_e64 v29, null, s15, v29, s0
	v_add_nc_u32_e32 v14, -3, v12
	v_add_co_u32 v30, s0, s14, v30
	global_load_dwordx2 v[28:29], v[28:29], off
	v_add_co_ci_u32_e64 v31, null, s15, v31, s0
	v_lshlrev_b64 v[32:33], 3, v[14:15]
	v_add_nc_u32_e32 v14, -7, v12
	global_load_dwordx2 v[30:31], v[30:31], off
	v_add_co_u32 v32, s0, s12, v32
	v_add_co_ci_u32_e64 v33, null, s13, v33, s0
	v_lshlrev_b64 v[34:35], 3, v[14:15]
	v_add_nc_u32_e32 v14, 2, v22
	global_load_dwordx2 v[32:33], v[32:33], off
	v_lshlrev_b64 v[36:37], 3, v[14:15]
	v_add_nc_u32_e32 v14, -2, v12
	v_add_co_u32 v34, s0, s12, v34
	v_add_co_ci_u32_e64 v35, null, s13, v35, s0
	v_lshlrev_b64 v[38:39], 3, v[14:15]
	v_add_co_u32 v36, s0, s14, v36
	v_add_co_ci_u32_e64 v37, null, s15, v37, s0
	v_add_nc_u32_e32 v14, -6, v12
	v_add_co_u32 v38, s0, s12, v38
	v_add_co_ci_u32_e64 v39, null, s13, v39, s0
	global_load_dwordx2 v[34:35], v[34:35], off
	v_lshlrev_b64 v[40:41], 3, v[14:15]
	v_add_nc_u32_e32 v14, 3, v22
	global_load_dwordx2 v[36:37], v[36:37], off
	global_load_dwordx2 v[38:39], v[38:39], off
	v_lshlrev_b64 v[42:43], 3, v[14:15]
	v_add_nc_u32_e32 v14, -1, v12
	v_add_co_u32 v40, s0, s12, v40
	v_add_co_ci_u32_e64 v41, null, s13, v41, s0
	v_lshlrev_b64 v[13:14], 3, v[14:15]
	v_add_co_u32 v42, s0, s14, v42
	v_add_co_ci_u32_e64 v43, null, s15, v43, s0
	global_load_dwordx2 v[40:41], v[40:41], off
	v_add_co_u32 v13, s0, s12, v13
	v_add_co_ci_u32_e64 v14, null, s13, v14, s0
	global_load_dwordx2 v[42:43], v[42:43], off
	global_load_dwordx2 v[44:45], v[13:14], off
	v_add_nc_u32_e32 v14, -5, v12
	v_add_nc_u32_e32 v12, 40, v12
	v_lshlrev_b64 v[46:47], 3, v[14:15]
	v_add_nc_u32_e32 v14, 4, v22
	v_lshlrev_b64 v[13:14], 3, v[14:15]
	v_add_co_u32 v22, vcc_lo, s12, v46
	v_add_co_ci_u32_e64 v23, null, s13, v47, vcc_lo
	v_add_co_u32 v13, vcc_lo, s14, v13
	v_add_co_ci_u32_e64 v14, null, s15, v14, vcc_lo
	s_clause 0x1
	global_load_dwordx2 v[24:25], v[24:25], off
	global_load_dwordx2 v[22:23], v[22:23], off
	;; [unrolled: 1-line block ×3, first 2 shown]
	v_cmp_ge_i32_e32 vcc_lo, v8, v17
	s_or_b32 s3, vcc_lo, s3
	s_waitcnt vmcnt(11)
	v_fma_f64 v[6:7], v[18:19], v[28:29], v[6:7]
	v_fma_f64 v[9:10], v[26:27], v[28:29], v[10:11]
	s_waitcnt vmcnt(10)
	v_fma_f64 v[6:7], v[20:21], v[30:31], v[6:7]
	s_waitcnt vmcnt(9)
	;; [unrolled: 2-line block ×7, first 2 shown]
	v_fma_f64 v[6:7], v[22:23], v[13:14], v[6:7]
	v_fma_f64 v[10:11], v[24:25], v[13:14], v[9:10]
	s_andn2_b32 exec_lo, exec_lo, s3
	s_cbranch_execnz .LBB91_15
; %bb.16:
	s_or_b32 exec_lo, exec_lo, s3
.LBB91_17:
	s_or_b32 exec_lo, exec_lo, s1
.LBB91_18:
	v_mbcnt_lo_u32_b32 v14, -1, 0
	v_xor_b32_e32 v8, 2, v14
	v_cmp_gt_i32_e32 vcc_lo, 32, v8
	v_cndmask_b32_e32 v8, v14, v8, vcc_lo
	v_lshlrev_b32_e32 v13, 2, v8
	ds_bpermute_b32 v8, v13, v6
	ds_bpermute_b32 v9, v13, v7
	;; [unrolled: 1-line block ×4, first 2 shown]
	s_waitcnt lgkmcnt(2)
	v_add_f64 v[6:7], v[6:7], v[8:9]
	v_xor_b32_e32 v8, 1, v14
	s_waitcnt lgkmcnt(0)
	v_add_f64 v[10:11], v[10:11], v[12:13]
	v_cmp_gt_i32_e32 vcc_lo, 32, v8
	v_cndmask_b32_e32 v8, v14, v8, vcc_lo
	v_cmp_eq_u32_e32 vcc_lo, 3, v0
	v_lshlrev_b32_e32 v13, 2, v8
	ds_bpermute_b32 v8, v13, v6
	ds_bpermute_b32 v9, v13, v7
	;; [unrolled: 1-line block ×4, first 2 shown]
	s_and_b32 exec_lo, exec_lo, vcc_lo
	s_cbranch_execz .LBB91_23
; %bb.19:
	s_waitcnt lgkmcnt(2)
	v_add_f64 v[8:9], v[6:7], v[8:9]
	s_waitcnt lgkmcnt(0)
	v_add_f64 v[6:7], v[10:11], v[12:13]
	s_load_dwordx2 s[0:1], s[4:5], 0x38
	s_mov_b32 s2, exec_lo
	v_cmpx_eq_f64_e32 0, v[3:4]
	s_xor_b32 s2, exec_lo, s2
	s_cbranch_execz .LBB91_21
; %bb.20:
	v_lshlrev_b32_e32 v0, 1, v5
	v_mul_f64 v[3:4], v[1:2], v[8:9]
	v_mul_f64 v[5:6], v[1:2], v[6:7]
                                        ; implicit-def: $vgpr8_vgpr9
	v_ashrrev_i32_e32 v1, 31, v0
	v_lshlrev_b64 v[0:1], 3, v[0:1]
	s_waitcnt lgkmcnt(0)
	v_add_co_u32 v0, vcc_lo, s0, v0
	v_add_co_ci_u32_e64 v1, null, s1, v1, vcc_lo
	global_store_dwordx4 v[0:1], v[3:6], off
                                        ; implicit-def: $vgpr5
                                        ; implicit-def: $vgpr1_vgpr2
                                        ; implicit-def: $vgpr3_vgpr4
                                        ; implicit-def: $vgpr6_vgpr7
.LBB91_21:
	s_andn2_saveexec_b32 s2, s2
	s_cbranch_execz .LBB91_23
; %bb.22:
	v_lshlrev_b32_e32 v10, 1, v5
	v_mul_f64 v[8:9], v[1:2], v[8:9]
	v_mul_f64 v[5:6], v[1:2], v[6:7]
	v_ashrrev_i32_e32 v11, 31, v10
	v_lshlrev_b64 v[10:11], 3, v[10:11]
	s_waitcnt lgkmcnt(0)
	v_add_co_u32 v14, vcc_lo, s0, v10
	v_add_co_ci_u32_e64 v15, null, s1, v11, vcc_lo
	global_load_dwordx4 v[10:13], v[14:15], off
	s_waitcnt vmcnt(0)
	v_fma_f64 v[0:1], v[3:4], v[10:11], v[8:9]
	v_fma_f64 v[2:3], v[3:4], v[12:13], v[5:6]
	global_store_dwordx4 v[14:15], v[0:3], off
.LBB91_23:
	s_endpgm
	.section	.rodata,"a",@progbits
	.p2align	6, 0x0
	.amdhsa_kernel _ZN9rocsparseL19gebsrmvn_2xn_kernelILj128ELj5ELj4EdEEvi20rocsparse_direction_NS_24const_host_device_scalarIT2_EEPKiS6_PKS3_S8_S4_PS3_21rocsparse_index_base_b
		.amdhsa_group_segment_fixed_size 0
		.amdhsa_private_segment_fixed_size 0
		.amdhsa_kernarg_size 72
		.amdhsa_user_sgpr_count 6
		.amdhsa_user_sgpr_private_segment_buffer 1
		.amdhsa_user_sgpr_dispatch_ptr 0
		.amdhsa_user_sgpr_queue_ptr 0
		.amdhsa_user_sgpr_kernarg_segment_ptr 1
		.amdhsa_user_sgpr_dispatch_id 0
		.amdhsa_user_sgpr_flat_scratch_init 0
		.amdhsa_user_sgpr_private_segment_size 0
		.amdhsa_wavefront_size32 1
		.amdhsa_uses_dynamic_stack 0
		.amdhsa_system_sgpr_private_segment_wavefront_offset 0
		.amdhsa_system_sgpr_workgroup_id_x 1
		.amdhsa_system_sgpr_workgroup_id_y 0
		.amdhsa_system_sgpr_workgroup_id_z 0
		.amdhsa_system_sgpr_workgroup_info 0
		.amdhsa_system_vgpr_workitem_id 0
		.amdhsa_next_free_vgpr 48
		.amdhsa_next_free_sgpr 16
		.amdhsa_reserve_vcc 1
		.amdhsa_reserve_flat_scratch 0
		.amdhsa_float_round_mode_32 0
		.amdhsa_float_round_mode_16_64 0
		.amdhsa_float_denorm_mode_32 3
		.amdhsa_float_denorm_mode_16_64 3
		.amdhsa_dx10_clamp 1
		.amdhsa_ieee_mode 1
		.amdhsa_fp16_overflow 0
		.amdhsa_workgroup_processor_mode 1
		.amdhsa_memory_ordered 1
		.amdhsa_forward_progress 1
		.amdhsa_shared_vgpr_count 0
		.amdhsa_exception_fp_ieee_invalid_op 0
		.amdhsa_exception_fp_denorm_src 0
		.amdhsa_exception_fp_ieee_div_zero 0
		.amdhsa_exception_fp_ieee_overflow 0
		.amdhsa_exception_fp_ieee_underflow 0
		.amdhsa_exception_fp_ieee_inexact 0
		.amdhsa_exception_int_div_zero 0
	.end_amdhsa_kernel
	.section	.text._ZN9rocsparseL19gebsrmvn_2xn_kernelILj128ELj5ELj4EdEEvi20rocsparse_direction_NS_24const_host_device_scalarIT2_EEPKiS6_PKS3_S8_S4_PS3_21rocsparse_index_base_b,"axG",@progbits,_ZN9rocsparseL19gebsrmvn_2xn_kernelILj128ELj5ELj4EdEEvi20rocsparse_direction_NS_24const_host_device_scalarIT2_EEPKiS6_PKS3_S8_S4_PS3_21rocsparse_index_base_b,comdat
.Lfunc_end91:
	.size	_ZN9rocsparseL19gebsrmvn_2xn_kernelILj128ELj5ELj4EdEEvi20rocsparse_direction_NS_24const_host_device_scalarIT2_EEPKiS6_PKS3_S8_S4_PS3_21rocsparse_index_base_b, .Lfunc_end91-_ZN9rocsparseL19gebsrmvn_2xn_kernelILj128ELj5ELj4EdEEvi20rocsparse_direction_NS_24const_host_device_scalarIT2_EEPKiS6_PKS3_S8_S4_PS3_21rocsparse_index_base_b
                                        ; -- End function
	.set _ZN9rocsparseL19gebsrmvn_2xn_kernelILj128ELj5ELj4EdEEvi20rocsparse_direction_NS_24const_host_device_scalarIT2_EEPKiS6_PKS3_S8_S4_PS3_21rocsparse_index_base_b.num_vgpr, 48
	.set _ZN9rocsparseL19gebsrmvn_2xn_kernelILj128ELj5ELj4EdEEvi20rocsparse_direction_NS_24const_host_device_scalarIT2_EEPKiS6_PKS3_S8_S4_PS3_21rocsparse_index_base_b.num_agpr, 0
	.set _ZN9rocsparseL19gebsrmvn_2xn_kernelILj128ELj5ELj4EdEEvi20rocsparse_direction_NS_24const_host_device_scalarIT2_EEPKiS6_PKS3_S8_S4_PS3_21rocsparse_index_base_b.numbered_sgpr, 16
	.set _ZN9rocsparseL19gebsrmvn_2xn_kernelILj128ELj5ELj4EdEEvi20rocsparse_direction_NS_24const_host_device_scalarIT2_EEPKiS6_PKS3_S8_S4_PS3_21rocsparse_index_base_b.num_named_barrier, 0
	.set _ZN9rocsparseL19gebsrmvn_2xn_kernelILj128ELj5ELj4EdEEvi20rocsparse_direction_NS_24const_host_device_scalarIT2_EEPKiS6_PKS3_S8_S4_PS3_21rocsparse_index_base_b.private_seg_size, 0
	.set _ZN9rocsparseL19gebsrmvn_2xn_kernelILj128ELj5ELj4EdEEvi20rocsparse_direction_NS_24const_host_device_scalarIT2_EEPKiS6_PKS3_S8_S4_PS3_21rocsparse_index_base_b.uses_vcc, 1
	.set _ZN9rocsparseL19gebsrmvn_2xn_kernelILj128ELj5ELj4EdEEvi20rocsparse_direction_NS_24const_host_device_scalarIT2_EEPKiS6_PKS3_S8_S4_PS3_21rocsparse_index_base_b.uses_flat_scratch, 0
	.set _ZN9rocsparseL19gebsrmvn_2xn_kernelILj128ELj5ELj4EdEEvi20rocsparse_direction_NS_24const_host_device_scalarIT2_EEPKiS6_PKS3_S8_S4_PS3_21rocsparse_index_base_b.has_dyn_sized_stack, 0
	.set _ZN9rocsparseL19gebsrmvn_2xn_kernelILj128ELj5ELj4EdEEvi20rocsparse_direction_NS_24const_host_device_scalarIT2_EEPKiS6_PKS3_S8_S4_PS3_21rocsparse_index_base_b.has_recursion, 0
	.set _ZN9rocsparseL19gebsrmvn_2xn_kernelILj128ELj5ELj4EdEEvi20rocsparse_direction_NS_24const_host_device_scalarIT2_EEPKiS6_PKS3_S8_S4_PS3_21rocsparse_index_base_b.has_indirect_call, 0
	.section	.AMDGPU.csdata,"",@progbits
; Kernel info:
; codeLenInByte = 1988
; TotalNumSgprs: 18
; NumVgprs: 48
; ScratchSize: 0
; MemoryBound: 0
; FloatMode: 240
; IeeeMode: 1
; LDSByteSize: 0 bytes/workgroup (compile time only)
; SGPRBlocks: 0
; VGPRBlocks: 5
; NumSGPRsForWavesPerEU: 18
; NumVGPRsForWavesPerEU: 48
; Occupancy: 16
; WaveLimiterHint : 1
; COMPUTE_PGM_RSRC2:SCRATCH_EN: 0
; COMPUTE_PGM_RSRC2:USER_SGPR: 6
; COMPUTE_PGM_RSRC2:TRAP_HANDLER: 0
; COMPUTE_PGM_RSRC2:TGID_X_EN: 1
; COMPUTE_PGM_RSRC2:TGID_Y_EN: 0
; COMPUTE_PGM_RSRC2:TGID_Z_EN: 0
; COMPUTE_PGM_RSRC2:TIDIG_COMP_CNT: 0
	.section	.text._ZN9rocsparseL19gebsrmvn_2xn_kernelILj128ELj5ELj8EdEEvi20rocsparse_direction_NS_24const_host_device_scalarIT2_EEPKiS6_PKS3_S8_S4_PS3_21rocsparse_index_base_b,"axG",@progbits,_ZN9rocsparseL19gebsrmvn_2xn_kernelILj128ELj5ELj8EdEEvi20rocsparse_direction_NS_24const_host_device_scalarIT2_EEPKiS6_PKS3_S8_S4_PS3_21rocsparse_index_base_b,comdat
	.globl	_ZN9rocsparseL19gebsrmvn_2xn_kernelILj128ELj5ELj8EdEEvi20rocsparse_direction_NS_24const_host_device_scalarIT2_EEPKiS6_PKS3_S8_S4_PS3_21rocsparse_index_base_b ; -- Begin function _ZN9rocsparseL19gebsrmvn_2xn_kernelILj128ELj5ELj8EdEEvi20rocsparse_direction_NS_24const_host_device_scalarIT2_EEPKiS6_PKS3_S8_S4_PS3_21rocsparse_index_base_b
	.p2align	8
	.type	_ZN9rocsparseL19gebsrmvn_2xn_kernelILj128ELj5ELj8EdEEvi20rocsparse_direction_NS_24const_host_device_scalarIT2_EEPKiS6_PKS3_S8_S4_PS3_21rocsparse_index_base_b,@function
_ZN9rocsparseL19gebsrmvn_2xn_kernelILj128ELj5ELj8EdEEvi20rocsparse_direction_NS_24const_host_device_scalarIT2_EEPKiS6_PKS3_S8_S4_PS3_21rocsparse_index_base_b: ; @_ZN9rocsparseL19gebsrmvn_2xn_kernelILj128ELj5ELj8EdEEvi20rocsparse_direction_NS_24const_host_device_scalarIT2_EEPKiS6_PKS3_S8_S4_PS3_21rocsparse_index_base_b
; %bb.0:
	s_clause 0x2
	s_load_dwordx2 s[2:3], s[4:5], 0x40
	s_load_dwordx2 s[8:9], s[4:5], 0x8
	;; [unrolled: 1-line block ×3, first 2 shown]
	s_waitcnt lgkmcnt(0)
	s_bitcmp1_b32 s3, 0
	v_mov_b32_e32 v1, s8
	v_mov_b32_e32 v2, s9
	s_cselect_b32 s3, -1, 0
	s_and_b32 vcc_lo, exec_lo, s3
	s_xor_b32 s3, s3, -1
	s_cbranch_vccnz .LBB92_2
; %bb.1:
	v_mov_b32_e32 v1, s8
	v_mov_b32_e32 v2, s9
	flat_load_dwordx2 v[1:2], v[1:2]
.LBB92_2:
	v_mov_b32_e32 v4, s1
	v_mov_b32_e32 v3, s0
	s_andn2_b32 vcc_lo, exec_lo, s3
	s_cbranch_vccnz .LBB92_4
; %bb.3:
	v_mov_b32_e32 v4, s1
	v_mov_b32_e32 v3, s0
	flat_load_dwordx2 v[3:4], v[3:4]
.LBB92_4:
	s_waitcnt vmcnt(0) lgkmcnt(0)
	v_cmp_neq_f64_e32 vcc_lo, 0, v[1:2]
	v_cmp_neq_f64_e64 s0, 1.0, v[3:4]
	s_or_b32 s0, vcc_lo, s0
	s_and_saveexec_b32 s1, s0
	s_cbranch_execz .LBB92_23
; %bb.5:
	s_load_dwordx2 s[0:1], s[4:5], 0x0
	v_lshrrev_b32_e32 v5, 3, v0
	v_lshl_or_b32 v5, s6, 4, v5
	s_waitcnt lgkmcnt(0)
	v_cmp_gt_i32_e32 vcc_lo, s0, v5
	s_and_b32 exec_lo, exec_lo, vcc_lo
	s_cbranch_execz .LBB92_23
; %bb.6:
	s_load_dwordx8 s[8:15], s[4:5], 0x10
	v_ashrrev_i32_e32 v6, 31, v5
	v_and_b32_e32 v0, 7, v0
	s_cmp_lg_u32 s1, 0
	v_lshlrev_b64 v[6:7], 2, v[5:6]
	s_waitcnt lgkmcnt(0)
	v_add_co_u32 v6, vcc_lo, s8, v6
	v_add_co_ci_u32_e64 v7, null, s9, v7, vcc_lo
	global_load_dwordx2 v[6:7], v[6:7], off
	s_waitcnt vmcnt(0)
	v_subrev_nc_u32_e32 v6, s2, v6
	v_subrev_nc_u32_e32 v17, s2, v7
	v_add_nc_u32_e32 v8, v6, v0
	v_cmp_lt_i32_e64 s0, v8, v17
	s_cbranch_scc0 .LBB92_12
; %bb.7:
	v_mov_b32_e32 v6, 0
	v_mov_b32_e32 v10, 0
	;; [unrolled: 1-line block ×4, first 2 shown]
	s_and_saveexec_b32 s3, s0
	s_cbranch_execz .LBB92_11
; %bb.8:
	v_mad_u64_u32 v[12:13], null, v8, 10, 8
	v_mov_b32_e32 v6, 0
	v_mov_b32_e32 v10, 0
	;; [unrolled: 1-line block ×6, first 2 shown]
	s_mov_b32 s6, 0
.LBB92_9:                               ; =>This Inner Loop Header: Depth=1
	v_ashrrev_i32_e32 v16, 31, v15
	v_add_nc_u32_e32 v13, -8, v12
	v_mov_b32_e32 v35, v14
	v_lshlrev_b64 v[18:19], 2, v[15:16]
	v_add_nc_u32_e32 v15, 8, v15
	v_add_co_u32 v18, vcc_lo, s10, v18
	v_add_co_ci_u32_e64 v19, null, s11, v19, vcc_lo
	global_load_dword v9, v[18:19], off
	v_lshlrev_b64 v[18:19], 3, v[13:14]
	v_add_nc_u32_e32 v13, -6, v12
	v_lshlrev_b64 v[20:21], 3, v[13:14]
	v_add_co_u32 v18, vcc_lo, s12, v18
	v_add_co_ci_u32_e64 v19, null, s13, v19, vcc_lo
	v_add_co_u32 v22, vcc_lo, s12, v20
	s_waitcnt vmcnt(0)
	v_subrev_nc_u32_e32 v9, s2, v9
	v_lshl_add_u32 v34, v9, 2, v9
	v_lshlrev_b64 v[23:24], 3, v[34:35]
	v_add_nc_u32_e32 v13, 1, v34
	v_add_co_u32 v26, s1, s14, v23
	v_add_co_ci_u32_e64 v23, null, s13, v21, vcc_lo
	v_add_co_ci_u32_e64 v27, null, s15, v24, s1
	s_clause 0x1
	global_load_dwordx4 v[18:21], v[18:19], off
	global_load_dwordx4 v[22:25], v[22:23], off
	global_load_dwordx2 v[38:39], v[26:27], off
	v_lshlrev_b64 v[26:27], 3, v[13:14]
	v_add_nc_u32_e32 v13, -4, v12
	v_lshlrev_b64 v[28:29], 3, v[13:14]
	v_add_co_u32 v26, vcc_lo, s14, v26
	v_add_co_ci_u32_e64 v27, null, s15, v27, vcc_lo
	v_add_nc_u32_e32 v13, 2, v34
	v_add_co_u32 v28, vcc_lo, s12, v28
	global_load_dwordx2 v[40:41], v[26:27], off
	v_add_co_ci_u32_e64 v29, null, s13, v29, vcc_lo
	v_lshlrev_b64 v[26:27], 3, v[13:14]
	v_add_nc_u32_e32 v13, -2, v12
	v_add_co_u32 v30, vcc_lo, s14, v26
	v_add_co_ci_u32_e64 v31, null, s15, v27, vcc_lo
	global_load_dwordx4 v[26:29], v[28:29], off
	global_load_dwordx2 v[42:43], v[30:31], off
	v_lshlrev_b64 v[30:31], 3, v[13:14]
	v_add_nc_u32_e32 v13, 3, v34
	v_lshlrev_b64 v[32:33], 3, v[13:14]
	v_add_co_u32 v30, vcc_lo, s12, v30
	v_add_co_ci_u32_e64 v31, null, s13, v31, vcc_lo
	v_mov_b32_e32 v13, v14
	v_add_co_u32 v35, vcc_lo, s14, v32
	v_add_co_ci_u32_e64 v36, null, s15, v33, vcc_lo
	global_load_dwordx4 v[30:33], v[30:31], off
	global_load_dwordx2 v[44:45], v[35:36], off
	v_lshlrev_b64 v[35:36], 3, v[12:13]
	v_add_nc_u32_e32 v13, 4, v34
	v_add_nc_u32_e32 v12, 0x50, v12
	v_lshlrev_b64 v[46:47], 3, v[13:14]
	v_add_co_u32 v34, vcc_lo, s12, v35
	v_add_co_ci_u32_e64 v35, null, s13, v36, vcc_lo
	v_add_co_u32 v46, vcc_lo, s14, v46
	v_add_co_ci_u32_e64 v47, null, s15, v47, vcc_lo
	global_load_dwordx4 v[34:37], v[34:35], off
	global_load_dwordx2 v[46:47], v[46:47], off
	v_cmp_ge_i32_e32 vcc_lo, v15, v17
	s_or_b32 s6, vcc_lo, s6
	s_waitcnt vmcnt(7)
	v_fma_f64 v[6:7], v[18:19], v[38:39], v[6:7]
	v_fma_f64 v[9:10], v[20:21], v[38:39], v[10:11]
	s_waitcnt vmcnt(6)
	v_fma_f64 v[6:7], v[22:23], v[40:41], v[6:7]
	v_fma_f64 v[9:10], v[24:25], v[40:41], v[9:10]
	s_waitcnt vmcnt(4)
	v_fma_f64 v[6:7], v[26:27], v[42:43], v[6:7]
	v_fma_f64 v[9:10], v[28:29], v[42:43], v[9:10]
	s_waitcnt vmcnt(2)
	v_fma_f64 v[6:7], v[30:31], v[44:45], v[6:7]
	v_fma_f64 v[9:10], v[32:33], v[44:45], v[9:10]
	s_waitcnt vmcnt(0)
	v_fma_f64 v[6:7], v[34:35], v[46:47], v[6:7]
	v_fma_f64 v[10:11], v[36:37], v[46:47], v[9:10]
	s_andn2_b32 exec_lo, exec_lo, s6
	s_cbranch_execnz .LBB92_9
; %bb.10:
	s_or_b32 exec_lo, exec_lo, s6
.LBB92_11:
	s_or_b32 exec_lo, exec_lo, s3
	s_cbranch_execz .LBB92_13
	s_branch .LBB92_18
.LBB92_12:
                                        ; implicit-def: $vgpr6_vgpr7
                                        ; implicit-def: $vgpr10_vgpr11
.LBB92_13:
	v_mov_b32_e32 v6, 0
	v_mov_b32_e32 v10, 0
	;; [unrolled: 1-line block ×4, first 2 shown]
	s_and_saveexec_b32 s1, s0
	s_cbranch_execz .LBB92_17
; %bb.14:
	v_mad_u64_u32 v[12:13], null, v8, 10, 9
	v_mov_b32_e32 v6, 0
	v_mov_b32_e32 v10, 0
	;; [unrolled: 1-line block ×5, first 2 shown]
	s_mov_b32 s3, 0
.LBB92_15:                              ; =>This Inner Loop Header: Depth=1
	v_ashrrev_i32_e32 v9, 31, v8
	v_add_nc_u32_e32 v18, -4, v12
	v_mov_b32_e32 v23, v15
	v_mov_b32_e32 v19, v15
	v_lshlrev_b64 v[13:14], 2, v[8:9]
	v_add_nc_u32_e32 v8, 8, v8
	v_lshlrev_b64 v[18:19], 3, v[18:19]
	v_add_co_u32 v13, vcc_lo, s10, v13
	v_add_co_ci_u32_e64 v14, null, s11, v14, vcc_lo
	global_load_dword v9, v[13:14], off
	v_add_nc_u32_e32 v14, -9, v12
	v_mov_b32_e32 v13, v15
	v_lshlrev_b64 v[20:21], 3, v[14:15]
	v_lshlrev_b64 v[24:25], 3, v[12:13]
	v_add_co_u32 v13, vcc_lo, s12, v20
	v_add_co_ci_u32_e64 v14, null, s13, v21, vcc_lo
	v_add_co_u32 v26, vcc_lo, s12, v18
	v_add_co_ci_u32_e64 v27, null, s13, v19, vcc_lo
	s_clause 0x1
	global_load_dwordx4 v[18:21], v[13:14], off
	global_load_dwordx2 v[26:27], v[26:27], off
	v_add_co_u32 v24, vcc_lo, s12, v24
	v_add_co_ci_u32_e64 v25, null, s13, v25, vcc_lo
	s_waitcnt vmcnt(2)
	v_subrev_nc_u32_e32 v9, s2, v9
	v_lshl_add_u32 v22, v9, 2, v9
	v_lshlrev_b64 v[28:29], 3, v[22:23]
	v_add_nc_u32_e32 v14, 1, v22
	v_lshlrev_b64 v[30:31], 3, v[14:15]
	v_add_co_u32 v28, s0, s14, v28
	v_add_co_ci_u32_e64 v29, null, s15, v29, s0
	v_add_nc_u32_e32 v14, -3, v12
	v_add_co_u32 v30, s0, s14, v30
	global_load_dwordx2 v[28:29], v[28:29], off
	v_add_co_ci_u32_e64 v31, null, s15, v31, s0
	v_lshlrev_b64 v[32:33], 3, v[14:15]
	v_add_nc_u32_e32 v14, -7, v12
	global_load_dwordx2 v[30:31], v[30:31], off
	v_add_co_u32 v32, s0, s12, v32
	v_add_co_ci_u32_e64 v33, null, s13, v33, s0
	v_lshlrev_b64 v[34:35], 3, v[14:15]
	v_add_nc_u32_e32 v14, 2, v22
	global_load_dwordx2 v[32:33], v[32:33], off
	v_lshlrev_b64 v[36:37], 3, v[14:15]
	v_add_nc_u32_e32 v14, -2, v12
	v_add_co_u32 v34, s0, s12, v34
	v_add_co_ci_u32_e64 v35, null, s13, v35, s0
	v_lshlrev_b64 v[38:39], 3, v[14:15]
	v_add_co_u32 v36, s0, s14, v36
	v_add_co_ci_u32_e64 v37, null, s15, v37, s0
	v_add_nc_u32_e32 v14, -6, v12
	v_add_co_u32 v38, s0, s12, v38
	v_add_co_ci_u32_e64 v39, null, s13, v39, s0
	global_load_dwordx2 v[34:35], v[34:35], off
	v_lshlrev_b64 v[40:41], 3, v[14:15]
	v_add_nc_u32_e32 v14, 3, v22
	global_load_dwordx2 v[36:37], v[36:37], off
	global_load_dwordx2 v[38:39], v[38:39], off
	v_lshlrev_b64 v[42:43], 3, v[14:15]
	v_add_nc_u32_e32 v14, -1, v12
	v_add_co_u32 v40, s0, s12, v40
	v_add_co_ci_u32_e64 v41, null, s13, v41, s0
	v_lshlrev_b64 v[13:14], 3, v[14:15]
	v_add_co_u32 v42, s0, s14, v42
	v_add_co_ci_u32_e64 v43, null, s15, v43, s0
	global_load_dwordx2 v[40:41], v[40:41], off
	v_add_co_u32 v13, s0, s12, v13
	v_add_co_ci_u32_e64 v14, null, s13, v14, s0
	global_load_dwordx2 v[42:43], v[42:43], off
	global_load_dwordx2 v[44:45], v[13:14], off
	v_add_nc_u32_e32 v14, -5, v12
	v_add_nc_u32_e32 v12, 0x50, v12
	v_lshlrev_b64 v[46:47], 3, v[14:15]
	v_add_nc_u32_e32 v14, 4, v22
	v_lshlrev_b64 v[13:14], 3, v[14:15]
	v_add_co_u32 v22, vcc_lo, s12, v46
	v_add_co_ci_u32_e64 v23, null, s13, v47, vcc_lo
	v_add_co_u32 v13, vcc_lo, s14, v13
	v_add_co_ci_u32_e64 v14, null, s15, v14, vcc_lo
	s_clause 0x1
	global_load_dwordx2 v[24:25], v[24:25], off
	global_load_dwordx2 v[22:23], v[22:23], off
	;; [unrolled: 1-line block ×3, first 2 shown]
	v_cmp_ge_i32_e32 vcc_lo, v8, v17
	s_or_b32 s3, vcc_lo, s3
	s_waitcnt vmcnt(11)
	v_fma_f64 v[6:7], v[18:19], v[28:29], v[6:7]
	v_fma_f64 v[9:10], v[26:27], v[28:29], v[10:11]
	s_waitcnt vmcnt(10)
	v_fma_f64 v[6:7], v[20:21], v[30:31], v[6:7]
	s_waitcnt vmcnt(9)
	;; [unrolled: 2-line block ×7, first 2 shown]
	v_fma_f64 v[6:7], v[22:23], v[13:14], v[6:7]
	v_fma_f64 v[10:11], v[24:25], v[13:14], v[9:10]
	s_andn2_b32 exec_lo, exec_lo, s3
	s_cbranch_execnz .LBB92_15
; %bb.16:
	s_or_b32 exec_lo, exec_lo, s3
.LBB92_17:
	s_or_b32 exec_lo, exec_lo, s1
.LBB92_18:
	v_mbcnt_lo_u32_b32 v14, -1, 0
	v_xor_b32_e32 v8, 4, v14
	v_cmp_gt_i32_e32 vcc_lo, 32, v8
	v_cndmask_b32_e32 v8, v14, v8, vcc_lo
	v_lshlrev_b32_e32 v13, 2, v8
	ds_bpermute_b32 v8, v13, v6
	ds_bpermute_b32 v9, v13, v7
	;; [unrolled: 1-line block ×4, first 2 shown]
	s_waitcnt lgkmcnt(2)
	v_add_f64 v[6:7], v[6:7], v[8:9]
	s_waitcnt lgkmcnt(0)
	v_add_f64 v[8:9], v[10:11], v[12:13]
	v_xor_b32_e32 v10, 2, v14
	v_cmp_gt_i32_e32 vcc_lo, 32, v10
	v_cndmask_b32_e32 v10, v14, v10, vcc_lo
	v_lshlrev_b32_e32 v13, 2, v10
	ds_bpermute_b32 v10, v13, v6
	ds_bpermute_b32 v11, v13, v7
	;; [unrolled: 1-line block ×4, first 2 shown]
	s_waitcnt lgkmcnt(2)
	v_add_f64 v[6:7], v[6:7], v[10:11]
	s_waitcnt lgkmcnt(0)
	v_add_f64 v[10:11], v[8:9], v[12:13]
	v_xor_b32_e32 v8, 1, v14
	v_cmp_gt_i32_e32 vcc_lo, 32, v8
	v_cndmask_b32_e32 v8, v14, v8, vcc_lo
	v_cmp_eq_u32_e32 vcc_lo, 7, v0
	v_lshlrev_b32_e32 v13, 2, v8
	ds_bpermute_b32 v8, v13, v6
	ds_bpermute_b32 v9, v13, v7
	;; [unrolled: 1-line block ×4, first 2 shown]
	s_and_b32 exec_lo, exec_lo, vcc_lo
	s_cbranch_execz .LBB92_23
; %bb.19:
	s_waitcnt lgkmcnt(2)
	v_add_f64 v[8:9], v[6:7], v[8:9]
	s_waitcnt lgkmcnt(0)
	v_add_f64 v[6:7], v[10:11], v[12:13]
	s_load_dwordx2 s[0:1], s[4:5], 0x38
	s_mov_b32 s2, exec_lo
	v_cmpx_eq_f64_e32 0, v[3:4]
	s_xor_b32 s2, exec_lo, s2
	s_cbranch_execz .LBB92_21
; %bb.20:
	v_lshlrev_b32_e32 v0, 1, v5
	v_mul_f64 v[3:4], v[1:2], v[8:9]
	v_mul_f64 v[5:6], v[1:2], v[6:7]
                                        ; implicit-def: $vgpr8_vgpr9
	v_ashrrev_i32_e32 v1, 31, v0
	v_lshlrev_b64 v[0:1], 3, v[0:1]
	s_waitcnt lgkmcnt(0)
	v_add_co_u32 v0, vcc_lo, s0, v0
	v_add_co_ci_u32_e64 v1, null, s1, v1, vcc_lo
	global_store_dwordx4 v[0:1], v[3:6], off
                                        ; implicit-def: $vgpr5
                                        ; implicit-def: $vgpr1_vgpr2
                                        ; implicit-def: $vgpr3_vgpr4
                                        ; implicit-def: $vgpr6_vgpr7
.LBB92_21:
	s_andn2_saveexec_b32 s2, s2
	s_cbranch_execz .LBB92_23
; %bb.22:
	v_lshlrev_b32_e32 v10, 1, v5
	v_mul_f64 v[8:9], v[1:2], v[8:9]
	v_mul_f64 v[5:6], v[1:2], v[6:7]
	v_ashrrev_i32_e32 v11, 31, v10
	v_lshlrev_b64 v[10:11], 3, v[10:11]
	s_waitcnt lgkmcnt(0)
	v_add_co_u32 v14, vcc_lo, s0, v10
	v_add_co_ci_u32_e64 v15, null, s1, v11, vcc_lo
	global_load_dwordx4 v[10:13], v[14:15], off
	s_waitcnt vmcnt(0)
	v_fma_f64 v[0:1], v[3:4], v[10:11], v[8:9]
	v_fma_f64 v[2:3], v[3:4], v[12:13], v[5:6]
	global_store_dwordx4 v[14:15], v[0:3], off
.LBB92_23:
	s_endpgm
	.section	.rodata,"a",@progbits
	.p2align	6, 0x0
	.amdhsa_kernel _ZN9rocsparseL19gebsrmvn_2xn_kernelILj128ELj5ELj8EdEEvi20rocsparse_direction_NS_24const_host_device_scalarIT2_EEPKiS6_PKS3_S8_S4_PS3_21rocsparse_index_base_b
		.amdhsa_group_segment_fixed_size 0
		.amdhsa_private_segment_fixed_size 0
		.amdhsa_kernarg_size 72
		.amdhsa_user_sgpr_count 6
		.amdhsa_user_sgpr_private_segment_buffer 1
		.amdhsa_user_sgpr_dispatch_ptr 0
		.amdhsa_user_sgpr_queue_ptr 0
		.amdhsa_user_sgpr_kernarg_segment_ptr 1
		.amdhsa_user_sgpr_dispatch_id 0
		.amdhsa_user_sgpr_flat_scratch_init 0
		.amdhsa_user_sgpr_private_segment_size 0
		.amdhsa_wavefront_size32 1
		.amdhsa_uses_dynamic_stack 0
		.amdhsa_system_sgpr_private_segment_wavefront_offset 0
		.amdhsa_system_sgpr_workgroup_id_x 1
		.amdhsa_system_sgpr_workgroup_id_y 0
		.amdhsa_system_sgpr_workgroup_id_z 0
		.amdhsa_system_sgpr_workgroup_info 0
		.amdhsa_system_vgpr_workitem_id 0
		.amdhsa_next_free_vgpr 48
		.amdhsa_next_free_sgpr 16
		.amdhsa_reserve_vcc 1
		.amdhsa_reserve_flat_scratch 0
		.amdhsa_float_round_mode_32 0
		.amdhsa_float_round_mode_16_64 0
		.amdhsa_float_denorm_mode_32 3
		.amdhsa_float_denorm_mode_16_64 3
		.amdhsa_dx10_clamp 1
		.amdhsa_ieee_mode 1
		.amdhsa_fp16_overflow 0
		.amdhsa_workgroup_processor_mode 1
		.amdhsa_memory_ordered 1
		.amdhsa_forward_progress 1
		.amdhsa_shared_vgpr_count 0
		.amdhsa_exception_fp_ieee_invalid_op 0
		.amdhsa_exception_fp_denorm_src 0
		.amdhsa_exception_fp_ieee_div_zero 0
		.amdhsa_exception_fp_ieee_overflow 0
		.amdhsa_exception_fp_ieee_underflow 0
		.amdhsa_exception_fp_ieee_inexact 0
		.amdhsa_exception_int_div_zero 0
	.end_amdhsa_kernel
	.section	.text._ZN9rocsparseL19gebsrmvn_2xn_kernelILj128ELj5ELj8EdEEvi20rocsparse_direction_NS_24const_host_device_scalarIT2_EEPKiS6_PKS3_S8_S4_PS3_21rocsparse_index_base_b,"axG",@progbits,_ZN9rocsparseL19gebsrmvn_2xn_kernelILj128ELj5ELj8EdEEvi20rocsparse_direction_NS_24const_host_device_scalarIT2_EEPKiS6_PKS3_S8_S4_PS3_21rocsparse_index_base_b,comdat
.Lfunc_end92:
	.size	_ZN9rocsparseL19gebsrmvn_2xn_kernelILj128ELj5ELj8EdEEvi20rocsparse_direction_NS_24const_host_device_scalarIT2_EEPKiS6_PKS3_S8_S4_PS3_21rocsparse_index_base_b, .Lfunc_end92-_ZN9rocsparseL19gebsrmvn_2xn_kernelILj128ELj5ELj8EdEEvi20rocsparse_direction_NS_24const_host_device_scalarIT2_EEPKiS6_PKS3_S8_S4_PS3_21rocsparse_index_base_b
                                        ; -- End function
	.set _ZN9rocsparseL19gebsrmvn_2xn_kernelILj128ELj5ELj8EdEEvi20rocsparse_direction_NS_24const_host_device_scalarIT2_EEPKiS6_PKS3_S8_S4_PS3_21rocsparse_index_base_b.num_vgpr, 48
	.set _ZN9rocsparseL19gebsrmvn_2xn_kernelILj128ELj5ELj8EdEEvi20rocsparse_direction_NS_24const_host_device_scalarIT2_EEPKiS6_PKS3_S8_S4_PS3_21rocsparse_index_base_b.num_agpr, 0
	.set _ZN9rocsparseL19gebsrmvn_2xn_kernelILj128ELj5ELj8EdEEvi20rocsparse_direction_NS_24const_host_device_scalarIT2_EEPKiS6_PKS3_S8_S4_PS3_21rocsparse_index_base_b.numbered_sgpr, 16
	.set _ZN9rocsparseL19gebsrmvn_2xn_kernelILj128ELj5ELj8EdEEvi20rocsparse_direction_NS_24const_host_device_scalarIT2_EEPKiS6_PKS3_S8_S4_PS3_21rocsparse_index_base_b.num_named_barrier, 0
	.set _ZN9rocsparseL19gebsrmvn_2xn_kernelILj128ELj5ELj8EdEEvi20rocsparse_direction_NS_24const_host_device_scalarIT2_EEPKiS6_PKS3_S8_S4_PS3_21rocsparse_index_base_b.private_seg_size, 0
	.set _ZN9rocsparseL19gebsrmvn_2xn_kernelILj128ELj5ELj8EdEEvi20rocsparse_direction_NS_24const_host_device_scalarIT2_EEPKiS6_PKS3_S8_S4_PS3_21rocsparse_index_base_b.uses_vcc, 1
	.set _ZN9rocsparseL19gebsrmvn_2xn_kernelILj128ELj5ELj8EdEEvi20rocsparse_direction_NS_24const_host_device_scalarIT2_EEPKiS6_PKS3_S8_S4_PS3_21rocsparse_index_base_b.uses_flat_scratch, 0
	.set _ZN9rocsparseL19gebsrmvn_2xn_kernelILj128ELj5ELj8EdEEvi20rocsparse_direction_NS_24const_host_device_scalarIT2_EEPKiS6_PKS3_S8_S4_PS3_21rocsparse_index_base_b.has_dyn_sized_stack, 0
	.set _ZN9rocsparseL19gebsrmvn_2xn_kernelILj128ELj5ELj8EdEEvi20rocsparse_direction_NS_24const_host_device_scalarIT2_EEPKiS6_PKS3_S8_S4_PS3_21rocsparse_index_base_b.has_recursion, 0
	.set _ZN9rocsparseL19gebsrmvn_2xn_kernelILj128ELj5ELj8EdEEvi20rocsparse_direction_NS_24const_host_device_scalarIT2_EEPKiS6_PKS3_S8_S4_PS3_21rocsparse_index_base_b.has_indirect_call, 0
	.section	.AMDGPU.csdata,"",@progbits
; Kernel info:
; codeLenInByte = 2068
; TotalNumSgprs: 18
; NumVgprs: 48
; ScratchSize: 0
; MemoryBound: 0
; FloatMode: 240
; IeeeMode: 1
; LDSByteSize: 0 bytes/workgroup (compile time only)
; SGPRBlocks: 0
; VGPRBlocks: 5
; NumSGPRsForWavesPerEU: 18
; NumVGPRsForWavesPerEU: 48
; Occupancy: 16
; WaveLimiterHint : 1
; COMPUTE_PGM_RSRC2:SCRATCH_EN: 0
; COMPUTE_PGM_RSRC2:USER_SGPR: 6
; COMPUTE_PGM_RSRC2:TRAP_HANDLER: 0
; COMPUTE_PGM_RSRC2:TGID_X_EN: 1
; COMPUTE_PGM_RSRC2:TGID_Y_EN: 0
; COMPUTE_PGM_RSRC2:TGID_Z_EN: 0
; COMPUTE_PGM_RSRC2:TIDIG_COMP_CNT: 0
	.section	.text._ZN9rocsparseL19gebsrmvn_2xn_kernelILj128ELj5ELj16EdEEvi20rocsparse_direction_NS_24const_host_device_scalarIT2_EEPKiS6_PKS3_S8_S4_PS3_21rocsparse_index_base_b,"axG",@progbits,_ZN9rocsparseL19gebsrmvn_2xn_kernelILj128ELj5ELj16EdEEvi20rocsparse_direction_NS_24const_host_device_scalarIT2_EEPKiS6_PKS3_S8_S4_PS3_21rocsparse_index_base_b,comdat
	.globl	_ZN9rocsparseL19gebsrmvn_2xn_kernelILj128ELj5ELj16EdEEvi20rocsparse_direction_NS_24const_host_device_scalarIT2_EEPKiS6_PKS3_S8_S4_PS3_21rocsparse_index_base_b ; -- Begin function _ZN9rocsparseL19gebsrmvn_2xn_kernelILj128ELj5ELj16EdEEvi20rocsparse_direction_NS_24const_host_device_scalarIT2_EEPKiS6_PKS3_S8_S4_PS3_21rocsparse_index_base_b
	.p2align	8
	.type	_ZN9rocsparseL19gebsrmvn_2xn_kernelILj128ELj5ELj16EdEEvi20rocsparse_direction_NS_24const_host_device_scalarIT2_EEPKiS6_PKS3_S8_S4_PS3_21rocsparse_index_base_b,@function
_ZN9rocsparseL19gebsrmvn_2xn_kernelILj128ELj5ELj16EdEEvi20rocsparse_direction_NS_24const_host_device_scalarIT2_EEPKiS6_PKS3_S8_S4_PS3_21rocsparse_index_base_b: ; @_ZN9rocsparseL19gebsrmvn_2xn_kernelILj128ELj5ELj16EdEEvi20rocsparse_direction_NS_24const_host_device_scalarIT2_EEPKiS6_PKS3_S8_S4_PS3_21rocsparse_index_base_b
; %bb.0:
	s_clause 0x2
	s_load_dwordx2 s[2:3], s[4:5], 0x40
	s_load_dwordx2 s[8:9], s[4:5], 0x8
	;; [unrolled: 1-line block ×3, first 2 shown]
	s_waitcnt lgkmcnt(0)
	s_bitcmp1_b32 s3, 0
	v_mov_b32_e32 v1, s8
	v_mov_b32_e32 v2, s9
	s_cselect_b32 s3, -1, 0
	s_and_b32 vcc_lo, exec_lo, s3
	s_xor_b32 s3, s3, -1
	s_cbranch_vccnz .LBB93_2
; %bb.1:
	v_mov_b32_e32 v1, s8
	v_mov_b32_e32 v2, s9
	flat_load_dwordx2 v[1:2], v[1:2]
.LBB93_2:
	v_mov_b32_e32 v4, s1
	v_mov_b32_e32 v3, s0
	s_andn2_b32 vcc_lo, exec_lo, s3
	s_cbranch_vccnz .LBB93_4
; %bb.3:
	v_mov_b32_e32 v4, s1
	v_mov_b32_e32 v3, s0
	flat_load_dwordx2 v[3:4], v[3:4]
.LBB93_4:
	s_waitcnt vmcnt(0) lgkmcnt(0)
	v_cmp_neq_f64_e32 vcc_lo, 0, v[1:2]
	v_cmp_neq_f64_e64 s0, 1.0, v[3:4]
	s_or_b32 s0, vcc_lo, s0
	s_and_saveexec_b32 s1, s0
	s_cbranch_execz .LBB93_23
; %bb.5:
	s_load_dwordx2 s[0:1], s[4:5], 0x0
	v_lshrrev_b32_e32 v5, 4, v0
	v_lshl_or_b32 v5, s6, 3, v5
	s_waitcnt lgkmcnt(0)
	v_cmp_gt_i32_e32 vcc_lo, s0, v5
	s_and_b32 exec_lo, exec_lo, vcc_lo
	s_cbranch_execz .LBB93_23
; %bb.6:
	s_load_dwordx8 s[8:15], s[4:5], 0x10
	v_ashrrev_i32_e32 v6, 31, v5
	v_and_b32_e32 v0, 15, v0
	s_cmp_lg_u32 s1, 0
	v_lshlrev_b64 v[6:7], 2, v[5:6]
	s_waitcnt lgkmcnt(0)
	v_add_co_u32 v6, vcc_lo, s8, v6
	v_add_co_ci_u32_e64 v7, null, s9, v7, vcc_lo
	global_load_dwordx2 v[6:7], v[6:7], off
	s_waitcnt vmcnt(0)
	v_subrev_nc_u32_e32 v6, s2, v6
	v_subrev_nc_u32_e32 v16, s2, v7
	v_add_nc_u32_e32 v10, v6, v0
	v_cmp_lt_i32_e64 s0, v10, v16
	s_cbranch_scc0 .LBB93_12
; %bb.7:
	v_mov_b32_e32 v6, 0
	v_mov_b32_e32 v8, 0
	;; [unrolled: 1-line block ×4, first 2 shown]
	s_and_saveexec_b32 s3, s0
	s_cbranch_execz .LBB93_11
; %bb.8:
	v_mad_u64_u32 v[11:12], null, v10, 10, 8
	v_mov_b32_e32 v6, 0
	v_mov_b32_e32 v8, 0
	v_mov_b32_e32 v7, 0
	v_mov_b32_e32 v13, 0
	v_mov_b32_e32 v9, 0
	v_mov_b32_e32 v14, v10
	s_mov_b32 s6, 0
.LBB93_9:                               ; =>This Inner Loop Header: Depth=1
	v_ashrrev_i32_e32 v15, 31, v14
	v_add_nc_u32_e32 v12, -8, v11
	v_mov_b32_e32 v34, v13
	v_lshlrev_b64 v[17:18], 2, v[14:15]
	v_add_nc_u32_e32 v14, 16, v14
	v_add_co_u32 v17, vcc_lo, s10, v17
	v_add_co_ci_u32_e64 v18, null, s11, v18, vcc_lo
	global_load_dword v15, v[17:18], off
	v_lshlrev_b64 v[17:18], 3, v[12:13]
	v_add_nc_u32_e32 v12, -6, v11
	v_lshlrev_b64 v[19:20], 3, v[12:13]
	v_add_co_u32 v17, vcc_lo, s12, v17
	v_add_co_ci_u32_e64 v18, null, s13, v18, vcc_lo
	v_add_co_u32 v21, vcc_lo, s12, v19
	s_waitcnt vmcnt(0)
	v_subrev_nc_u32_e32 v12, s2, v15
	v_lshl_add_u32 v33, v12, 2, v12
	v_lshlrev_b64 v[22:23], 3, v[33:34]
	v_add_nc_u32_e32 v12, 1, v33
	v_add_co_u32 v25, s1, s14, v22
	v_add_co_ci_u32_e64 v22, null, s13, v20, vcc_lo
	v_add_co_ci_u32_e64 v26, null, s15, v23, s1
	s_clause 0x1
	global_load_dwordx4 v[17:20], v[17:18], off
	global_load_dwordx4 v[21:24], v[21:22], off
	global_load_dwordx2 v[37:38], v[25:26], off
	v_lshlrev_b64 v[25:26], 3, v[12:13]
	v_add_nc_u32_e32 v12, -4, v11
	v_lshlrev_b64 v[27:28], 3, v[12:13]
	v_add_co_u32 v25, vcc_lo, s14, v25
	v_add_co_ci_u32_e64 v26, null, s15, v26, vcc_lo
	v_add_nc_u32_e32 v12, 2, v33
	v_add_co_u32 v27, vcc_lo, s12, v27
	global_load_dwordx2 v[39:40], v[25:26], off
	v_add_co_ci_u32_e64 v28, null, s13, v28, vcc_lo
	v_lshlrev_b64 v[25:26], 3, v[12:13]
	v_add_nc_u32_e32 v12, -2, v11
	v_add_co_u32 v29, vcc_lo, s14, v25
	v_add_co_ci_u32_e64 v30, null, s15, v26, vcc_lo
	global_load_dwordx4 v[25:28], v[27:28], off
	global_load_dwordx2 v[41:42], v[29:30], off
	v_lshlrev_b64 v[29:30], 3, v[12:13]
	v_add_nc_u32_e32 v12, 3, v33
	v_lshlrev_b64 v[31:32], 3, v[12:13]
	v_add_co_u32 v29, vcc_lo, s12, v29
	v_add_co_ci_u32_e64 v30, null, s13, v30, vcc_lo
	v_mov_b32_e32 v12, v13
	v_add_co_u32 v34, vcc_lo, s14, v31
	v_add_co_ci_u32_e64 v35, null, s15, v32, vcc_lo
	global_load_dwordx4 v[29:32], v[29:30], off
	global_load_dwordx2 v[43:44], v[34:35], off
	v_lshlrev_b64 v[34:35], 3, v[11:12]
	v_add_nc_u32_e32 v12, 4, v33
	v_add_nc_u32_e32 v11, 0xa0, v11
	v_lshlrev_b64 v[45:46], 3, v[12:13]
	v_add_co_u32 v33, vcc_lo, s12, v34
	v_add_co_ci_u32_e64 v34, null, s13, v35, vcc_lo
	v_add_co_u32 v45, vcc_lo, s14, v45
	v_add_co_ci_u32_e64 v46, null, s15, v46, vcc_lo
	global_load_dwordx4 v[33:36], v[33:34], off
	global_load_dwordx2 v[45:46], v[45:46], off
	v_cmp_ge_i32_e32 vcc_lo, v14, v16
	s_or_b32 s6, vcc_lo, s6
	s_waitcnt vmcnt(7)
	v_fma_f64 v[6:7], v[17:18], v[37:38], v[6:7]
	v_fma_f64 v[8:9], v[19:20], v[37:38], v[8:9]
	s_waitcnt vmcnt(6)
	v_fma_f64 v[6:7], v[21:22], v[39:40], v[6:7]
	v_fma_f64 v[8:9], v[23:24], v[39:40], v[8:9]
	;; [unrolled: 3-line block ×5, first 2 shown]
	s_andn2_b32 exec_lo, exec_lo, s6
	s_cbranch_execnz .LBB93_9
; %bb.10:
	s_or_b32 exec_lo, exec_lo, s6
.LBB93_11:
	s_or_b32 exec_lo, exec_lo, s3
	s_cbranch_execz .LBB93_13
	s_branch .LBB93_18
.LBB93_12:
                                        ; implicit-def: $vgpr6_vgpr7
                                        ; implicit-def: $vgpr8_vgpr9
.LBB93_13:
	v_mov_b32_e32 v6, 0
	v_mov_b32_e32 v8, 0
	v_mov_b32_e32 v7, 0
	v_mov_b32_e32 v9, 0
	s_and_saveexec_b32 s1, s0
	s_cbranch_execz .LBB93_17
; %bb.14:
	v_mad_u64_u32 v[12:13], null, v10, 10, 9
	v_mov_b32_e32 v6, 0
	v_mov_b32_e32 v8, 0
	;; [unrolled: 1-line block ×5, first 2 shown]
	s_mov_b32 s3, 0
.LBB93_15:                              ; =>This Inner Loop Header: Depth=1
	v_ashrrev_i32_e32 v11, 31, v10
	v_add_nc_u32_e32 v17, -4, v12
	v_mov_b32_e32 v22, v15
	v_mov_b32_e32 v18, v15
	v_lshlrev_b64 v[13:14], 2, v[10:11]
	v_add_nc_u32_e32 v10, 16, v10
	v_lshlrev_b64 v[17:18], 3, v[17:18]
	v_add_co_u32 v13, vcc_lo, s10, v13
	v_add_co_ci_u32_e64 v14, null, s11, v14, vcc_lo
	global_load_dword v11, v[13:14], off
	v_add_nc_u32_e32 v14, -9, v12
	v_mov_b32_e32 v13, v15
	v_lshlrev_b64 v[19:20], 3, v[14:15]
	v_lshlrev_b64 v[23:24], 3, v[12:13]
	v_add_co_u32 v13, vcc_lo, s12, v19
	v_add_co_ci_u32_e64 v14, null, s13, v20, vcc_lo
	v_add_co_u32 v25, vcc_lo, s12, v17
	v_add_co_ci_u32_e64 v26, null, s13, v18, vcc_lo
	s_clause 0x1
	global_load_dwordx4 v[17:20], v[13:14], off
	global_load_dwordx2 v[25:26], v[25:26], off
	v_add_co_u32 v23, vcc_lo, s12, v23
	v_add_co_ci_u32_e64 v24, null, s13, v24, vcc_lo
	s_waitcnt vmcnt(2)
	v_subrev_nc_u32_e32 v11, s2, v11
	v_lshl_add_u32 v21, v11, 2, v11
	v_lshlrev_b64 v[27:28], 3, v[21:22]
	v_add_nc_u32_e32 v14, 1, v21
	v_lshlrev_b64 v[29:30], 3, v[14:15]
	v_add_co_u32 v27, s0, s14, v27
	v_add_co_ci_u32_e64 v28, null, s15, v28, s0
	v_add_nc_u32_e32 v14, -3, v12
	v_add_co_u32 v29, s0, s14, v29
	global_load_dwordx2 v[27:28], v[27:28], off
	v_add_co_ci_u32_e64 v30, null, s15, v30, s0
	v_lshlrev_b64 v[31:32], 3, v[14:15]
	v_add_nc_u32_e32 v14, -7, v12
	global_load_dwordx2 v[29:30], v[29:30], off
	v_add_co_u32 v31, s0, s12, v31
	v_add_co_ci_u32_e64 v32, null, s13, v32, s0
	v_lshlrev_b64 v[33:34], 3, v[14:15]
	v_add_nc_u32_e32 v14, 2, v21
	global_load_dwordx2 v[31:32], v[31:32], off
	v_lshlrev_b64 v[35:36], 3, v[14:15]
	v_add_nc_u32_e32 v14, -2, v12
	v_add_co_u32 v33, s0, s12, v33
	v_add_co_ci_u32_e64 v34, null, s13, v34, s0
	v_lshlrev_b64 v[37:38], 3, v[14:15]
	v_add_co_u32 v35, s0, s14, v35
	v_add_co_ci_u32_e64 v36, null, s15, v36, s0
	v_add_nc_u32_e32 v14, -6, v12
	v_add_co_u32 v37, s0, s12, v37
	v_add_co_ci_u32_e64 v38, null, s13, v38, s0
	global_load_dwordx2 v[33:34], v[33:34], off
	v_lshlrev_b64 v[39:40], 3, v[14:15]
	v_add_nc_u32_e32 v14, 3, v21
	global_load_dwordx2 v[35:36], v[35:36], off
	global_load_dwordx2 v[37:38], v[37:38], off
	v_lshlrev_b64 v[41:42], 3, v[14:15]
	v_add_nc_u32_e32 v14, -1, v12
	v_add_co_u32 v39, s0, s12, v39
	v_add_co_ci_u32_e64 v40, null, s13, v40, s0
	v_lshlrev_b64 v[13:14], 3, v[14:15]
	v_add_co_u32 v41, s0, s14, v41
	v_add_co_ci_u32_e64 v42, null, s15, v42, s0
	global_load_dwordx2 v[39:40], v[39:40], off
	v_add_co_u32 v13, s0, s12, v13
	v_add_co_ci_u32_e64 v14, null, s13, v14, s0
	global_load_dwordx2 v[41:42], v[41:42], off
	global_load_dwordx2 v[43:44], v[13:14], off
	v_add_nc_u32_e32 v14, -5, v12
	v_add_nc_u32_e32 v12, 0xa0, v12
	v_lshlrev_b64 v[45:46], 3, v[14:15]
	v_add_nc_u32_e32 v14, 4, v21
	v_lshlrev_b64 v[13:14], 3, v[14:15]
	v_add_co_u32 v21, vcc_lo, s12, v45
	v_add_co_ci_u32_e64 v22, null, s13, v46, vcc_lo
	v_add_co_u32 v13, vcc_lo, s14, v13
	v_add_co_ci_u32_e64 v14, null, s15, v14, vcc_lo
	s_clause 0x1
	global_load_dwordx2 v[23:24], v[23:24], off
	global_load_dwordx2 v[21:22], v[21:22], off
	;; [unrolled: 1-line block ×3, first 2 shown]
	v_cmp_ge_i32_e32 vcc_lo, v10, v16
	s_or_b32 s3, vcc_lo, s3
	s_waitcnt vmcnt(11)
	v_fma_f64 v[6:7], v[17:18], v[27:28], v[6:7]
	v_fma_f64 v[8:9], v[25:26], v[27:28], v[8:9]
	s_waitcnt vmcnt(10)
	v_fma_f64 v[6:7], v[19:20], v[29:30], v[6:7]
	s_waitcnt vmcnt(9)
	v_fma_f64 v[8:9], v[31:32], v[29:30], v[8:9]
	s_waitcnt vmcnt(7)
	v_fma_f64 v[6:7], v[33:34], v[35:36], v[6:7]
	s_waitcnt vmcnt(6)
	v_fma_f64 v[8:9], v[37:38], v[35:36], v[8:9]
	s_waitcnt vmcnt(4)
	v_fma_f64 v[6:7], v[39:40], v[41:42], v[6:7]
	s_waitcnt vmcnt(3)
	v_fma_f64 v[8:9], v[43:44], v[41:42], v[8:9]
	s_waitcnt vmcnt(0)
	v_fma_f64 v[6:7], v[21:22], v[13:14], v[6:7]
	v_fma_f64 v[8:9], v[23:24], v[13:14], v[8:9]
	s_andn2_b32 exec_lo, exec_lo, s3
	s_cbranch_execnz .LBB93_15
; %bb.16:
	s_or_b32 exec_lo, exec_lo, s3
.LBB93_17:
	s_or_b32 exec_lo, exec_lo, s1
.LBB93_18:
	v_mbcnt_lo_u32_b32 v14, -1, 0
	v_xor_b32_e32 v10, 8, v14
	v_cmp_gt_i32_e32 vcc_lo, 32, v10
	v_cndmask_b32_e32 v10, v14, v10, vcc_lo
	v_lshlrev_b32_e32 v13, 2, v10
	ds_bpermute_b32 v10, v13, v6
	ds_bpermute_b32 v11, v13, v7
	;; [unrolled: 1-line block ×4, first 2 shown]
	s_waitcnt lgkmcnt(2)
	v_add_f64 v[6:7], v[6:7], v[10:11]
	v_xor_b32_e32 v10, 4, v14
	s_waitcnt lgkmcnt(0)
	v_add_f64 v[8:9], v[8:9], v[12:13]
	v_cmp_gt_i32_e32 vcc_lo, 32, v10
	v_cndmask_b32_e32 v10, v14, v10, vcc_lo
	v_lshlrev_b32_e32 v13, 2, v10
	ds_bpermute_b32 v10, v13, v6
	ds_bpermute_b32 v11, v13, v7
	;; [unrolled: 1-line block ×4, first 2 shown]
	s_waitcnt lgkmcnt(2)
	v_add_f64 v[6:7], v[6:7], v[10:11]
	v_xor_b32_e32 v10, 2, v14
	s_waitcnt lgkmcnt(0)
	v_add_f64 v[8:9], v[8:9], v[12:13]
	v_cmp_gt_i32_e32 vcc_lo, 32, v10
	v_cndmask_b32_e32 v10, v14, v10, vcc_lo
	v_lshlrev_b32_e32 v13, 2, v10
	ds_bpermute_b32 v10, v13, v6
	ds_bpermute_b32 v11, v13, v7
	ds_bpermute_b32 v12, v13, v8
	ds_bpermute_b32 v13, v13, v9
	s_waitcnt lgkmcnt(2)
	v_add_f64 v[6:7], v[6:7], v[10:11]
	s_waitcnt lgkmcnt(0)
	v_add_f64 v[10:11], v[8:9], v[12:13]
	v_xor_b32_e32 v8, 1, v14
	v_cmp_gt_i32_e32 vcc_lo, 32, v8
	v_cndmask_b32_e32 v8, v14, v8, vcc_lo
	v_cmp_eq_u32_e32 vcc_lo, 15, v0
	v_lshlrev_b32_e32 v13, 2, v8
	ds_bpermute_b32 v8, v13, v6
	ds_bpermute_b32 v9, v13, v7
	;; [unrolled: 1-line block ×4, first 2 shown]
	s_and_b32 exec_lo, exec_lo, vcc_lo
	s_cbranch_execz .LBB93_23
; %bb.19:
	s_waitcnt lgkmcnt(2)
	v_add_f64 v[8:9], v[6:7], v[8:9]
	s_waitcnt lgkmcnt(0)
	v_add_f64 v[6:7], v[10:11], v[12:13]
	s_load_dwordx2 s[0:1], s[4:5], 0x38
	s_mov_b32 s2, exec_lo
	v_cmpx_eq_f64_e32 0, v[3:4]
	s_xor_b32 s2, exec_lo, s2
	s_cbranch_execz .LBB93_21
; %bb.20:
	v_lshlrev_b32_e32 v0, 1, v5
	v_mul_f64 v[3:4], v[1:2], v[8:9]
	v_mul_f64 v[5:6], v[1:2], v[6:7]
                                        ; implicit-def: $vgpr8_vgpr9
	v_ashrrev_i32_e32 v1, 31, v0
	v_lshlrev_b64 v[0:1], 3, v[0:1]
	s_waitcnt lgkmcnt(0)
	v_add_co_u32 v0, vcc_lo, s0, v0
	v_add_co_ci_u32_e64 v1, null, s1, v1, vcc_lo
	global_store_dwordx4 v[0:1], v[3:6], off
                                        ; implicit-def: $vgpr5
                                        ; implicit-def: $vgpr1_vgpr2
                                        ; implicit-def: $vgpr3_vgpr4
                                        ; implicit-def: $vgpr6_vgpr7
.LBB93_21:
	s_andn2_saveexec_b32 s2, s2
	s_cbranch_execz .LBB93_23
; %bb.22:
	v_lshlrev_b32_e32 v10, 1, v5
	v_mul_f64 v[8:9], v[1:2], v[8:9]
	v_mul_f64 v[5:6], v[1:2], v[6:7]
	v_ashrrev_i32_e32 v11, 31, v10
	v_lshlrev_b64 v[10:11], 3, v[10:11]
	s_waitcnt lgkmcnt(0)
	v_add_co_u32 v14, vcc_lo, s0, v10
	v_add_co_ci_u32_e64 v15, null, s1, v11, vcc_lo
	global_load_dwordx4 v[10:13], v[14:15], off
	s_waitcnt vmcnt(0)
	v_fma_f64 v[0:1], v[3:4], v[10:11], v[8:9]
	v_fma_f64 v[2:3], v[3:4], v[12:13], v[5:6]
	global_store_dwordx4 v[14:15], v[0:3], off
.LBB93_23:
	s_endpgm
	.section	.rodata,"a",@progbits
	.p2align	6, 0x0
	.amdhsa_kernel _ZN9rocsparseL19gebsrmvn_2xn_kernelILj128ELj5ELj16EdEEvi20rocsparse_direction_NS_24const_host_device_scalarIT2_EEPKiS6_PKS3_S8_S4_PS3_21rocsparse_index_base_b
		.amdhsa_group_segment_fixed_size 0
		.amdhsa_private_segment_fixed_size 0
		.amdhsa_kernarg_size 72
		.amdhsa_user_sgpr_count 6
		.amdhsa_user_sgpr_private_segment_buffer 1
		.amdhsa_user_sgpr_dispatch_ptr 0
		.amdhsa_user_sgpr_queue_ptr 0
		.amdhsa_user_sgpr_kernarg_segment_ptr 1
		.amdhsa_user_sgpr_dispatch_id 0
		.amdhsa_user_sgpr_flat_scratch_init 0
		.amdhsa_user_sgpr_private_segment_size 0
		.amdhsa_wavefront_size32 1
		.amdhsa_uses_dynamic_stack 0
		.amdhsa_system_sgpr_private_segment_wavefront_offset 0
		.amdhsa_system_sgpr_workgroup_id_x 1
		.amdhsa_system_sgpr_workgroup_id_y 0
		.amdhsa_system_sgpr_workgroup_id_z 0
		.amdhsa_system_sgpr_workgroup_info 0
		.amdhsa_system_vgpr_workitem_id 0
		.amdhsa_next_free_vgpr 47
		.amdhsa_next_free_sgpr 16
		.amdhsa_reserve_vcc 1
		.amdhsa_reserve_flat_scratch 0
		.amdhsa_float_round_mode_32 0
		.amdhsa_float_round_mode_16_64 0
		.amdhsa_float_denorm_mode_32 3
		.amdhsa_float_denorm_mode_16_64 3
		.amdhsa_dx10_clamp 1
		.amdhsa_ieee_mode 1
		.amdhsa_fp16_overflow 0
		.amdhsa_workgroup_processor_mode 1
		.amdhsa_memory_ordered 1
		.amdhsa_forward_progress 1
		.amdhsa_shared_vgpr_count 0
		.amdhsa_exception_fp_ieee_invalid_op 0
		.amdhsa_exception_fp_denorm_src 0
		.amdhsa_exception_fp_ieee_div_zero 0
		.amdhsa_exception_fp_ieee_overflow 0
		.amdhsa_exception_fp_ieee_underflow 0
		.amdhsa_exception_fp_ieee_inexact 0
		.amdhsa_exception_int_div_zero 0
	.end_amdhsa_kernel
	.section	.text._ZN9rocsparseL19gebsrmvn_2xn_kernelILj128ELj5ELj16EdEEvi20rocsparse_direction_NS_24const_host_device_scalarIT2_EEPKiS6_PKS3_S8_S4_PS3_21rocsparse_index_base_b,"axG",@progbits,_ZN9rocsparseL19gebsrmvn_2xn_kernelILj128ELj5ELj16EdEEvi20rocsparse_direction_NS_24const_host_device_scalarIT2_EEPKiS6_PKS3_S8_S4_PS3_21rocsparse_index_base_b,comdat
.Lfunc_end93:
	.size	_ZN9rocsparseL19gebsrmvn_2xn_kernelILj128ELj5ELj16EdEEvi20rocsparse_direction_NS_24const_host_device_scalarIT2_EEPKiS6_PKS3_S8_S4_PS3_21rocsparse_index_base_b, .Lfunc_end93-_ZN9rocsparseL19gebsrmvn_2xn_kernelILj128ELj5ELj16EdEEvi20rocsparse_direction_NS_24const_host_device_scalarIT2_EEPKiS6_PKS3_S8_S4_PS3_21rocsparse_index_base_b
                                        ; -- End function
	.set _ZN9rocsparseL19gebsrmvn_2xn_kernelILj128ELj5ELj16EdEEvi20rocsparse_direction_NS_24const_host_device_scalarIT2_EEPKiS6_PKS3_S8_S4_PS3_21rocsparse_index_base_b.num_vgpr, 47
	.set _ZN9rocsparseL19gebsrmvn_2xn_kernelILj128ELj5ELj16EdEEvi20rocsparse_direction_NS_24const_host_device_scalarIT2_EEPKiS6_PKS3_S8_S4_PS3_21rocsparse_index_base_b.num_agpr, 0
	.set _ZN9rocsparseL19gebsrmvn_2xn_kernelILj128ELj5ELj16EdEEvi20rocsparse_direction_NS_24const_host_device_scalarIT2_EEPKiS6_PKS3_S8_S4_PS3_21rocsparse_index_base_b.numbered_sgpr, 16
	.set _ZN9rocsparseL19gebsrmvn_2xn_kernelILj128ELj5ELj16EdEEvi20rocsparse_direction_NS_24const_host_device_scalarIT2_EEPKiS6_PKS3_S8_S4_PS3_21rocsparse_index_base_b.num_named_barrier, 0
	.set _ZN9rocsparseL19gebsrmvn_2xn_kernelILj128ELj5ELj16EdEEvi20rocsparse_direction_NS_24const_host_device_scalarIT2_EEPKiS6_PKS3_S8_S4_PS3_21rocsparse_index_base_b.private_seg_size, 0
	.set _ZN9rocsparseL19gebsrmvn_2xn_kernelILj128ELj5ELj16EdEEvi20rocsparse_direction_NS_24const_host_device_scalarIT2_EEPKiS6_PKS3_S8_S4_PS3_21rocsparse_index_base_b.uses_vcc, 1
	.set _ZN9rocsparseL19gebsrmvn_2xn_kernelILj128ELj5ELj16EdEEvi20rocsparse_direction_NS_24const_host_device_scalarIT2_EEPKiS6_PKS3_S8_S4_PS3_21rocsparse_index_base_b.uses_flat_scratch, 0
	.set _ZN9rocsparseL19gebsrmvn_2xn_kernelILj128ELj5ELj16EdEEvi20rocsparse_direction_NS_24const_host_device_scalarIT2_EEPKiS6_PKS3_S8_S4_PS3_21rocsparse_index_base_b.has_dyn_sized_stack, 0
	.set _ZN9rocsparseL19gebsrmvn_2xn_kernelILj128ELj5ELj16EdEEvi20rocsparse_direction_NS_24const_host_device_scalarIT2_EEPKiS6_PKS3_S8_S4_PS3_21rocsparse_index_base_b.has_recursion, 0
	.set _ZN9rocsparseL19gebsrmvn_2xn_kernelILj128ELj5ELj16EdEEvi20rocsparse_direction_NS_24const_host_device_scalarIT2_EEPKiS6_PKS3_S8_S4_PS3_21rocsparse_index_base_b.has_indirect_call, 0
	.section	.AMDGPU.csdata,"",@progbits
; Kernel info:
; codeLenInByte = 2140
; TotalNumSgprs: 18
; NumVgprs: 47
; ScratchSize: 0
; MemoryBound: 0
; FloatMode: 240
; IeeeMode: 1
; LDSByteSize: 0 bytes/workgroup (compile time only)
; SGPRBlocks: 0
; VGPRBlocks: 5
; NumSGPRsForWavesPerEU: 18
; NumVGPRsForWavesPerEU: 47
; Occupancy: 16
; WaveLimiterHint : 1
; COMPUTE_PGM_RSRC2:SCRATCH_EN: 0
; COMPUTE_PGM_RSRC2:USER_SGPR: 6
; COMPUTE_PGM_RSRC2:TRAP_HANDLER: 0
; COMPUTE_PGM_RSRC2:TGID_X_EN: 1
; COMPUTE_PGM_RSRC2:TGID_Y_EN: 0
; COMPUTE_PGM_RSRC2:TGID_Z_EN: 0
; COMPUTE_PGM_RSRC2:TIDIG_COMP_CNT: 0
	.section	.text._ZN9rocsparseL19gebsrmvn_2xn_kernelILj128ELj5ELj32EdEEvi20rocsparse_direction_NS_24const_host_device_scalarIT2_EEPKiS6_PKS3_S8_S4_PS3_21rocsparse_index_base_b,"axG",@progbits,_ZN9rocsparseL19gebsrmvn_2xn_kernelILj128ELj5ELj32EdEEvi20rocsparse_direction_NS_24const_host_device_scalarIT2_EEPKiS6_PKS3_S8_S4_PS3_21rocsparse_index_base_b,comdat
	.globl	_ZN9rocsparseL19gebsrmvn_2xn_kernelILj128ELj5ELj32EdEEvi20rocsparse_direction_NS_24const_host_device_scalarIT2_EEPKiS6_PKS3_S8_S4_PS3_21rocsparse_index_base_b ; -- Begin function _ZN9rocsparseL19gebsrmvn_2xn_kernelILj128ELj5ELj32EdEEvi20rocsparse_direction_NS_24const_host_device_scalarIT2_EEPKiS6_PKS3_S8_S4_PS3_21rocsparse_index_base_b
	.p2align	8
	.type	_ZN9rocsparseL19gebsrmvn_2xn_kernelILj128ELj5ELj32EdEEvi20rocsparse_direction_NS_24const_host_device_scalarIT2_EEPKiS6_PKS3_S8_S4_PS3_21rocsparse_index_base_b,@function
_ZN9rocsparseL19gebsrmvn_2xn_kernelILj128ELj5ELj32EdEEvi20rocsparse_direction_NS_24const_host_device_scalarIT2_EEPKiS6_PKS3_S8_S4_PS3_21rocsparse_index_base_b: ; @_ZN9rocsparseL19gebsrmvn_2xn_kernelILj128ELj5ELj32EdEEvi20rocsparse_direction_NS_24const_host_device_scalarIT2_EEPKiS6_PKS3_S8_S4_PS3_21rocsparse_index_base_b
; %bb.0:
	s_clause 0x2
	s_load_dwordx2 s[2:3], s[4:5], 0x40
	s_load_dwordx2 s[8:9], s[4:5], 0x8
	;; [unrolled: 1-line block ×3, first 2 shown]
	s_waitcnt lgkmcnt(0)
	s_bitcmp1_b32 s3, 0
	v_mov_b32_e32 v1, s8
	v_mov_b32_e32 v2, s9
	s_cselect_b32 s3, -1, 0
	s_and_b32 vcc_lo, exec_lo, s3
	s_xor_b32 s3, s3, -1
	s_cbranch_vccnz .LBB94_2
; %bb.1:
	v_mov_b32_e32 v1, s8
	v_mov_b32_e32 v2, s9
	flat_load_dwordx2 v[1:2], v[1:2]
.LBB94_2:
	v_mov_b32_e32 v4, s1
	v_mov_b32_e32 v3, s0
	s_andn2_b32 vcc_lo, exec_lo, s3
	s_cbranch_vccnz .LBB94_4
; %bb.3:
	v_mov_b32_e32 v4, s1
	v_mov_b32_e32 v3, s0
	flat_load_dwordx2 v[3:4], v[3:4]
.LBB94_4:
	s_waitcnt vmcnt(0) lgkmcnt(0)
	v_cmp_neq_f64_e32 vcc_lo, 0, v[1:2]
	v_cmp_neq_f64_e64 s0, 1.0, v[3:4]
	s_or_b32 s0, vcc_lo, s0
	s_and_saveexec_b32 s1, s0
	s_cbranch_execz .LBB94_23
; %bb.5:
	s_load_dwordx2 s[0:1], s[4:5], 0x0
	v_lshrrev_b32_e32 v5, 5, v0
	v_lshl_or_b32 v5, s6, 2, v5
	s_waitcnt lgkmcnt(0)
	v_cmp_gt_i32_e32 vcc_lo, s0, v5
	s_and_b32 exec_lo, exec_lo, vcc_lo
	s_cbranch_execz .LBB94_23
; %bb.6:
	s_load_dwordx8 s[8:15], s[4:5], 0x10
	v_ashrrev_i32_e32 v6, 31, v5
	v_and_b32_e32 v0, 31, v0
	s_cmp_lg_u32 s1, 0
	v_lshlrev_b64 v[6:7], 2, v[5:6]
	s_waitcnt lgkmcnt(0)
	v_add_co_u32 v6, vcc_lo, s8, v6
	v_add_co_ci_u32_e64 v7, null, s9, v7, vcc_lo
	global_load_dwordx2 v[6:7], v[6:7], off
	s_waitcnt vmcnt(0)
	v_subrev_nc_u32_e32 v6, s2, v6
	v_subrev_nc_u32_e32 v16, s2, v7
	v_add_nc_u32_e32 v10, v6, v0
	v_cmp_lt_i32_e64 s0, v10, v16
	s_cbranch_scc0 .LBB94_12
; %bb.7:
	v_mov_b32_e32 v6, 0
	v_mov_b32_e32 v8, 0
	;; [unrolled: 1-line block ×4, first 2 shown]
	s_and_saveexec_b32 s3, s0
	s_cbranch_execz .LBB94_11
; %bb.8:
	v_mad_u64_u32 v[11:12], null, v10, 10, 8
	v_mov_b32_e32 v6, 0
	v_mov_b32_e32 v8, 0
	;; [unrolled: 1-line block ×6, first 2 shown]
	s_mov_b32 s6, 0
.LBB94_9:                               ; =>This Inner Loop Header: Depth=1
	v_ashrrev_i32_e32 v15, 31, v14
	v_add_nc_u32_e32 v12, -8, v11
	v_mov_b32_e32 v34, v13
	v_lshlrev_b64 v[17:18], 2, v[14:15]
	v_add_nc_u32_e32 v14, 32, v14
	v_add_co_u32 v17, vcc_lo, s10, v17
	v_add_co_ci_u32_e64 v18, null, s11, v18, vcc_lo
	global_load_dword v15, v[17:18], off
	v_lshlrev_b64 v[17:18], 3, v[12:13]
	v_add_nc_u32_e32 v12, -6, v11
	v_lshlrev_b64 v[19:20], 3, v[12:13]
	v_add_co_u32 v17, vcc_lo, s12, v17
	v_add_co_ci_u32_e64 v18, null, s13, v18, vcc_lo
	v_add_co_u32 v21, vcc_lo, s12, v19
	s_waitcnt vmcnt(0)
	v_subrev_nc_u32_e32 v12, s2, v15
	v_lshl_add_u32 v33, v12, 2, v12
	v_lshlrev_b64 v[22:23], 3, v[33:34]
	v_add_nc_u32_e32 v12, 1, v33
	v_add_co_u32 v25, s1, s14, v22
	v_add_co_ci_u32_e64 v22, null, s13, v20, vcc_lo
	v_add_co_ci_u32_e64 v26, null, s15, v23, s1
	s_clause 0x1
	global_load_dwordx4 v[17:20], v[17:18], off
	global_load_dwordx4 v[21:24], v[21:22], off
	global_load_dwordx2 v[37:38], v[25:26], off
	v_lshlrev_b64 v[25:26], 3, v[12:13]
	v_add_nc_u32_e32 v12, -4, v11
	v_lshlrev_b64 v[27:28], 3, v[12:13]
	v_add_co_u32 v25, vcc_lo, s14, v25
	v_add_co_ci_u32_e64 v26, null, s15, v26, vcc_lo
	v_add_nc_u32_e32 v12, 2, v33
	v_add_co_u32 v27, vcc_lo, s12, v27
	global_load_dwordx2 v[39:40], v[25:26], off
	v_add_co_ci_u32_e64 v28, null, s13, v28, vcc_lo
	v_lshlrev_b64 v[25:26], 3, v[12:13]
	v_add_nc_u32_e32 v12, -2, v11
	v_add_co_u32 v29, vcc_lo, s14, v25
	v_add_co_ci_u32_e64 v30, null, s15, v26, vcc_lo
	global_load_dwordx4 v[25:28], v[27:28], off
	global_load_dwordx2 v[41:42], v[29:30], off
	v_lshlrev_b64 v[29:30], 3, v[12:13]
	v_add_nc_u32_e32 v12, 3, v33
	v_lshlrev_b64 v[31:32], 3, v[12:13]
	v_add_co_u32 v29, vcc_lo, s12, v29
	v_add_co_ci_u32_e64 v30, null, s13, v30, vcc_lo
	v_mov_b32_e32 v12, v13
	v_add_co_u32 v34, vcc_lo, s14, v31
	v_add_co_ci_u32_e64 v35, null, s15, v32, vcc_lo
	global_load_dwordx4 v[29:32], v[29:30], off
	global_load_dwordx2 v[43:44], v[34:35], off
	v_lshlrev_b64 v[34:35], 3, v[11:12]
	v_add_nc_u32_e32 v12, 4, v33
	v_add_nc_u32_e32 v11, 0x140, v11
	v_lshlrev_b64 v[45:46], 3, v[12:13]
	v_add_co_u32 v33, vcc_lo, s12, v34
	v_add_co_ci_u32_e64 v34, null, s13, v35, vcc_lo
	v_add_co_u32 v45, vcc_lo, s14, v45
	v_add_co_ci_u32_e64 v46, null, s15, v46, vcc_lo
	global_load_dwordx4 v[33:36], v[33:34], off
	global_load_dwordx2 v[45:46], v[45:46], off
	v_cmp_ge_i32_e32 vcc_lo, v14, v16
	s_or_b32 s6, vcc_lo, s6
	s_waitcnt vmcnt(7)
	v_fma_f64 v[6:7], v[17:18], v[37:38], v[6:7]
	v_fma_f64 v[8:9], v[19:20], v[37:38], v[8:9]
	s_waitcnt vmcnt(6)
	v_fma_f64 v[6:7], v[21:22], v[39:40], v[6:7]
	v_fma_f64 v[8:9], v[23:24], v[39:40], v[8:9]
	;; [unrolled: 3-line block ×5, first 2 shown]
	s_andn2_b32 exec_lo, exec_lo, s6
	s_cbranch_execnz .LBB94_9
; %bb.10:
	s_or_b32 exec_lo, exec_lo, s6
.LBB94_11:
	s_or_b32 exec_lo, exec_lo, s3
	s_cbranch_execz .LBB94_13
	s_branch .LBB94_18
.LBB94_12:
                                        ; implicit-def: $vgpr6_vgpr7
                                        ; implicit-def: $vgpr8_vgpr9
.LBB94_13:
	v_mov_b32_e32 v6, 0
	v_mov_b32_e32 v8, 0
	;; [unrolled: 1-line block ×4, first 2 shown]
	s_and_saveexec_b32 s1, s0
	s_cbranch_execz .LBB94_17
; %bb.14:
	v_mad_u64_u32 v[12:13], null, v10, 10, 9
	v_mov_b32_e32 v6, 0
	v_mov_b32_e32 v8, 0
	;; [unrolled: 1-line block ×5, first 2 shown]
	s_mov_b32 s3, 0
.LBB94_15:                              ; =>This Inner Loop Header: Depth=1
	v_ashrrev_i32_e32 v11, 31, v10
	v_add_nc_u32_e32 v17, -4, v12
	v_mov_b32_e32 v22, v15
	v_mov_b32_e32 v18, v15
	v_lshlrev_b64 v[13:14], 2, v[10:11]
	v_add_nc_u32_e32 v10, 32, v10
	v_lshlrev_b64 v[17:18], 3, v[17:18]
	v_add_co_u32 v13, vcc_lo, s10, v13
	v_add_co_ci_u32_e64 v14, null, s11, v14, vcc_lo
	global_load_dword v11, v[13:14], off
	v_add_nc_u32_e32 v14, -9, v12
	v_mov_b32_e32 v13, v15
	v_lshlrev_b64 v[19:20], 3, v[14:15]
	v_lshlrev_b64 v[23:24], 3, v[12:13]
	v_add_co_u32 v13, vcc_lo, s12, v19
	v_add_co_ci_u32_e64 v14, null, s13, v20, vcc_lo
	v_add_co_u32 v25, vcc_lo, s12, v17
	v_add_co_ci_u32_e64 v26, null, s13, v18, vcc_lo
	s_clause 0x1
	global_load_dwordx4 v[17:20], v[13:14], off
	global_load_dwordx2 v[25:26], v[25:26], off
	v_add_co_u32 v23, vcc_lo, s12, v23
	v_add_co_ci_u32_e64 v24, null, s13, v24, vcc_lo
	s_waitcnt vmcnt(2)
	v_subrev_nc_u32_e32 v11, s2, v11
	v_lshl_add_u32 v21, v11, 2, v11
	v_lshlrev_b64 v[27:28], 3, v[21:22]
	v_add_nc_u32_e32 v14, 1, v21
	v_lshlrev_b64 v[29:30], 3, v[14:15]
	v_add_co_u32 v27, s0, s14, v27
	v_add_co_ci_u32_e64 v28, null, s15, v28, s0
	v_add_nc_u32_e32 v14, -3, v12
	v_add_co_u32 v29, s0, s14, v29
	global_load_dwordx2 v[27:28], v[27:28], off
	v_add_co_ci_u32_e64 v30, null, s15, v30, s0
	v_lshlrev_b64 v[31:32], 3, v[14:15]
	v_add_nc_u32_e32 v14, -7, v12
	global_load_dwordx2 v[29:30], v[29:30], off
	v_add_co_u32 v31, s0, s12, v31
	v_add_co_ci_u32_e64 v32, null, s13, v32, s0
	v_lshlrev_b64 v[33:34], 3, v[14:15]
	v_add_nc_u32_e32 v14, 2, v21
	global_load_dwordx2 v[31:32], v[31:32], off
	v_lshlrev_b64 v[35:36], 3, v[14:15]
	v_add_nc_u32_e32 v14, -2, v12
	v_add_co_u32 v33, s0, s12, v33
	v_add_co_ci_u32_e64 v34, null, s13, v34, s0
	v_lshlrev_b64 v[37:38], 3, v[14:15]
	v_add_co_u32 v35, s0, s14, v35
	v_add_co_ci_u32_e64 v36, null, s15, v36, s0
	v_add_nc_u32_e32 v14, -6, v12
	v_add_co_u32 v37, s0, s12, v37
	v_add_co_ci_u32_e64 v38, null, s13, v38, s0
	global_load_dwordx2 v[33:34], v[33:34], off
	v_lshlrev_b64 v[39:40], 3, v[14:15]
	v_add_nc_u32_e32 v14, 3, v21
	global_load_dwordx2 v[35:36], v[35:36], off
	global_load_dwordx2 v[37:38], v[37:38], off
	v_lshlrev_b64 v[41:42], 3, v[14:15]
	v_add_nc_u32_e32 v14, -1, v12
	v_add_co_u32 v39, s0, s12, v39
	v_add_co_ci_u32_e64 v40, null, s13, v40, s0
	v_lshlrev_b64 v[13:14], 3, v[14:15]
	v_add_co_u32 v41, s0, s14, v41
	v_add_co_ci_u32_e64 v42, null, s15, v42, s0
	global_load_dwordx2 v[39:40], v[39:40], off
	v_add_co_u32 v13, s0, s12, v13
	v_add_co_ci_u32_e64 v14, null, s13, v14, s0
	global_load_dwordx2 v[41:42], v[41:42], off
	global_load_dwordx2 v[43:44], v[13:14], off
	v_add_nc_u32_e32 v14, -5, v12
	v_add_nc_u32_e32 v12, 0x140, v12
	v_lshlrev_b64 v[45:46], 3, v[14:15]
	v_add_nc_u32_e32 v14, 4, v21
	v_lshlrev_b64 v[13:14], 3, v[14:15]
	v_add_co_u32 v21, vcc_lo, s12, v45
	v_add_co_ci_u32_e64 v22, null, s13, v46, vcc_lo
	v_add_co_u32 v13, vcc_lo, s14, v13
	v_add_co_ci_u32_e64 v14, null, s15, v14, vcc_lo
	s_clause 0x1
	global_load_dwordx2 v[23:24], v[23:24], off
	global_load_dwordx2 v[21:22], v[21:22], off
	;; [unrolled: 1-line block ×3, first 2 shown]
	v_cmp_ge_i32_e32 vcc_lo, v10, v16
	s_or_b32 s3, vcc_lo, s3
	s_waitcnt vmcnt(11)
	v_fma_f64 v[6:7], v[17:18], v[27:28], v[6:7]
	v_fma_f64 v[8:9], v[25:26], v[27:28], v[8:9]
	s_waitcnt vmcnt(10)
	v_fma_f64 v[6:7], v[19:20], v[29:30], v[6:7]
	s_waitcnt vmcnt(9)
	;; [unrolled: 2-line block ×7, first 2 shown]
	v_fma_f64 v[6:7], v[21:22], v[13:14], v[6:7]
	v_fma_f64 v[8:9], v[23:24], v[13:14], v[8:9]
	s_andn2_b32 exec_lo, exec_lo, s3
	s_cbranch_execnz .LBB94_15
; %bb.16:
	s_or_b32 exec_lo, exec_lo, s3
.LBB94_17:
	s_or_b32 exec_lo, exec_lo, s1
.LBB94_18:
	v_mbcnt_lo_u32_b32 v14, -1, 0
	v_xor_b32_e32 v10, 16, v14
	v_cmp_gt_i32_e32 vcc_lo, 32, v10
	v_cndmask_b32_e32 v10, v14, v10, vcc_lo
	v_lshlrev_b32_e32 v13, 2, v10
	ds_bpermute_b32 v10, v13, v6
	ds_bpermute_b32 v11, v13, v7
	ds_bpermute_b32 v12, v13, v8
	ds_bpermute_b32 v13, v13, v9
	s_waitcnt lgkmcnt(2)
	v_add_f64 v[6:7], v[6:7], v[10:11]
	v_xor_b32_e32 v10, 8, v14
	s_waitcnt lgkmcnt(0)
	v_add_f64 v[8:9], v[8:9], v[12:13]
	v_cmp_gt_i32_e32 vcc_lo, 32, v10
	v_cndmask_b32_e32 v10, v14, v10, vcc_lo
	v_lshlrev_b32_e32 v13, 2, v10
	ds_bpermute_b32 v10, v13, v6
	ds_bpermute_b32 v11, v13, v7
	ds_bpermute_b32 v12, v13, v8
	ds_bpermute_b32 v13, v13, v9
	s_waitcnt lgkmcnt(2)
	v_add_f64 v[6:7], v[6:7], v[10:11]
	v_xor_b32_e32 v10, 4, v14
	s_waitcnt lgkmcnt(0)
	v_add_f64 v[8:9], v[8:9], v[12:13]
	;; [unrolled: 12-line block ×3, first 2 shown]
	v_cmp_gt_i32_e32 vcc_lo, 32, v10
	v_cndmask_b32_e32 v10, v14, v10, vcc_lo
	v_lshlrev_b32_e32 v13, 2, v10
	ds_bpermute_b32 v10, v13, v6
	ds_bpermute_b32 v11, v13, v7
	;; [unrolled: 1-line block ×4, first 2 shown]
	s_waitcnt lgkmcnt(2)
	v_add_f64 v[6:7], v[6:7], v[10:11]
	s_waitcnt lgkmcnt(0)
	v_add_f64 v[10:11], v[8:9], v[12:13]
	v_xor_b32_e32 v8, 1, v14
	v_cmp_gt_i32_e32 vcc_lo, 32, v8
	v_cndmask_b32_e32 v8, v14, v8, vcc_lo
	v_cmp_eq_u32_e32 vcc_lo, 31, v0
	v_lshlrev_b32_e32 v13, 2, v8
	ds_bpermute_b32 v8, v13, v6
	ds_bpermute_b32 v9, v13, v7
	;; [unrolled: 1-line block ×4, first 2 shown]
	s_and_b32 exec_lo, exec_lo, vcc_lo
	s_cbranch_execz .LBB94_23
; %bb.19:
	s_waitcnt lgkmcnt(2)
	v_add_f64 v[8:9], v[6:7], v[8:9]
	s_waitcnt lgkmcnt(0)
	v_add_f64 v[6:7], v[10:11], v[12:13]
	s_load_dwordx2 s[0:1], s[4:5], 0x38
	s_mov_b32 s2, exec_lo
	v_cmpx_eq_f64_e32 0, v[3:4]
	s_xor_b32 s2, exec_lo, s2
	s_cbranch_execz .LBB94_21
; %bb.20:
	v_lshlrev_b32_e32 v0, 1, v5
	v_mul_f64 v[3:4], v[1:2], v[8:9]
	v_mul_f64 v[5:6], v[1:2], v[6:7]
                                        ; implicit-def: $vgpr8_vgpr9
	v_ashrrev_i32_e32 v1, 31, v0
	v_lshlrev_b64 v[0:1], 3, v[0:1]
	s_waitcnt lgkmcnt(0)
	v_add_co_u32 v0, vcc_lo, s0, v0
	v_add_co_ci_u32_e64 v1, null, s1, v1, vcc_lo
	global_store_dwordx4 v[0:1], v[3:6], off
                                        ; implicit-def: $vgpr5
                                        ; implicit-def: $vgpr1_vgpr2
                                        ; implicit-def: $vgpr3_vgpr4
                                        ; implicit-def: $vgpr6_vgpr7
.LBB94_21:
	s_andn2_saveexec_b32 s2, s2
	s_cbranch_execz .LBB94_23
; %bb.22:
	v_lshlrev_b32_e32 v10, 1, v5
	v_mul_f64 v[8:9], v[1:2], v[8:9]
	v_mul_f64 v[5:6], v[1:2], v[6:7]
	v_ashrrev_i32_e32 v11, 31, v10
	v_lshlrev_b64 v[10:11], 3, v[10:11]
	s_waitcnt lgkmcnt(0)
	v_add_co_u32 v14, vcc_lo, s0, v10
	v_add_co_ci_u32_e64 v15, null, s1, v11, vcc_lo
	global_load_dwordx4 v[10:13], v[14:15], off
	s_waitcnt vmcnt(0)
	v_fma_f64 v[0:1], v[3:4], v[10:11], v[8:9]
	v_fma_f64 v[2:3], v[3:4], v[12:13], v[5:6]
	global_store_dwordx4 v[14:15], v[0:3], off
.LBB94_23:
	s_endpgm
	.section	.rodata,"a",@progbits
	.p2align	6, 0x0
	.amdhsa_kernel _ZN9rocsparseL19gebsrmvn_2xn_kernelILj128ELj5ELj32EdEEvi20rocsparse_direction_NS_24const_host_device_scalarIT2_EEPKiS6_PKS3_S8_S4_PS3_21rocsparse_index_base_b
		.amdhsa_group_segment_fixed_size 0
		.amdhsa_private_segment_fixed_size 0
		.amdhsa_kernarg_size 72
		.amdhsa_user_sgpr_count 6
		.amdhsa_user_sgpr_private_segment_buffer 1
		.amdhsa_user_sgpr_dispatch_ptr 0
		.amdhsa_user_sgpr_queue_ptr 0
		.amdhsa_user_sgpr_kernarg_segment_ptr 1
		.amdhsa_user_sgpr_dispatch_id 0
		.amdhsa_user_sgpr_flat_scratch_init 0
		.amdhsa_user_sgpr_private_segment_size 0
		.amdhsa_wavefront_size32 1
		.amdhsa_uses_dynamic_stack 0
		.amdhsa_system_sgpr_private_segment_wavefront_offset 0
		.amdhsa_system_sgpr_workgroup_id_x 1
		.amdhsa_system_sgpr_workgroup_id_y 0
		.amdhsa_system_sgpr_workgroup_id_z 0
		.amdhsa_system_sgpr_workgroup_info 0
		.amdhsa_system_vgpr_workitem_id 0
		.amdhsa_next_free_vgpr 47
		.amdhsa_next_free_sgpr 16
		.amdhsa_reserve_vcc 1
		.amdhsa_reserve_flat_scratch 0
		.amdhsa_float_round_mode_32 0
		.amdhsa_float_round_mode_16_64 0
		.amdhsa_float_denorm_mode_32 3
		.amdhsa_float_denorm_mode_16_64 3
		.amdhsa_dx10_clamp 1
		.amdhsa_ieee_mode 1
		.amdhsa_fp16_overflow 0
		.amdhsa_workgroup_processor_mode 1
		.amdhsa_memory_ordered 1
		.amdhsa_forward_progress 1
		.amdhsa_shared_vgpr_count 0
		.amdhsa_exception_fp_ieee_invalid_op 0
		.amdhsa_exception_fp_denorm_src 0
		.amdhsa_exception_fp_ieee_div_zero 0
		.amdhsa_exception_fp_ieee_overflow 0
		.amdhsa_exception_fp_ieee_underflow 0
		.amdhsa_exception_fp_ieee_inexact 0
		.amdhsa_exception_int_div_zero 0
	.end_amdhsa_kernel
	.section	.text._ZN9rocsparseL19gebsrmvn_2xn_kernelILj128ELj5ELj32EdEEvi20rocsparse_direction_NS_24const_host_device_scalarIT2_EEPKiS6_PKS3_S8_S4_PS3_21rocsparse_index_base_b,"axG",@progbits,_ZN9rocsparseL19gebsrmvn_2xn_kernelILj128ELj5ELj32EdEEvi20rocsparse_direction_NS_24const_host_device_scalarIT2_EEPKiS6_PKS3_S8_S4_PS3_21rocsparse_index_base_b,comdat
.Lfunc_end94:
	.size	_ZN9rocsparseL19gebsrmvn_2xn_kernelILj128ELj5ELj32EdEEvi20rocsparse_direction_NS_24const_host_device_scalarIT2_EEPKiS6_PKS3_S8_S4_PS3_21rocsparse_index_base_b, .Lfunc_end94-_ZN9rocsparseL19gebsrmvn_2xn_kernelILj128ELj5ELj32EdEEvi20rocsparse_direction_NS_24const_host_device_scalarIT2_EEPKiS6_PKS3_S8_S4_PS3_21rocsparse_index_base_b
                                        ; -- End function
	.set _ZN9rocsparseL19gebsrmvn_2xn_kernelILj128ELj5ELj32EdEEvi20rocsparse_direction_NS_24const_host_device_scalarIT2_EEPKiS6_PKS3_S8_S4_PS3_21rocsparse_index_base_b.num_vgpr, 47
	.set _ZN9rocsparseL19gebsrmvn_2xn_kernelILj128ELj5ELj32EdEEvi20rocsparse_direction_NS_24const_host_device_scalarIT2_EEPKiS6_PKS3_S8_S4_PS3_21rocsparse_index_base_b.num_agpr, 0
	.set _ZN9rocsparseL19gebsrmvn_2xn_kernelILj128ELj5ELj32EdEEvi20rocsparse_direction_NS_24const_host_device_scalarIT2_EEPKiS6_PKS3_S8_S4_PS3_21rocsparse_index_base_b.numbered_sgpr, 16
	.set _ZN9rocsparseL19gebsrmvn_2xn_kernelILj128ELj5ELj32EdEEvi20rocsparse_direction_NS_24const_host_device_scalarIT2_EEPKiS6_PKS3_S8_S4_PS3_21rocsparse_index_base_b.num_named_barrier, 0
	.set _ZN9rocsparseL19gebsrmvn_2xn_kernelILj128ELj5ELj32EdEEvi20rocsparse_direction_NS_24const_host_device_scalarIT2_EEPKiS6_PKS3_S8_S4_PS3_21rocsparse_index_base_b.private_seg_size, 0
	.set _ZN9rocsparseL19gebsrmvn_2xn_kernelILj128ELj5ELj32EdEEvi20rocsparse_direction_NS_24const_host_device_scalarIT2_EEPKiS6_PKS3_S8_S4_PS3_21rocsparse_index_base_b.uses_vcc, 1
	.set _ZN9rocsparseL19gebsrmvn_2xn_kernelILj128ELj5ELj32EdEEvi20rocsparse_direction_NS_24const_host_device_scalarIT2_EEPKiS6_PKS3_S8_S4_PS3_21rocsparse_index_base_b.uses_flat_scratch, 0
	.set _ZN9rocsparseL19gebsrmvn_2xn_kernelILj128ELj5ELj32EdEEvi20rocsparse_direction_NS_24const_host_device_scalarIT2_EEPKiS6_PKS3_S8_S4_PS3_21rocsparse_index_base_b.has_dyn_sized_stack, 0
	.set _ZN9rocsparseL19gebsrmvn_2xn_kernelILj128ELj5ELj32EdEEvi20rocsparse_direction_NS_24const_host_device_scalarIT2_EEPKiS6_PKS3_S8_S4_PS3_21rocsparse_index_base_b.has_recursion, 0
	.set _ZN9rocsparseL19gebsrmvn_2xn_kernelILj128ELj5ELj32EdEEvi20rocsparse_direction_NS_24const_host_device_scalarIT2_EEPKiS6_PKS3_S8_S4_PS3_21rocsparse_index_base_b.has_indirect_call, 0
	.section	.AMDGPU.csdata,"",@progbits
; Kernel info:
; codeLenInByte = 2212
; TotalNumSgprs: 18
; NumVgprs: 47
; ScratchSize: 0
; MemoryBound: 0
; FloatMode: 240
; IeeeMode: 1
; LDSByteSize: 0 bytes/workgroup (compile time only)
; SGPRBlocks: 0
; VGPRBlocks: 5
; NumSGPRsForWavesPerEU: 18
; NumVGPRsForWavesPerEU: 47
; Occupancy: 16
; WaveLimiterHint : 1
; COMPUTE_PGM_RSRC2:SCRATCH_EN: 0
; COMPUTE_PGM_RSRC2:USER_SGPR: 6
; COMPUTE_PGM_RSRC2:TRAP_HANDLER: 0
; COMPUTE_PGM_RSRC2:TGID_X_EN: 1
; COMPUTE_PGM_RSRC2:TGID_Y_EN: 0
; COMPUTE_PGM_RSRC2:TGID_Z_EN: 0
; COMPUTE_PGM_RSRC2:TIDIG_COMP_CNT: 0
	.section	.text._ZN9rocsparseL19gebsrmvn_2xn_kernelILj128ELj5ELj64EdEEvi20rocsparse_direction_NS_24const_host_device_scalarIT2_EEPKiS6_PKS3_S8_S4_PS3_21rocsparse_index_base_b,"axG",@progbits,_ZN9rocsparseL19gebsrmvn_2xn_kernelILj128ELj5ELj64EdEEvi20rocsparse_direction_NS_24const_host_device_scalarIT2_EEPKiS6_PKS3_S8_S4_PS3_21rocsparse_index_base_b,comdat
	.globl	_ZN9rocsparseL19gebsrmvn_2xn_kernelILj128ELj5ELj64EdEEvi20rocsparse_direction_NS_24const_host_device_scalarIT2_EEPKiS6_PKS3_S8_S4_PS3_21rocsparse_index_base_b ; -- Begin function _ZN9rocsparseL19gebsrmvn_2xn_kernelILj128ELj5ELj64EdEEvi20rocsparse_direction_NS_24const_host_device_scalarIT2_EEPKiS6_PKS3_S8_S4_PS3_21rocsparse_index_base_b
	.p2align	8
	.type	_ZN9rocsparseL19gebsrmvn_2xn_kernelILj128ELj5ELj64EdEEvi20rocsparse_direction_NS_24const_host_device_scalarIT2_EEPKiS6_PKS3_S8_S4_PS3_21rocsparse_index_base_b,@function
_ZN9rocsparseL19gebsrmvn_2xn_kernelILj128ELj5ELj64EdEEvi20rocsparse_direction_NS_24const_host_device_scalarIT2_EEPKiS6_PKS3_S8_S4_PS3_21rocsparse_index_base_b: ; @_ZN9rocsparseL19gebsrmvn_2xn_kernelILj128ELj5ELj64EdEEvi20rocsparse_direction_NS_24const_host_device_scalarIT2_EEPKiS6_PKS3_S8_S4_PS3_21rocsparse_index_base_b
; %bb.0:
	s_clause 0x2
	s_load_dwordx2 s[2:3], s[4:5], 0x40
	s_load_dwordx2 s[8:9], s[4:5], 0x8
	;; [unrolled: 1-line block ×3, first 2 shown]
	s_waitcnt lgkmcnt(0)
	s_bitcmp1_b32 s3, 0
	v_mov_b32_e32 v1, s8
	v_mov_b32_e32 v2, s9
	s_cselect_b32 s3, -1, 0
	s_and_b32 vcc_lo, exec_lo, s3
	s_xor_b32 s3, s3, -1
	s_cbranch_vccnz .LBB95_2
; %bb.1:
	v_mov_b32_e32 v1, s8
	v_mov_b32_e32 v2, s9
	flat_load_dwordx2 v[1:2], v[1:2]
.LBB95_2:
	v_mov_b32_e32 v4, s1
	v_mov_b32_e32 v3, s0
	s_andn2_b32 vcc_lo, exec_lo, s3
	s_cbranch_vccnz .LBB95_4
; %bb.3:
	v_mov_b32_e32 v4, s1
	v_mov_b32_e32 v3, s0
	flat_load_dwordx2 v[3:4], v[3:4]
.LBB95_4:
	s_waitcnt vmcnt(0) lgkmcnt(0)
	v_cmp_neq_f64_e32 vcc_lo, 0, v[1:2]
	v_cmp_neq_f64_e64 s0, 1.0, v[3:4]
	s_or_b32 s0, vcc_lo, s0
	s_and_saveexec_b32 s1, s0
	s_cbranch_execz .LBB95_23
; %bb.5:
	s_load_dwordx2 s[0:1], s[4:5], 0x0
	v_lshrrev_b32_e32 v5, 6, v0
	v_lshl_or_b32 v5, s6, 1, v5
	s_waitcnt lgkmcnt(0)
	v_cmp_gt_i32_e32 vcc_lo, s0, v5
	s_and_b32 exec_lo, exec_lo, vcc_lo
	s_cbranch_execz .LBB95_23
; %bb.6:
	s_load_dwordx8 s[8:15], s[4:5], 0x10
	v_ashrrev_i32_e32 v6, 31, v5
	v_and_b32_e32 v0, 63, v0
	s_cmp_lg_u32 s1, 0
	v_lshlrev_b64 v[6:7], 2, v[5:6]
	s_waitcnt lgkmcnt(0)
	v_add_co_u32 v6, vcc_lo, s8, v6
	v_add_co_ci_u32_e64 v7, null, s9, v7, vcc_lo
	global_load_dwordx2 v[6:7], v[6:7], off
	s_waitcnt vmcnt(0)
	v_subrev_nc_u32_e32 v6, s2, v6
	v_subrev_nc_u32_e32 v16, s2, v7
	v_add_nc_u32_e32 v10, v6, v0
	v_cmp_lt_i32_e64 s0, v10, v16
	s_cbranch_scc0 .LBB95_12
; %bb.7:
	v_mov_b32_e32 v6, 0
	v_mov_b32_e32 v8, 0
	;; [unrolled: 1-line block ×4, first 2 shown]
	s_and_saveexec_b32 s3, s0
	s_cbranch_execz .LBB95_11
; %bb.8:
	v_mad_u64_u32 v[11:12], null, v10, 10, 8
	v_mov_b32_e32 v6, 0
	v_mov_b32_e32 v8, 0
	;; [unrolled: 1-line block ×6, first 2 shown]
	s_mov_b32 s6, 0
.LBB95_9:                               ; =>This Inner Loop Header: Depth=1
	v_ashrrev_i32_e32 v15, 31, v14
	v_add_nc_u32_e32 v12, -8, v11
	v_mov_b32_e32 v34, v13
	v_lshlrev_b64 v[17:18], 2, v[14:15]
	v_add_nc_u32_e32 v14, 64, v14
	v_add_co_u32 v17, vcc_lo, s10, v17
	v_add_co_ci_u32_e64 v18, null, s11, v18, vcc_lo
	global_load_dword v15, v[17:18], off
	v_lshlrev_b64 v[17:18], 3, v[12:13]
	v_add_nc_u32_e32 v12, -6, v11
	v_lshlrev_b64 v[19:20], 3, v[12:13]
	v_add_co_u32 v17, vcc_lo, s12, v17
	v_add_co_ci_u32_e64 v18, null, s13, v18, vcc_lo
	v_add_co_u32 v21, vcc_lo, s12, v19
	s_waitcnt vmcnt(0)
	v_subrev_nc_u32_e32 v12, s2, v15
	v_lshl_add_u32 v33, v12, 2, v12
	v_lshlrev_b64 v[22:23], 3, v[33:34]
	v_add_nc_u32_e32 v12, 1, v33
	v_add_co_u32 v25, s1, s14, v22
	v_add_co_ci_u32_e64 v22, null, s13, v20, vcc_lo
	v_add_co_ci_u32_e64 v26, null, s15, v23, s1
	s_clause 0x1
	global_load_dwordx4 v[17:20], v[17:18], off
	global_load_dwordx4 v[21:24], v[21:22], off
	global_load_dwordx2 v[37:38], v[25:26], off
	v_lshlrev_b64 v[25:26], 3, v[12:13]
	v_add_nc_u32_e32 v12, -4, v11
	v_lshlrev_b64 v[27:28], 3, v[12:13]
	v_add_co_u32 v25, vcc_lo, s14, v25
	v_add_co_ci_u32_e64 v26, null, s15, v26, vcc_lo
	v_add_nc_u32_e32 v12, 2, v33
	v_add_co_u32 v27, vcc_lo, s12, v27
	global_load_dwordx2 v[39:40], v[25:26], off
	v_add_co_ci_u32_e64 v28, null, s13, v28, vcc_lo
	v_lshlrev_b64 v[25:26], 3, v[12:13]
	v_add_nc_u32_e32 v12, -2, v11
	v_add_co_u32 v29, vcc_lo, s14, v25
	v_add_co_ci_u32_e64 v30, null, s15, v26, vcc_lo
	global_load_dwordx4 v[25:28], v[27:28], off
	global_load_dwordx2 v[41:42], v[29:30], off
	v_lshlrev_b64 v[29:30], 3, v[12:13]
	v_add_nc_u32_e32 v12, 3, v33
	v_lshlrev_b64 v[31:32], 3, v[12:13]
	v_add_co_u32 v29, vcc_lo, s12, v29
	v_add_co_ci_u32_e64 v30, null, s13, v30, vcc_lo
	v_mov_b32_e32 v12, v13
	v_add_co_u32 v34, vcc_lo, s14, v31
	v_add_co_ci_u32_e64 v35, null, s15, v32, vcc_lo
	global_load_dwordx4 v[29:32], v[29:30], off
	global_load_dwordx2 v[43:44], v[34:35], off
	v_lshlrev_b64 v[34:35], 3, v[11:12]
	v_add_nc_u32_e32 v12, 4, v33
	v_add_nc_u32_e32 v11, 0x280, v11
	v_lshlrev_b64 v[45:46], 3, v[12:13]
	v_add_co_u32 v33, vcc_lo, s12, v34
	v_add_co_ci_u32_e64 v34, null, s13, v35, vcc_lo
	v_add_co_u32 v45, vcc_lo, s14, v45
	v_add_co_ci_u32_e64 v46, null, s15, v46, vcc_lo
	global_load_dwordx4 v[33:36], v[33:34], off
	global_load_dwordx2 v[45:46], v[45:46], off
	v_cmp_ge_i32_e32 vcc_lo, v14, v16
	s_or_b32 s6, vcc_lo, s6
	s_waitcnt vmcnt(7)
	v_fma_f64 v[6:7], v[17:18], v[37:38], v[6:7]
	v_fma_f64 v[8:9], v[19:20], v[37:38], v[8:9]
	s_waitcnt vmcnt(6)
	v_fma_f64 v[6:7], v[21:22], v[39:40], v[6:7]
	v_fma_f64 v[8:9], v[23:24], v[39:40], v[8:9]
	s_waitcnt vmcnt(4)
	v_fma_f64 v[6:7], v[25:26], v[41:42], v[6:7]
	v_fma_f64 v[8:9], v[27:28], v[41:42], v[8:9]
	s_waitcnt vmcnt(2)
	v_fma_f64 v[6:7], v[29:30], v[43:44], v[6:7]
	v_fma_f64 v[8:9], v[31:32], v[43:44], v[8:9]
	s_waitcnt vmcnt(0)
	v_fma_f64 v[6:7], v[33:34], v[45:46], v[6:7]
	v_fma_f64 v[8:9], v[35:36], v[45:46], v[8:9]
	s_andn2_b32 exec_lo, exec_lo, s6
	s_cbranch_execnz .LBB95_9
; %bb.10:
	s_or_b32 exec_lo, exec_lo, s6
.LBB95_11:
	s_or_b32 exec_lo, exec_lo, s3
	s_cbranch_execz .LBB95_13
	s_branch .LBB95_18
.LBB95_12:
                                        ; implicit-def: $vgpr6_vgpr7
                                        ; implicit-def: $vgpr8_vgpr9
.LBB95_13:
	v_mov_b32_e32 v6, 0
	v_mov_b32_e32 v8, 0
	;; [unrolled: 1-line block ×4, first 2 shown]
	s_and_saveexec_b32 s1, s0
	s_cbranch_execz .LBB95_17
; %bb.14:
	v_mad_u64_u32 v[12:13], null, v10, 10, 9
	v_mov_b32_e32 v6, 0
	v_mov_b32_e32 v8, 0
	;; [unrolled: 1-line block ×5, first 2 shown]
	s_mov_b32 s3, 0
.LBB95_15:                              ; =>This Inner Loop Header: Depth=1
	v_ashrrev_i32_e32 v11, 31, v10
	v_add_nc_u32_e32 v17, -4, v12
	v_mov_b32_e32 v22, v15
	v_mov_b32_e32 v18, v15
	v_lshlrev_b64 v[13:14], 2, v[10:11]
	v_add_nc_u32_e32 v10, 64, v10
	v_lshlrev_b64 v[17:18], 3, v[17:18]
	v_add_co_u32 v13, vcc_lo, s10, v13
	v_add_co_ci_u32_e64 v14, null, s11, v14, vcc_lo
	global_load_dword v11, v[13:14], off
	v_add_nc_u32_e32 v14, -9, v12
	v_mov_b32_e32 v13, v15
	v_lshlrev_b64 v[19:20], 3, v[14:15]
	v_lshlrev_b64 v[23:24], 3, v[12:13]
	v_add_co_u32 v13, vcc_lo, s12, v19
	v_add_co_ci_u32_e64 v14, null, s13, v20, vcc_lo
	v_add_co_u32 v25, vcc_lo, s12, v17
	v_add_co_ci_u32_e64 v26, null, s13, v18, vcc_lo
	s_clause 0x1
	global_load_dwordx4 v[17:20], v[13:14], off
	global_load_dwordx2 v[25:26], v[25:26], off
	v_add_co_u32 v23, vcc_lo, s12, v23
	v_add_co_ci_u32_e64 v24, null, s13, v24, vcc_lo
	s_waitcnt vmcnt(2)
	v_subrev_nc_u32_e32 v11, s2, v11
	v_lshl_add_u32 v21, v11, 2, v11
	v_lshlrev_b64 v[27:28], 3, v[21:22]
	v_add_nc_u32_e32 v14, 1, v21
	v_lshlrev_b64 v[29:30], 3, v[14:15]
	v_add_co_u32 v27, s0, s14, v27
	v_add_co_ci_u32_e64 v28, null, s15, v28, s0
	v_add_nc_u32_e32 v14, -3, v12
	v_add_co_u32 v29, s0, s14, v29
	global_load_dwordx2 v[27:28], v[27:28], off
	v_add_co_ci_u32_e64 v30, null, s15, v30, s0
	v_lshlrev_b64 v[31:32], 3, v[14:15]
	v_add_nc_u32_e32 v14, -7, v12
	global_load_dwordx2 v[29:30], v[29:30], off
	v_add_co_u32 v31, s0, s12, v31
	v_add_co_ci_u32_e64 v32, null, s13, v32, s0
	v_lshlrev_b64 v[33:34], 3, v[14:15]
	v_add_nc_u32_e32 v14, 2, v21
	global_load_dwordx2 v[31:32], v[31:32], off
	v_lshlrev_b64 v[35:36], 3, v[14:15]
	v_add_nc_u32_e32 v14, -2, v12
	v_add_co_u32 v33, s0, s12, v33
	v_add_co_ci_u32_e64 v34, null, s13, v34, s0
	v_lshlrev_b64 v[37:38], 3, v[14:15]
	v_add_co_u32 v35, s0, s14, v35
	v_add_co_ci_u32_e64 v36, null, s15, v36, s0
	v_add_nc_u32_e32 v14, -6, v12
	v_add_co_u32 v37, s0, s12, v37
	v_add_co_ci_u32_e64 v38, null, s13, v38, s0
	global_load_dwordx2 v[33:34], v[33:34], off
	v_lshlrev_b64 v[39:40], 3, v[14:15]
	v_add_nc_u32_e32 v14, 3, v21
	global_load_dwordx2 v[35:36], v[35:36], off
	global_load_dwordx2 v[37:38], v[37:38], off
	v_lshlrev_b64 v[41:42], 3, v[14:15]
	v_add_nc_u32_e32 v14, -1, v12
	v_add_co_u32 v39, s0, s12, v39
	v_add_co_ci_u32_e64 v40, null, s13, v40, s0
	v_lshlrev_b64 v[13:14], 3, v[14:15]
	v_add_co_u32 v41, s0, s14, v41
	v_add_co_ci_u32_e64 v42, null, s15, v42, s0
	global_load_dwordx2 v[39:40], v[39:40], off
	v_add_co_u32 v13, s0, s12, v13
	v_add_co_ci_u32_e64 v14, null, s13, v14, s0
	global_load_dwordx2 v[41:42], v[41:42], off
	global_load_dwordx2 v[43:44], v[13:14], off
	v_add_nc_u32_e32 v14, -5, v12
	v_add_nc_u32_e32 v12, 0x280, v12
	v_lshlrev_b64 v[45:46], 3, v[14:15]
	v_add_nc_u32_e32 v14, 4, v21
	v_lshlrev_b64 v[13:14], 3, v[14:15]
	v_add_co_u32 v21, vcc_lo, s12, v45
	v_add_co_ci_u32_e64 v22, null, s13, v46, vcc_lo
	v_add_co_u32 v13, vcc_lo, s14, v13
	v_add_co_ci_u32_e64 v14, null, s15, v14, vcc_lo
	s_clause 0x1
	global_load_dwordx2 v[23:24], v[23:24], off
	global_load_dwordx2 v[21:22], v[21:22], off
	;; [unrolled: 1-line block ×3, first 2 shown]
	v_cmp_ge_i32_e32 vcc_lo, v10, v16
	s_or_b32 s3, vcc_lo, s3
	s_waitcnt vmcnt(11)
	v_fma_f64 v[6:7], v[17:18], v[27:28], v[6:7]
	v_fma_f64 v[8:9], v[25:26], v[27:28], v[8:9]
	s_waitcnt vmcnt(10)
	v_fma_f64 v[6:7], v[19:20], v[29:30], v[6:7]
	s_waitcnt vmcnt(9)
	;; [unrolled: 2-line block ×7, first 2 shown]
	v_fma_f64 v[6:7], v[21:22], v[13:14], v[6:7]
	v_fma_f64 v[8:9], v[23:24], v[13:14], v[8:9]
	s_andn2_b32 exec_lo, exec_lo, s3
	s_cbranch_execnz .LBB95_15
; %bb.16:
	s_or_b32 exec_lo, exec_lo, s3
.LBB95_17:
	s_or_b32 exec_lo, exec_lo, s1
.LBB95_18:
	v_mbcnt_lo_u32_b32 v14, -1, 0
	v_or_b32_e32 v10, 32, v14
	v_cmp_gt_i32_e32 vcc_lo, 32, v10
	v_cndmask_b32_e32 v10, v14, v10, vcc_lo
	v_lshlrev_b32_e32 v13, 2, v10
	ds_bpermute_b32 v10, v13, v6
	ds_bpermute_b32 v11, v13, v7
	ds_bpermute_b32 v12, v13, v8
	ds_bpermute_b32 v13, v13, v9
	s_waitcnt lgkmcnt(2)
	v_add_f64 v[6:7], v[6:7], v[10:11]
	v_xor_b32_e32 v10, 16, v14
	s_waitcnt lgkmcnt(0)
	v_add_f64 v[8:9], v[8:9], v[12:13]
	v_cmp_gt_i32_e32 vcc_lo, 32, v10
	v_cndmask_b32_e32 v10, v14, v10, vcc_lo
	v_lshlrev_b32_e32 v13, 2, v10
	ds_bpermute_b32 v10, v13, v6
	ds_bpermute_b32 v11, v13, v7
	ds_bpermute_b32 v12, v13, v8
	ds_bpermute_b32 v13, v13, v9
	s_waitcnt lgkmcnt(2)
	v_add_f64 v[6:7], v[6:7], v[10:11]
	v_xor_b32_e32 v10, 8, v14
	s_waitcnt lgkmcnt(0)
	v_add_f64 v[8:9], v[8:9], v[12:13]
	;; [unrolled: 12-line block ×4, first 2 shown]
	v_cmp_gt_i32_e32 vcc_lo, 32, v10
	v_cndmask_b32_e32 v10, v14, v10, vcc_lo
	v_lshlrev_b32_e32 v13, 2, v10
	ds_bpermute_b32 v10, v13, v6
	ds_bpermute_b32 v11, v13, v7
	;; [unrolled: 1-line block ×4, first 2 shown]
	s_waitcnt lgkmcnt(2)
	v_add_f64 v[6:7], v[6:7], v[10:11]
	s_waitcnt lgkmcnt(0)
	v_add_f64 v[10:11], v[8:9], v[12:13]
	v_xor_b32_e32 v8, 1, v14
	v_cmp_gt_i32_e32 vcc_lo, 32, v8
	v_cndmask_b32_e32 v8, v14, v8, vcc_lo
	v_cmp_eq_u32_e32 vcc_lo, 63, v0
	v_lshlrev_b32_e32 v13, 2, v8
	ds_bpermute_b32 v8, v13, v6
	ds_bpermute_b32 v9, v13, v7
	;; [unrolled: 1-line block ×4, first 2 shown]
	s_and_b32 exec_lo, exec_lo, vcc_lo
	s_cbranch_execz .LBB95_23
; %bb.19:
	s_waitcnt lgkmcnt(2)
	v_add_f64 v[8:9], v[6:7], v[8:9]
	s_waitcnt lgkmcnt(0)
	v_add_f64 v[6:7], v[10:11], v[12:13]
	s_load_dwordx2 s[0:1], s[4:5], 0x38
	s_mov_b32 s2, exec_lo
	v_cmpx_eq_f64_e32 0, v[3:4]
	s_xor_b32 s2, exec_lo, s2
	s_cbranch_execz .LBB95_21
; %bb.20:
	v_lshlrev_b32_e32 v0, 1, v5
	v_mul_f64 v[3:4], v[1:2], v[8:9]
	v_mul_f64 v[5:6], v[1:2], v[6:7]
                                        ; implicit-def: $vgpr8_vgpr9
	v_ashrrev_i32_e32 v1, 31, v0
	v_lshlrev_b64 v[0:1], 3, v[0:1]
	s_waitcnt lgkmcnt(0)
	v_add_co_u32 v0, vcc_lo, s0, v0
	v_add_co_ci_u32_e64 v1, null, s1, v1, vcc_lo
	global_store_dwordx4 v[0:1], v[3:6], off
                                        ; implicit-def: $vgpr5
                                        ; implicit-def: $vgpr1_vgpr2
                                        ; implicit-def: $vgpr3_vgpr4
                                        ; implicit-def: $vgpr6_vgpr7
.LBB95_21:
	s_andn2_saveexec_b32 s2, s2
	s_cbranch_execz .LBB95_23
; %bb.22:
	v_lshlrev_b32_e32 v10, 1, v5
	v_mul_f64 v[8:9], v[1:2], v[8:9]
	v_mul_f64 v[5:6], v[1:2], v[6:7]
	v_ashrrev_i32_e32 v11, 31, v10
	v_lshlrev_b64 v[10:11], 3, v[10:11]
	s_waitcnt lgkmcnt(0)
	v_add_co_u32 v14, vcc_lo, s0, v10
	v_add_co_ci_u32_e64 v15, null, s1, v11, vcc_lo
	global_load_dwordx4 v[10:13], v[14:15], off
	s_waitcnt vmcnt(0)
	v_fma_f64 v[0:1], v[3:4], v[10:11], v[8:9]
	v_fma_f64 v[2:3], v[3:4], v[12:13], v[5:6]
	global_store_dwordx4 v[14:15], v[0:3], off
.LBB95_23:
	s_endpgm
	.section	.rodata,"a",@progbits
	.p2align	6, 0x0
	.amdhsa_kernel _ZN9rocsparseL19gebsrmvn_2xn_kernelILj128ELj5ELj64EdEEvi20rocsparse_direction_NS_24const_host_device_scalarIT2_EEPKiS6_PKS3_S8_S4_PS3_21rocsparse_index_base_b
		.amdhsa_group_segment_fixed_size 0
		.amdhsa_private_segment_fixed_size 0
		.amdhsa_kernarg_size 72
		.amdhsa_user_sgpr_count 6
		.amdhsa_user_sgpr_private_segment_buffer 1
		.amdhsa_user_sgpr_dispatch_ptr 0
		.amdhsa_user_sgpr_queue_ptr 0
		.amdhsa_user_sgpr_kernarg_segment_ptr 1
		.amdhsa_user_sgpr_dispatch_id 0
		.amdhsa_user_sgpr_flat_scratch_init 0
		.amdhsa_user_sgpr_private_segment_size 0
		.amdhsa_wavefront_size32 1
		.amdhsa_uses_dynamic_stack 0
		.amdhsa_system_sgpr_private_segment_wavefront_offset 0
		.amdhsa_system_sgpr_workgroup_id_x 1
		.amdhsa_system_sgpr_workgroup_id_y 0
		.amdhsa_system_sgpr_workgroup_id_z 0
		.amdhsa_system_sgpr_workgroup_info 0
		.amdhsa_system_vgpr_workitem_id 0
		.amdhsa_next_free_vgpr 47
		.amdhsa_next_free_sgpr 16
		.amdhsa_reserve_vcc 1
		.amdhsa_reserve_flat_scratch 0
		.amdhsa_float_round_mode_32 0
		.amdhsa_float_round_mode_16_64 0
		.amdhsa_float_denorm_mode_32 3
		.amdhsa_float_denorm_mode_16_64 3
		.amdhsa_dx10_clamp 1
		.amdhsa_ieee_mode 1
		.amdhsa_fp16_overflow 0
		.amdhsa_workgroup_processor_mode 1
		.amdhsa_memory_ordered 1
		.amdhsa_forward_progress 1
		.amdhsa_shared_vgpr_count 0
		.amdhsa_exception_fp_ieee_invalid_op 0
		.amdhsa_exception_fp_denorm_src 0
		.amdhsa_exception_fp_ieee_div_zero 0
		.amdhsa_exception_fp_ieee_overflow 0
		.amdhsa_exception_fp_ieee_underflow 0
		.amdhsa_exception_fp_ieee_inexact 0
		.amdhsa_exception_int_div_zero 0
	.end_amdhsa_kernel
	.section	.text._ZN9rocsparseL19gebsrmvn_2xn_kernelILj128ELj5ELj64EdEEvi20rocsparse_direction_NS_24const_host_device_scalarIT2_EEPKiS6_PKS3_S8_S4_PS3_21rocsparse_index_base_b,"axG",@progbits,_ZN9rocsparseL19gebsrmvn_2xn_kernelILj128ELj5ELj64EdEEvi20rocsparse_direction_NS_24const_host_device_scalarIT2_EEPKiS6_PKS3_S8_S4_PS3_21rocsparse_index_base_b,comdat
.Lfunc_end95:
	.size	_ZN9rocsparseL19gebsrmvn_2xn_kernelILj128ELj5ELj64EdEEvi20rocsparse_direction_NS_24const_host_device_scalarIT2_EEPKiS6_PKS3_S8_S4_PS3_21rocsparse_index_base_b, .Lfunc_end95-_ZN9rocsparseL19gebsrmvn_2xn_kernelILj128ELj5ELj64EdEEvi20rocsparse_direction_NS_24const_host_device_scalarIT2_EEPKiS6_PKS3_S8_S4_PS3_21rocsparse_index_base_b
                                        ; -- End function
	.set _ZN9rocsparseL19gebsrmvn_2xn_kernelILj128ELj5ELj64EdEEvi20rocsparse_direction_NS_24const_host_device_scalarIT2_EEPKiS6_PKS3_S8_S4_PS3_21rocsparse_index_base_b.num_vgpr, 47
	.set _ZN9rocsparseL19gebsrmvn_2xn_kernelILj128ELj5ELj64EdEEvi20rocsparse_direction_NS_24const_host_device_scalarIT2_EEPKiS6_PKS3_S8_S4_PS3_21rocsparse_index_base_b.num_agpr, 0
	.set _ZN9rocsparseL19gebsrmvn_2xn_kernelILj128ELj5ELj64EdEEvi20rocsparse_direction_NS_24const_host_device_scalarIT2_EEPKiS6_PKS3_S8_S4_PS3_21rocsparse_index_base_b.numbered_sgpr, 16
	.set _ZN9rocsparseL19gebsrmvn_2xn_kernelILj128ELj5ELj64EdEEvi20rocsparse_direction_NS_24const_host_device_scalarIT2_EEPKiS6_PKS3_S8_S4_PS3_21rocsparse_index_base_b.num_named_barrier, 0
	.set _ZN9rocsparseL19gebsrmvn_2xn_kernelILj128ELj5ELj64EdEEvi20rocsparse_direction_NS_24const_host_device_scalarIT2_EEPKiS6_PKS3_S8_S4_PS3_21rocsparse_index_base_b.private_seg_size, 0
	.set _ZN9rocsparseL19gebsrmvn_2xn_kernelILj128ELj5ELj64EdEEvi20rocsparse_direction_NS_24const_host_device_scalarIT2_EEPKiS6_PKS3_S8_S4_PS3_21rocsparse_index_base_b.uses_vcc, 1
	.set _ZN9rocsparseL19gebsrmvn_2xn_kernelILj128ELj5ELj64EdEEvi20rocsparse_direction_NS_24const_host_device_scalarIT2_EEPKiS6_PKS3_S8_S4_PS3_21rocsparse_index_base_b.uses_flat_scratch, 0
	.set _ZN9rocsparseL19gebsrmvn_2xn_kernelILj128ELj5ELj64EdEEvi20rocsparse_direction_NS_24const_host_device_scalarIT2_EEPKiS6_PKS3_S8_S4_PS3_21rocsparse_index_base_b.has_dyn_sized_stack, 0
	.set _ZN9rocsparseL19gebsrmvn_2xn_kernelILj128ELj5ELj64EdEEvi20rocsparse_direction_NS_24const_host_device_scalarIT2_EEPKiS6_PKS3_S8_S4_PS3_21rocsparse_index_base_b.has_recursion, 0
	.set _ZN9rocsparseL19gebsrmvn_2xn_kernelILj128ELj5ELj64EdEEvi20rocsparse_direction_NS_24const_host_device_scalarIT2_EEPKiS6_PKS3_S8_S4_PS3_21rocsparse_index_base_b.has_indirect_call, 0
	.section	.AMDGPU.csdata,"",@progbits
; Kernel info:
; codeLenInByte = 2284
; TotalNumSgprs: 18
; NumVgprs: 47
; ScratchSize: 0
; MemoryBound: 0
; FloatMode: 240
; IeeeMode: 1
; LDSByteSize: 0 bytes/workgroup (compile time only)
; SGPRBlocks: 0
; VGPRBlocks: 5
; NumSGPRsForWavesPerEU: 18
; NumVGPRsForWavesPerEU: 47
; Occupancy: 16
; WaveLimiterHint : 1
; COMPUTE_PGM_RSRC2:SCRATCH_EN: 0
; COMPUTE_PGM_RSRC2:USER_SGPR: 6
; COMPUTE_PGM_RSRC2:TRAP_HANDLER: 0
; COMPUTE_PGM_RSRC2:TGID_X_EN: 1
; COMPUTE_PGM_RSRC2:TGID_Y_EN: 0
; COMPUTE_PGM_RSRC2:TGID_Z_EN: 0
; COMPUTE_PGM_RSRC2:TIDIG_COMP_CNT: 0
	.section	.text._ZN9rocsparseL19gebsrmvn_2xn_kernelILj128ELj6ELj4EdEEvi20rocsparse_direction_NS_24const_host_device_scalarIT2_EEPKiS6_PKS3_S8_S4_PS3_21rocsparse_index_base_b,"axG",@progbits,_ZN9rocsparseL19gebsrmvn_2xn_kernelILj128ELj6ELj4EdEEvi20rocsparse_direction_NS_24const_host_device_scalarIT2_EEPKiS6_PKS3_S8_S4_PS3_21rocsparse_index_base_b,comdat
	.globl	_ZN9rocsparseL19gebsrmvn_2xn_kernelILj128ELj6ELj4EdEEvi20rocsparse_direction_NS_24const_host_device_scalarIT2_EEPKiS6_PKS3_S8_S4_PS3_21rocsparse_index_base_b ; -- Begin function _ZN9rocsparseL19gebsrmvn_2xn_kernelILj128ELj6ELj4EdEEvi20rocsparse_direction_NS_24const_host_device_scalarIT2_EEPKiS6_PKS3_S8_S4_PS3_21rocsparse_index_base_b
	.p2align	8
	.type	_ZN9rocsparseL19gebsrmvn_2xn_kernelILj128ELj6ELj4EdEEvi20rocsparse_direction_NS_24const_host_device_scalarIT2_EEPKiS6_PKS3_S8_S4_PS3_21rocsparse_index_base_b,@function
_ZN9rocsparseL19gebsrmvn_2xn_kernelILj128ELj6ELj4EdEEvi20rocsparse_direction_NS_24const_host_device_scalarIT2_EEPKiS6_PKS3_S8_S4_PS3_21rocsparse_index_base_b: ; @_ZN9rocsparseL19gebsrmvn_2xn_kernelILj128ELj6ELj4EdEEvi20rocsparse_direction_NS_24const_host_device_scalarIT2_EEPKiS6_PKS3_S8_S4_PS3_21rocsparse_index_base_b
; %bb.0:
	s_clause 0x2
	s_load_dwordx2 s[2:3], s[4:5], 0x40
	s_load_dwordx2 s[8:9], s[4:5], 0x8
	;; [unrolled: 1-line block ×3, first 2 shown]
	s_waitcnt lgkmcnt(0)
	s_bitcmp1_b32 s3, 0
	v_mov_b32_e32 v1, s8
	v_mov_b32_e32 v2, s9
	s_cselect_b32 s3, -1, 0
	s_and_b32 vcc_lo, exec_lo, s3
	s_xor_b32 s3, s3, -1
	s_cbranch_vccnz .LBB96_2
; %bb.1:
	v_mov_b32_e32 v1, s8
	v_mov_b32_e32 v2, s9
	flat_load_dwordx2 v[1:2], v[1:2]
.LBB96_2:
	v_mov_b32_e32 v4, s1
	v_mov_b32_e32 v3, s0
	s_andn2_b32 vcc_lo, exec_lo, s3
	s_cbranch_vccnz .LBB96_4
; %bb.3:
	v_mov_b32_e32 v4, s1
	v_mov_b32_e32 v3, s0
	flat_load_dwordx2 v[3:4], v[3:4]
.LBB96_4:
	s_waitcnt vmcnt(0) lgkmcnt(0)
	v_cmp_neq_f64_e32 vcc_lo, 0, v[1:2]
	v_cmp_neq_f64_e64 s0, 1.0, v[3:4]
	s_or_b32 s0, vcc_lo, s0
	s_and_saveexec_b32 s1, s0
	s_cbranch_execz .LBB96_23
; %bb.5:
	s_load_dwordx2 s[0:1], s[4:5], 0x0
	v_lshrrev_b32_e32 v5, 2, v0
	v_lshl_or_b32 v5, s6, 5, v5
	s_waitcnt lgkmcnt(0)
	v_cmp_gt_i32_e32 vcc_lo, s0, v5
	s_and_b32 exec_lo, exec_lo, vcc_lo
	s_cbranch_execz .LBB96_23
; %bb.6:
	s_load_dwordx8 s[8:15], s[4:5], 0x10
	v_ashrrev_i32_e32 v6, 31, v5
	v_and_b32_e32 v0, 3, v0
	s_cmp_lg_u32 s1, 0
	v_lshlrev_b64 v[6:7], 2, v[5:6]
	s_waitcnt lgkmcnt(0)
	v_add_co_u32 v6, vcc_lo, s8, v6
	v_add_co_ci_u32_e64 v7, null, s9, v7, vcc_lo
	global_load_dwordx2 v[6:7], v[6:7], off
	s_waitcnt vmcnt(0)
	v_subrev_nc_u32_e32 v6, s2, v6
	v_subrev_nc_u32_e32 v17, s2, v7
	v_add_nc_u32_e32 v6, v6, v0
	v_cmp_lt_i32_e64 s0, v6, v17
	s_cbranch_scc0 .LBB96_12
; %bb.7:
	v_mov_b32_e32 v8, 0
	v_mov_b32_e32 v10, 0
	v_mov_b32_e32 v9, 0
	v_mov_b32_e32 v11, 0
	s_and_saveexec_b32 s1, s0
	s_cbranch_execz .LBB96_11
; %bb.8:
	v_mad_u64_u32 v[12:13], null, v6, 12, 10
	v_mov_b32_e32 v8, 0
	v_mov_b32_e32 v10, 0
	;; [unrolled: 1-line block ×6, first 2 shown]
	s_mov_b32 s3, 0
.LBB96_9:                               ; =>This Inner Loop Header: Depth=1
	v_ashrrev_i32_e32 v16, 31, v15
	v_add_nc_u32_e32 v13, -10, v12
	v_mov_b32_e32 v43, v14
	v_lshlrev_b64 v[18:19], 2, v[15:16]
	v_add_nc_u32_e32 v15, 4, v15
	v_add_co_u32 v18, vcc_lo, s10, v18
	v_add_co_ci_u32_e64 v19, null, s11, v19, vcc_lo
	global_load_dword v7, v[18:19], off
	v_lshlrev_b64 v[18:19], 3, v[13:14]
	v_add_nc_u32_e32 v13, -6, v12
	v_lshlrev_b64 v[30:31], 3, v[13:14]
	v_add_co_u32 v22, vcc_lo, s12, v18
	v_add_co_ci_u32_e64 v23, null, s13, v19, vcc_lo
	s_waitcnt vmcnt(0)
	v_subrev_nc_u32_e32 v7, s2, v7
	v_mul_lo_u32 v42, v7, 6
	v_lshlrev_b64 v[20:21], 3, v[42:43]
	v_add_nc_u32_e32 v13, 2, v42
	v_lshlrev_b64 v[32:33], 3, v[13:14]
	v_add_co_u32 v26, vcc_lo, s14, v20
	v_add_co_ci_u32_e64 v27, null, s15, v21, vcc_lo
	s_clause 0x1
	global_load_dwordx4 v[18:21], v[22:23], off offset:16
	global_load_dwordx4 v[22:25], v[22:23], off
	global_load_dwordx4 v[26:29], v[26:27], off
	v_add_co_u32 v30, vcc_lo, s12, v30
	v_add_co_ci_u32_e64 v31, null, s13, v31, vcc_lo
	v_add_co_u32 v34, vcc_lo, s14, v32
	v_add_co_ci_u32_e64 v35, null, s15, v33, vcc_lo
	global_load_dwordx4 v[30:33], v[30:31], off
	global_load_dwordx4 v[34:37], v[34:35], off
	v_add_nc_u32_e32 v13, -4, v12
	v_lshlrev_b64 v[38:39], 3, v[13:14]
	v_add_nc_u32_e32 v13, -2, v12
	v_add_co_u32 v38, vcc_lo, s12, v38
	v_add_co_ci_u32_e64 v39, null, s13, v39, vcc_lo
	v_lshlrev_b64 v[43:44], 3, v[13:14]
	v_add_nc_u32_e32 v13, 4, v42
	global_load_dwordx4 v[38:41], v[38:39], off
	v_lshlrev_b64 v[45:46], 3, v[13:14]
	v_add_co_u32 v42, vcc_lo, s12, v43
	v_add_co_ci_u32_e64 v43, null, s13, v44, vcc_lo
	v_mov_b32_e32 v13, v14
	v_add_co_u32 v47, vcc_lo, s14, v45
	v_add_co_ci_u32_e64 v48, null, s15, v46, vcc_lo
	global_load_dwordx4 v[42:45], v[42:43], off
	global_load_dwordx4 v[46:49], v[47:48], off
	v_lshlrev_b64 v[50:51], 3, v[12:13]
	v_add_nc_u32_e32 v12, 48, v12
	v_add_co_u32 v50, vcc_lo, s12, v50
	v_add_co_ci_u32_e64 v51, null, s13, v51, vcc_lo
	v_cmp_ge_i32_e32 vcc_lo, v15, v17
	global_load_dwordx4 v[50:53], v[50:51], off
	s_or_b32 s3, vcc_lo, s3
	s_waitcnt vmcnt(6)
	v_fma_f64 v[7:8], v[22:23], v[26:27], v[8:9]
	v_fma_f64 v[9:10], v[24:25], v[26:27], v[10:11]
	;; [unrolled: 1-line block ×4, first 2 shown]
	s_waitcnt vmcnt(4)
	v_fma_f64 v[7:8], v[30:31], v[34:35], v[7:8]
	v_fma_f64 v[9:10], v[32:33], v[34:35], v[9:10]
	s_waitcnt vmcnt(3)
	v_fma_f64 v[7:8], v[38:39], v[36:37], v[7:8]
	v_fma_f64 v[9:10], v[40:41], v[36:37], v[9:10]
	;; [unrolled: 3-line block ×4, first 2 shown]
	s_andn2_b32 exec_lo, exec_lo, s3
	s_cbranch_execnz .LBB96_9
; %bb.10:
	s_or_b32 exec_lo, exec_lo, s3
.LBB96_11:
	s_or_b32 exec_lo, exec_lo, s1
	s_cbranch_execz .LBB96_13
	s_branch .LBB96_18
.LBB96_12:
                                        ; implicit-def: $vgpr8_vgpr9
                                        ; implicit-def: $vgpr10_vgpr11
.LBB96_13:
	v_mov_b32_e32 v8, 0
	v_mov_b32_e32 v10, 0
	;; [unrolled: 1-line block ×4, first 2 shown]
	s_and_saveexec_b32 s1, s0
	s_cbranch_execz .LBB96_17
; %bb.14:
	v_mad_u64_u32 v[12:13], null, v6, 12, 11
	v_mov_b32_e32 v8, 0
	v_mov_b32_e32 v10, 0
	;; [unrolled: 1-line block ×5, first 2 shown]
	s_mov_b32 s0, 0
.LBB96_15:                              ; =>This Inner Loop Header: Depth=1
	v_ashrrev_i32_e32 v7, 31, v6
	v_add_nc_u32_e32 v13, -11, v12
	v_mov_b32_e32 v35, v14
	v_lshlrev_b64 v[15:16], 2, v[6:7]
	v_lshlrev_b64 v[18:19], 3, v[13:14]
	v_add_nc_u32_e32 v13, -4, v12
	v_add_nc_u32_e32 v6, 4, v6
	v_add_co_u32 v15, vcc_lo, s10, v15
	v_add_co_ci_u32_e64 v16, null, s11, v16, vcc_lo
	v_add_co_u32 v22, vcc_lo, s12, v18
	v_add_co_ci_u32_e64 v23, null, s13, v19, vcc_lo
	global_load_dword v7, v[15:16], off
	v_add_nc_u32_e32 v15, -5, v12
	v_mov_b32_e32 v16, v14
	v_lshlrev_b64 v[30:31], 3, v[13:14]
	v_lshlrev_b64 v[15:16], 3, v[15:16]
	v_add_co_u32 v15, vcc_lo, s12, v15
	v_add_co_ci_u32_e64 v16, null, s13, v16, vcc_lo
	s_waitcnt vmcnt(0)
	v_subrev_nc_u32_e32 v7, s2, v7
	v_mul_lo_u32 v34, v7, 6
	v_lshlrev_b64 v[18:19], 3, v[34:35]
	v_add_nc_u32_e32 v13, 2, v34
	v_add_co_u32 v26, vcc_lo, s14, v18
	v_add_co_ci_u32_e64 v27, null, s15, v19, vcc_lo
	s_clause 0x2
	global_load_dwordx4 v[18:21], v[22:23], off offset:16
	global_load_dwordx4 v[22:25], v[22:23], off
	global_load_dwordx2 v[15:16], v[15:16], off
	global_load_dwordx4 v[26:29], v[26:27], off
	v_add_co_u32 v30, vcc_lo, s12, v30
	v_add_co_ci_u32_e64 v31, null, s13, v31, vcc_lo
	global_load_dwordx2 v[38:39], v[30:31], off
	v_lshlrev_b64 v[30:31], 3, v[13:14]
	v_add_nc_u32_e32 v13, -3, v12
	v_lshlrev_b64 v[32:33], 3, v[13:14]
	v_add_co_u32 v30, vcc_lo, s14, v30
	v_add_co_ci_u32_e64 v31, null, s15, v31, vcc_lo
	v_add_nc_u32_e32 v13, -2, v12
	v_add_co_u32 v35, vcc_lo, s12, v32
	v_add_co_ci_u32_e64 v36, null, s13, v33, vcc_lo
	global_load_dwordx4 v[30:33], v[30:31], off
	global_load_dwordx2 v[40:41], v[35:36], off
	v_lshlrev_b64 v[35:36], 3, v[13:14]
	v_add_nc_u32_e32 v13, -7, v12
	v_add_co_u32 v35, vcc_lo, s12, v35
	v_add_co_ci_u32_e64 v36, null, s13, v36, vcc_lo
	v_lshlrev_b64 v[42:43], 3, v[13:14]
	v_add_nc_u32_e32 v13, 4, v34
	global_load_dwordx2 v[44:45], v[35:36], off
	v_lshlrev_b64 v[34:35], 3, v[13:14]
	v_add_nc_u32_e32 v13, -1, v12
	v_add_co_u32 v36, vcc_lo, s12, v42
	v_add_co_ci_u32_e64 v37, null, s13, v43, vcc_lo
	v_lshlrev_b64 v[42:43], 3, v[13:14]
	v_add_co_u32 v34, vcc_lo, s14, v34
	v_add_co_ci_u32_e64 v35, null, s15, v35, vcc_lo
	v_mov_b32_e32 v13, v14
	v_add_co_u32 v42, vcc_lo, s12, v42
	v_add_co_ci_u32_e64 v43, null, s13, v43, vcc_lo
	global_load_dwordx2 v[46:47], v[36:37], off
	global_load_dwordx4 v[34:37], v[34:35], off
	global_load_dwordx2 v[42:43], v[42:43], off
	v_lshlrev_b64 v[48:49], 3, v[12:13]
	v_add_nc_u32_e32 v13, -6, v12
	v_add_nc_u32_e32 v12, 48, v12
	v_lshlrev_b64 v[50:51], 3, v[13:14]
	v_add_co_u32 v48, vcc_lo, s12, v48
	v_add_co_ci_u32_e64 v49, null, s13, v49, vcc_lo
	v_add_co_u32 v50, vcc_lo, s12, v50
	v_add_co_ci_u32_e64 v51, null, s13, v51, vcc_lo
	s_clause 0x1
	global_load_dwordx2 v[50:51], v[50:51], off
	global_load_dwordx2 v[48:49], v[48:49], off
	v_cmp_ge_i32_e32 vcc_lo, v6, v17
	s_or_b32 s0, vcc_lo, s0
	s_waitcnt vmcnt(9)
	v_fma_f64 v[7:8], v[22:23], v[26:27], v[8:9]
	v_fma_f64 v[9:10], v[15:16], v[26:27], v[10:11]
	;; [unrolled: 1-line block ×3, first 2 shown]
	s_waitcnt vmcnt(8)
	v_fma_f64 v[9:10], v[38:39], v[28:29], v[9:10]
	s_waitcnt vmcnt(7)
	v_fma_f64 v[7:8], v[18:19], v[30:31], v[7:8]
	;; [unrolled: 2-line block ×3, first 2 shown]
	v_fma_f64 v[7:8], v[20:21], v[32:33], v[7:8]
	s_waitcnt vmcnt(5)
	v_fma_f64 v[9:10], v[44:45], v[32:33], v[9:10]
	s_waitcnt vmcnt(3)
	;; [unrolled: 2-line block ×5, first 2 shown]
	v_fma_f64 v[10:11], v[48:49], v[36:37], v[10:11]
	s_andn2_b32 exec_lo, exec_lo, s0
	s_cbranch_execnz .LBB96_15
; %bb.16:
	s_or_b32 exec_lo, exec_lo, s0
.LBB96_17:
	s_or_b32 exec_lo, exec_lo, s1
.LBB96_18:
	v_mbcnt_lo_u32_b32 v14, -1, 0
	v_xor_b32_e32 v6, 2, v14
	v_cmp_gt_i32_e32 vcc_lo, 32, v6
	v_cndmask_b32_e32 v6, v14, v6, vcc_lo
	v_lshlrev_b32_e32 v13, 2, v6
	ds_bpermute_b32 v6, v13, v8
	ds_bpermute_b32 v7, v13, v9
	ds_bpermute_b32 v12, v13, v10
	ds_bpermute_b32 v13, v13, v11
	s_waitcnt lgkmcnt(2)
	v_add_f64 v[6:7], v[8:9], v[6:7]
	v_xor_b32_e32 v8, 1, v14
	s_waitcnt lgkmcnt(0)
	v_add_f64 v[10:11], v[10:11], v[12:13]
	v_cmp_gt_i32_e32 vcc_lo, 32, v8
	v_cndmask_b32_e32 v8, v14, v8, vcc_lo
	v_cmp_eq_u32_e32 vcc_lo, 3, v0
	v_lshlrev_b32_e32 v13, 2, v8
	ds_bpermute_b32 v8, v13, v6
	ds_bpermute_b32 v9, v13, v7
	;; [unrolled: 1-line block ×4, first 2 shown]
	s_and_b32 exec_lo, exec_lo, vcc_lo
	s_cbranch_execz .LBB96_23
; %bb.19:
	s_waitcnt lgkmcnt(2)
	v_add_f64 v[8:9], v[6:7], v[8:9]
	s_waitcnt lgkmcnt(0)
	v_add_f64 v[6:7], v[10:11], v[12:13]
	s_load_dwordx2 s[0:1], s[4:5], 0x38
	s_mov_b32 s2, exec_lo
	v_cmpx_eq_f64_e32 0, v[3:4]
	s_xor_b32 s2, exec_lo, s2
	s_cbranch_execz .LBB96_21
; %bb.20:
	v_lshlrev_b32_e32 v0, 1, v5
	v_mul_f64 v[3:4], v[1:2], v[8:9]
	v_mul_f64 v[5:6], v[1:2], v[6:7]
                                        ; implicit-def: $vgpr8_vgpr9
	v_ashrrev_i32_e32 v1, 31, v0
	v_lshlrev_b64 v[0:1], 3, v[0:1]
	s_waitcnt lgkmcnt(0)
	v_add_co_u32 v0, vcc_lo, s0, v0
	v_add_co_ci_u32_e64 v1, null, s1, v1, vcc_lo
	global_store_dwordx4 v[0:1], v[3:6], off
                                        ; implicit-def: $vgpr5
                                        ; implicit-def: $vgpr1_vgpr2
                                        ; implicit-def: $vgpr3_vgpr4
                                        ; implicit-def: $vgpr6_vgpr7
.LBB96_21:
	s_andn2_saveexec_b32 s2, s2
	s_cbranch_execz .LBB96_23
; %bb.22:
	v_lshlrev_b32_e32 v10, 1, v5
	v_mul_f64 v[8:9], v[1:2], v[8:9]
	v_mul_f64 v[5:6], v[1:2], v[6:7]
	v_ashrrev_i32_e32 v11, 31, v10
	v_lshlrev_b64 v[10:11], 3, v[10:11]
	s_waitcnt lgkmcnt(0)
	v_add_co_u32 v14, vcc_lo, s0, v10
	v_add_co_ci_u32_e64 v15, null, s1, v11, vcc_lo
	global_load_dwordx4 v[10:13], v[14:15], off
	s_waitcnt vmcnt(0)
	v_fma_f64 v[0:1], v[3:4], v[10:11], v[8:9]
	v_fma_f64 v[2:3], v[3:4], v[12:13], v[5:6]
	global_store_dwordx4 v[14:15], v[0:3], off
.LBB96_23:
	s_endpgm
	.section	.rodata,"a",@progbits
	.p2align	6, 0x0
	.amdhsa_kernel _ZN9rocsparseL19gebsrmvn_2xn_kernelILj128ELj6ELj4EdEEvi20rocsparse_direction_NS_24const_host_device_scalarIT2_EEPKiS6_PKS3_S8_S4_PS3_21rocsparse_index_base_b
		.amdhsa_group_segment_fixed_size 0
		.amdhsa_private_segment_fixed_size 0
		.amdhsa_kernarg_size 72
		.amdhsa_user_sgpr_count 6
		.amdhsa_user_sgpr_private_segment_buffer 1
		.amdhsa_user_sgpr_dispatch_ptr 0
		.amdhsa_user_sgpr_queue_ptr 0
		.amdhsa_user_sgpr_kernarg_segment_ptr 1
		.amdhsa_user_sgpr_dispatch_id 0
		.amdhsa_user_sgpr_flat_scratch_init 0
		.amdhsa_user_sgpr_private_segment_size 0
		.amdhsa_wavefront_size32 1
		.amdhsa_uses_dynamic_stack 0
		.amdhsa_system_sgpr_private_segment_wavefront_offset 0
		.amdhsa_system_sgpr_workgroup_id_x 1
		.amdhsa_system_sgpr_workgroup_id_y 0
		.amdhsa_system_sgpr_workgroup_id_z 0
		.amdhsa_system_sgpr_workgroup_info 0
		.amdhsa_system_vgpr_workitem_id 0
		.amdhsa_next_free_vgpr 54
		.amdhsa_next_free_sgpr 16
		.amdhsa_reserve_vcc 1
		.amdhsa_reserve_flat_scratch 0
		.amdhsa_float_round_mode_32 0
		.amdhsa_float_round_mode_16_64 0
		.amdhsa_float_denorm_mode_32 3
		.amdhsa_float_denorm_mode_16_64 3
		.amdhsa_dx10_clamp 1
		.amdhsa_ieee_mode 1
		.amdhsa_fp16_overflow 0
		.amdhsa_workgroup_processor_mode 1
		.amdhsa_memory_ordered 1
		.amdhsa_forward_progress 1
		.amdhsa_shared_vgpr_count 0
		.amdhsa_exception_fp_ieee_invalid_op 0
		.amdhsa_exception_fp_denorm_src 0
		.amdhsa_exception_fp_ieee_div_zero 0
		.amdhsa_exception_fp_ieee_overflow 0
		.amdhsa_exception_fp_ieee_underflow 0
		.amdhsa_exception_fp_ieee_inexact 0
		.amdhsa_exception_int_div_zero 0
	.end_amdhsa_kernel
	.section	.text._ZN9rocsparseL19gebsrmvn_2xn_kernelILj128ELj6ELj4EdEEvi20rocsparse_direction_NS_24const_host_device_scalarIT2_EEPKiS6_PKS3_S8_S4_PS3_21rocsparse_index_base_b,"axG",@progbits,_ZN9rocsparseL19gebsrmvn_2xn_kernelILj128ELj6ELj4EdEEvi20rocsparse_direction_NS_24const_host_device_scalarIT2_EEPKiS6_PKS3_S8_S4_PS3_21rocsparse_index_base_b,comdat
.Lfunc_end96:
	.size	_ZN9rocsparseL19gebsrmvn_2xn_kernelILj128ELj6ELj4EdEEvi20rocsparse_direction_NS_24const_host_device_scalarIT2_EEPKiS6_PKS3_S8_S4_PS3_21rocsparse_index_base_b, .Lfunc_end96-_ZN9rocsparseL19gebsrmvn_2xn_kernelILj128ELj6ELj4EdEEvi20rocsparse_direction_NS_24const_host_device_scalarIT2_EEPKiS6_PKS3_S8_S4_PS3_21rocsparse_index_base_b
                                        ; -- End function
	.set _ZN9rocsparseL19gebsrmvn_2xn_kernelILj128ELj6ELj4EdEEvi20rocsparse_direction_NS_24const_host_device_scalarIT2_EEPKiS6_PKS3_S8_S4_PS3_21rocsparse_index_base_b.num_vgpr, 54
	.set _ZN9rocsparseL19gebsrmvn_2xn_kernelILj128ELj6ELj4EdEEvi20rocsparse_direction_NS_24const_host_device_scalarIT2_EEPKiS6_PKS3_S8_S4_PS3_21rocsparse_index_base_b.num_agpr, 0
	.set _ZN9rocsparseL19gebsrmvn_2xn_kernelILj128ELj6ELj4EdEEvi20rocsparse_direction_NS_24const_host_device_scalarIT2_EEPKiS6_PKS3_S8_S4_PS3_21rocsparse_index_base_b.numbered_sgpr, 16
	.set _ZN9rocsparseL19gebsrmvn_2xn_kernelILj128ELj6ELj4EdEEvi20rocsparse_direction_NS_24const_host_device_scalarIT2_EEPKiS6_PKS3_S8_S4_PS3_21rocsparse_index_base_b.num_named_barrier, 0
	.set _ZN9rocsparseL19gebsrmvn_2xn_kernelILj128ELj6ELj4EdEEvi20rocsparse_direction_NS_24const_host_device_scalarIT2_EEPKiS6_PKS3_S8_S4_PS3_21rocsparse_index_base_b.private_seg_size, 0
	.set _ZN9rocsparseL19gebsrmvn_2xn_kernelILj128ELj6ELj4EdEEvi20rocsparse_direction_NS_24const_host_device_scalarIT2_EEPKiS6_PKS3_S8_S4_PS3_21rocsparse_index_base_b.uses_vcc, 1
	.set _ZN9rocsparseL19gebsrmvn_2xn_kernelILj128ELj6ELj4EdEEvi20rocsparse_direction_NS_24const_host_device_scalarIT2_EEPKiS6_PKS3_S8_S4_PS3_21rocsparse_index_base_b.uses_flat_scratch, 0
	.set _ZN9rocsparseL19gebsrmvn_2xn_kernelILj128ELj6ELj4EdEEvi20rocsparse_direction_NS_24const_host_device_scalarIT2_EEPKiS6_PKS3_S8_S4_PS3_21rocsparse_index_base_b.has_dyn_sized_stack, 0
	.set _ZN9rocsparseL19gebsrmvn_2xn_kernelILj128ELj6ELj4EdEEvi20rocsparse_direction_NS_24const_host_device_scalarIT2_EEPKiS6_PKS3_S8_S4_PS3_21rocsparse_index_base_b.has_recursion, 0
	.set _ZN9rocsparseL19gebsrmvn_2xn_kernelILj128ELj6ELj4EdEEvi20rocsparse_direction_NS_24const_host_device_scalarIT2_EEPKiS6_PKS3_S8_S4_PS3_21rocsparse_index_base_b.has_indirect_call, 0
	.section	.AMDGPU.csdata,"",@progbits
; Kernel info:
; codeLenInByte = 1896
; TotalNumSgprs: 18
; NumVgprs: 54
; ScratchSize: 0
; MemoryBound: 0
; FloatMode: 240
; IeeeMode: 1
; LDSByteSize: 0 bytes/workgroup (compile time only)
; SGPRBlocks: 0
; VGPRBlocks: 6
; NumSGPRsForWavesPerEU: 18
; NumVGPRsForWavesPerEU: 54
; Occupancy: 16
; WaveLimiterHint : 1
; COMPUTE_PGM_RSRC2:SCRATCH_EN: 0
; COMPUTE_PGM_RSRC2:USER_SGPR: 6
; COMPUTE_PGM_RSRC2:TRAP_HANDLER: 0
; COMPUTE_PGM_RSRC2:TGID_X_EN: 1
; COMPUTE_PGM_RSRC2:TGID_Y_EN: 0
; COMPUTE_PGM_RSRC2:TGID_Z_EN: 0
; COMPUTE_PGM_RSRC2:TIDIG_COMP_CNT: 0
	.section	.text._ZN9rocsparseL19gebsrmvn_2xn_kernelILj128ELj6ELj8EdEEvi20rocsparse_direction_NS_24const_host_device_scalarIT2_EEPKiS6_PKS3_S8_S4_PS3_21rocsparse_index_base_b,"axG",@progbits,_ZN9rocsparseL19gebsrmvn_2xn_kernelILj128ELj6ELj8EdEEvi20rocsparse_direction_NS_24const_host_device_scalarIT2_EEPKiS6_PKS3_S8_S4_PS3_21rocsparse_index_base_b,comdat
	.globl	_ZN9rocsparseL19gebsrmvn_2xn_kernelILj128ELj6ELj8EdEEvi20rocsparse_direction_NS_24const_host_device_scalarIT2_EEPKiS6_PKS3_S8_S4_PS3_21rocsparse_index_base_b ; -- Begin function _ZN9rocsparseL19gebsrmvn_2xn_kernelILj128ELj6ELj8EdEEvi20rocsparse_direction_NS_24const_host_device_scalarIT2_EEPKiS6_PKS3_S8_S4_PS3_21rocsparse_index_base_b
	.p2align	8
	.type	_ZN9rocsparseL19gebsrmvn_2xn_kernelILj128ELj6ELj8EdEEvi20rocsparse_direction_NS_24const_host_device_scalarIT2_EEPKiS6_PKS3_S8_S4_PS3_21rocsparse_index_base_b,@function
_ZN9rocsparseL19gebsrmvn_2xn_kernelILj128ELj6ELj8EdEEvi20rocsparse_direction_NS_24const_host_device_scalarIT2_EEPKiS6_PKS3_S8_S4_PS3_21rocsparse_index_base_b: ; @_ZN9rocsparseL19gebsrmvn_2xn_kernelILj128ELj6ELj8EdEEvi20rocsparse_direction_NS_24const_host_device_scalarIT2_EEPKiS6_PKS3_S8_S4_PS3_21rocsparse_index_base_b
; %bb.0:
	s_clause 0x2
	s_load_dwordx2 s[2:3], s[4:5], 0x40
	s_load_dwordx2 s[8:9], s[4:5], 0x8
	;; [unrolled: 1-line block ×3, first 2 shown]
	s_waitcnt lgkmcnt(0)
	s_bitcmp1_b32 s3, 0
	v_mov_b32_e32 v1, s8
	v_mov_b32_e32 v2, s9
	s_cselect_b32 s3, -1, 0
	s_and_b32 vcc_lo, exec_lo, s3
	s_xor_b32 s3, s3, -1
	s_cbranch_vccnz .LBB97_2
; %bb.1:
	v_mov_b32_e32 v1, s8
	v_mov_b32_e32 v2, s9
	flat_load_dwordx2 v[1:2], v[1:2]
.LBB97_2:
	v_mov_b32_e32 v4, s1
	v_mov_b32_e32 v3, s0
	s_andn2_b32 vcc_lo, exec_lo, s3
	s_cbranch_vccnz .LBB97_4
; %bb.3:
	v_mov_b32_e32 v4, s1
	v_mov_b32_e32 v3, s0
	flat_load_dwordx2 v[3:4], v[3:4]
.LBB97_4:
	s_waitcnt vmcnt(0) lgkmcnt(0)
	v_cmp_neq_f64_e32 vcc_lo, 0, v[1:2]
	v_cmp_neq_f64_e64 s0, 1.0, v[3:4]
	s_or_b32 s0, vcc_lo, s0
	s_and_saveexec_b32 s1, s0
	s_cbranch_execz .LBB97_23
; %bb.5:
	s_load_dwordx2 s[0:1], s[4:5], 0x0
	v_lshrrev_b32_e32 v5, 3, v0
	v_lshl_or_b32 v5, s6, 4, v5
	s_waitcnt lgkmcnt(0)
	v_cmp_gt_i32_e32 vcc_lo, s0, v5
	s_and_b32 exec_lo, exec_lo, vcc_lo
	s_cbranch_execz .LBB97_23
; %bb.6:
	s_load_dwordx8 s[8:15], s[4:5], 0x10
	v_ashrrev_i32_e32 v6, 31, v5
	v_and_b32_e32 v0, 7, v0
	s_cmp_lg_u32 s1, 0
	v_lshlrev_b64 v[6:7], 2, v[5:6]
	s_waitcnt lgkmcnt(0)
	v_add_co_u32 v6, vcc_lo, s8, v6
	v_add_co_ci_u32_e64 v7, null, s9, v7, vcc_lo
	global_load_dwordx2 v[6:7], v[6:7], off
	s_waitcnt vmcnt(0)
	v_subrev_nc_u32_e32 v6, s2, v6
	v_subrev_nc_u32_e32 v17, s2, v7
	v_add_nc_u32_e32 v8, v6, v0
	v_cmp_lt_i32_e64 s0, v8, v17
	s_cbranch_scc0 .LBB97_12
; %bb.7:
	v_mov_b32_e32 v6, 0
	v_mov_b32_e32 v10, 0
	;; [unrolled: 1-line block ×4, first 2 shown]
	s_and_saveexec_b32 s1, s0
	s_cbranch_execz .LBB97_11
; %bb.8:
	v_mad_u64_u32 v[12:13], null, v8, 12, 10
	v_mov_b32_e32 v6, 0
	v_mov_b32_e32 v10, 0
	;; [unrolled: 1-line block ×6, first 2 shown]
	s_mov_b32 s3, 0
.LBB97_9:                               ; =>This Inner Loop Header: Depth=1
	v_ashrrev_i32_e32 v16, 31, v15
	v_add_nc_u32_e32 v13, -10, v12
	v_mov_b32_e32 v43, v14
	v_lshlrev_b64 v[18:19], 2, v[15:16]
	v_add_nc_u32_e32 v15, 8, v15
	v_add_co_u32 v18, vcc_lo, s10, v18
	v_add_co_ci_u32_e64 v19, null, s11, v19, vcc_lo
	global_load_dword v9, v[18:19], off
	v_lshlrev_b64 v[18:19], 3, v[13:14]
	v_add_nc_u32_e32 v13, -6, v12
	v_lshlrev_b64 v[30:31], 3, v[13:14]
	v_add_co_u32 v22, vcc_lo, s12, v18
	v_add_co_ci_u32_e64 v23, null, s13, v19, vcc_lo
	s_waitcnt vmcnt(0)
	v_subrev_nc_u32_e32 v9, s2, v9
	v_mul_lo_u32 v42, v9, 6
	v_lshlrev_b64 v[20:21], 3, v[42:43]
	v_add_nc_u32_e32 v13, 2, v42
	v_lshlrev_b64 v[32:33], 3, v[13:14]
	v_add_co_u32 v26, vcc_lo, s14, v20
	v_add_co_ci_u32_e64 v27, null, s15, v21, vcc_lo
	s_clause 0x1
	global_load_dwordx4 v[18:21], v[22:23], off offset:16
	global_load_dwordx4 v[22:25], v[22:23], off
	global_load_dwordx4 v[26:29], v[26:27], off
	v_add_co_u32 v30, vcc_lo, s12, v30
	v_add_co_ci_u32_e64 v31, null, s13, v31, vcc_lo
	v_add_co_u32 v34, vcc_lo, s14, v32
	v_add_co_ci_u32_e64 v35, null, s15, v33, vcc_lo
	global_load_dwordx4 v[30:33], v[30:31], off
	global_load_dwordx4 v[34:37], v[34:35], off
	v_add_nc_u32_e32 v13, -4, v12
	v_lshlrev_b64 v[38:39], 3, v[13:14]
	v_add_nc_u32_e32 v13, -2, v12
	v_add_co_u32 v38, vcc_lo, s12, v38
	v_add_co_ci_u32_e64 v39, null, s13, v39, vcc_lo
	v_lshlrev_b64 v[43:44], 3, v[13:14]
	v_add_nc_u32_e32 v13, 4, v42
	global_load_dwordx4 v[38:41], v[38:39], off
	v_lshlrev_b64 v[45:46], 3, v[13:14]
	v_add_co_u32 v42, vcc_lo, s12, v43
	v_add_co_ci_u32_e64 v43, null, s13, v44, vcc_lo
	v_mov_b32_e32 v13, v14
	v_add_co_u32 v47, vcc_lo, s14, v45
	v_add_co_ci_u32_e64 v48, null, s15, v46, vcc_lo
	global_load_dwordx4 v[42:45], v[42:43], off
	global_load_dwordx4 v[46:49], v[47:48], off
	v_lshlrev_b64 v[50:51], 3, v[12:13]
	v_add_nc_u32_e32 v12, 0x60, v12
	v_add_co_u32 v50, vcc_lo, s12, v50
	v_add_co_ci_u32_e64 v51, null, s13, v51, vcc_lo
	v_cmp_ge_i32_e32 vcc_lo, v15, v17
	global_load_dwordx4 v[50:53], v[50:51], off
	s_or_b32 s3, vcc_lo, s3
	s_waitcnt vmcnt(6)
	v_fma_f64 v[6:7], v[22:23], v[26:27], v[6:7]
	v_fma_f64 v[9:10], v[24:25], v[26:27], v[10:11]
	;; [unrolled: 1-line block ×4, first 2 shown]
	s_waitcnt vmcnt(4)
	v_fma_f64 v[6:7], v[30:31], v[34:35], v[6:7]
	v_fma_f64 v[9:10], v[32:33], v[34:35], v[9:10]
	s_waitcnt vmcnt(3)
	v_fma_f64 v[6:7], v[38:39], v[36:37], v[6:7]
	v_fma_f64 v[9:10], v[40:41], v[36:37], v[9:10]
	;; [unrolled: 3-line block ×4, first 2 shown]
	s_andn2_b32 exec_lo, exec_lo, s3
	s_cbranch_execnz .LBB97_9
; %bb.10:
	s_or_b32 exec_lo, exec_lo, s3
.LBB97_11:
	s_or_b32 exec_lo, exec_lo, s1
	s_cbranch_execz .LBB97_13
	s_branch .LBB97_18
.LBB97_12:
                                        ; implicit-def: $vgpr6_vgpr7
                                        ; implicit-def: $vgpr10_vgpr11
.LBB97_13:
	v_mov_b32_e32 v6, 0
	v_mov_b32_e32 v10, 0
	;; [unrolled: 1-line block ×4, first 2 shown]
	s_and_saveexec_b32 s1, s0
	s_cbranch_execz .LBB97_17
; %bb.14:
	v_mad_u64_u32 v[12:13], null, v8, 12, 11
	v_mov_b32_e32 v6, 0
	v_mov_b32_e32 v10, 0
	;; [unrolled: 1-line block ×5, first 2 shown]
	s_mov_b32 s0, 0
.LBB97_15:                              ; =>This Inner Loop Header: Depth=1
	v_ashrrev_i32_e32 v9, 31, v8
	v_add_nc_u32_e32 v13, -11, v12
	v_mov_b32_e32 v35, v14
	v_lshlrev_b64 v[15:16], 2, v[8:9]
	v_lshlrev_b64 v[18:19], 3, v[13:14]
	v_add_nc_u32_e32 v13, -4, v12
	v_add_nc_u32_e32 v8, 8, v8
	v_add_co_u32 v15, vcc_lo, s10, v15
	v_add_co_ci_u32_e64 v16, null, s11, v16, vcc_lo
	v_add_co_u32 v22, vcc_lo, s12, v18
	v_add_co_ci_u32_e64 v23, null, s13, v19, vcc_lo
	global_load_dword v9, v[15:16], off
	v_add_nc_u32_e32 v15, -5, v12
	v_mov_b32_e32 v16, v14
	v_lshlrev_b64 v[30:31], 3, v[13:14]
	v_lshlrev_b64 v[15:16], 3, v[15:16]
	v_add_co_u32 v15, vcc_lo, s12, v15
	v_add_co_ci_u32_e64 v16, null, s13, v16, vcc_lo
	s_waitcnt vmcnt(0)
	v_subrev_nc_u32_e32 v9, s2, v9
	v_mul_lo_u32 v34, v9, 6
	v_lshlrev_b64 v[18:19], 3, v[34:35]
	v_add_nc_u32_e32 v13, 2, v34
	v_add_co_u32 v26, vcc_lo, s14, v18
	v_add_co_ci_u32_e64 v27, null, s15, v19, vcc_lo
	s_clause 0x2
	global_load_dwordx4 v[18:21], v[22:23], off offset:16
	global_load_dwordx4 v[22:25], v[22:23], off
	global_load_dwordx2 v[15:16], v[15:16], off
	global_load_dwordx4 v[26:29], v[26:27], off
	v_add_co_u32 v30, vcc_lo, s12, v30
	v_add_co_ci_u32_e64 v31, null, s13, v31, vcc_lo
	global_load_dwordx2 v[38:39], v[30:31], off
	v_lshlrev_b64 v[30:31], 3, v[13:14]
	v_add_nc_u32_e32 v13, -3, v12
	v_lshlrev_b64 v[32:33], 3, v[13:14]
	v_add_co_u32 v30, vcc_lo, s14, v30
	v_add_co_ci_u32_e64 v31, null, s15, v31, vcc_lo
	v_add_nc_u32_e32 v13, -2, v12
	v_add_co_u32 v35, vcc_lo, s12, v32
	v_add_co_ci_u32_e64 v36, null, s13, v33, vcc_lo
	global_load_dwordx4 v[30:33], v[30:31], off
	global_load_dwordx2 v[40:41], v[35:36], off
	v_lshlrev_b64 v[35:36], 3, v[13:14]
	v_add_nc_u32_e32 v13, -7, v12
	v_add_co_u32 v35, vcc_lo, s12, v35
	v_add_co_ci_u32_e64 v36, null, s13, v36, vcc_lo
	v_lshlrev_b64 v[42:43], 3, v[13:14]
	v_add_nc_u32_e32 v13, 4, v34
	global_load_dwordx2 v[44:45], v[35:36], off
	v_lshlrev_b64 v[34:35], 3, v[13:14]
	v_add_nc_u32_e32 v13, -1, v12
	v_add_co_u32 v36, vcc_lo, s12, v42
	v_add_co_ci_u32_e64 v37, null, s13, v43, vcc_lo
	v_lshlrev_b64 v[42:43], 3, v[13:14]
	v_add_co_u32 v34, vcc_lo, s14, v34
	v_add_co_ci_u32_e64 v35, null, s15, v35, vcc_lo
	v_mov_b32_e32 v13, v14
	v_add_co_u32 v42, vcc_lo, s12, v42
	v_add_co_ci_u32_e64 v43, null, s13, v43, vcc_lo
	global_load_dwordx2 v[46:47], v[36:37], off
	global_load_dwordx4 v[34:37], v[34:35], off
	global_load_dwordx2 v[42:43], v[42:43], off
	v_lshlrev_b64 v[48:49], 3, v[12:13]
	v_add_nc_u32_e32 v13, -6, v12
	v_add_nc_u32_e32 v12, 0x60, v12
	v_lshlrev_b64 v[50:51], 3, v[13:14]
	v_add_co_u32 v48, vcc_lo, s12, v48
	v_add_co_ci_u32_e64 v49, null, s13, v49, vcc_lo
	v_add_co_u32 v50, vcc_lo, s12, v50
	v_add_co_ci_u32_e64 v51, null, s13, v51, vcc_lo
	s_clause 0x1
	global_load_dwordx2 v[50:51], v[50:51], off
	global_load_dwordx2 v[48:49], v[48:49], off
	v_cmp_ge_i32_e32 vcc_lo, v8, v17
	s_or_b32 s0, vcc_lo, s0
	s_waitcnt vmcnt(9)
	v_fma_f64 v[6:7], v[22:23], v[26:27], v[6:7]
	v_fma_f64 v[9:10], v[15:16], v[26:27], v[10:11]
	;; [unrolled: 1-line block ×3, first 2 shown]
	s_waitcnt vmcnt(8)
	v_fma_f64 v[9:10], v[38:39], v[28:29], v[9:10]
	s_waitcnt vmcnt(7)
	v_fma_f64 v[6:7], v[18:19], v[30:31], v[6:7]
	;; [unrolled: 2-line block ×3, first 2 shown]
	v_fma_f64 v[6:7], v[20:21], v[32:33], v[6:7]
	s_waitcnt vmcnt(5)
	v_fma_f64 v[9:10], v[44:45], v[32:33], v[9:10]
	s_waitcnt vmcnt(3)
	;; [unrolled: 2-line block ×5, first 2 shown]
	v_fma_f64 v[10:11], v[48:49], v[36:37], v[9:10]
	s_andn2_b32 exec_lo, exec_lo, s0
	s_cbranch_execnz .LBB97_15
; %bb.16:
	s_or_b32 exec_lo, exec_lo, s0
.LBB97_17:
	s_or_b32 exec_lo, exec_lo, s1
.LBB97_18:
	v_mbcnt_lo_u32_b32 v14, -1, 0
	v_xor_b32_e32 v8, 4, v14
	v_cmp_gt_i32_e32 vcc_lo, 32, v8
	v_cndmask_b32_e32 v8, v14, v8, vcc_lo
	v_lshlrev_b32_e32 v13, 2, v8
	ds_bpermute_b32 v8, v13, v6
	ds_bpermute_b32 v9, v13, v7
	;; [unrolled: 1-line block ×4, first 2 shown]
	s_waitcnt lgkmcnt(2)
	v_add_f64 v[6:7], v[6:7], v[8:9]
	s_waitcnt lgkmcnt(0)
	v_add_f64 v[8:9], v[10:11], v[12:13]
	v_xor_b32_e32 v10, 2, v14
	v_cmp_gt_i32_e32 vcc_lo, 32, v10
	v_cndmask_b32_e32 v10, v14, v10, vcc_lo
	v_lshlrev_b32_e32 v13, 2, v10
	ds_bpermute_b32 v10, v13, v6
	ds_bpermute_b32 v11, v13, v7
	;; [unrolled: 1-line block ×4, first 2 shown]
	s_waitcnt lgkmcnt(2)
	v_add_f64 v[6:7], v[6:7], v[10:11]
	s_waitcnt lgkmcnt(0)
	v_add_f64 v[10:11], v[8:9], v[12:13]
	v_xor_b32_e32 v8, 1, v14
	v_cmp_gt_i32_e32 vcc_lo, 32, v8
	v_cndmask_b32_e32 v8, v14, v8, vcc_lo
	v_cmp_eq_u32_e32 vcc_lo, 7, v0
	v_lshlrev_b32_e32 v13, 2, v8
	ds_bpermute_b32 v8, v13, v6
	ds_bpermute_b32 v9, v13, v7
	;; [unrolled: 1-line block ×4, first 2 shown]
	s_and_b32 exec_lo, exec_lo, vcc_lo
	s_cbranch_execz .LBB97_23
; %bb.19:
	s_waitcnt lgkmcnt(2)
	v_add_f64 v[8:9], v[6:7], v[8:9]
	s_waitcnt lgkmcnt(0)
	v_add_f64 v[6:7], v[10:11], v[12:13]
	s_load_dwordx2 s[0:1], s[4:5], 0x38
	s_mov_b32 s2, exec_lo
	v_cmpx_eq_f64_e32 0, v[3:4]
	s_xor_b32 s2, exec_lo, s2
	s_cbranch_execz .LBB97_21
; %bb.20:
	v_lshlrev_b32_e32 v0, 1, v5
	v_mul_f64 v[3:4], v[1:2], v[8:9]
	v_mul_f64 v[5:6], v[1:2], v[6:7]
                                        ; implicit-def: $vgpr8_vgpr9
	v_ashrrev_i32_e32 v1, 31, v0
	v_lshlrev_b64 v[0:1], 3, v[0:1]
	s_waitcnt lgkmcnt(0)
	v_add_co_u32 v0, vcc_lo, s0, v0
	v_add_co_ci_u32_e64 v1, null, s1, v1, vcc_lo
	global_store_dwordx4 v[0:1], v[3:6], off
                                        ; implicit-def: $vgpr5
                                        ; implicit-def: $vgpr1_vgpr2
                                        ; implicit-def: $vgpr3_vgpr4
                                        ; implicit-def: $vgpr6_vgpr7
.LBB97_21:
	s_andn2_saveexec_b32 s2, s2
	s_cbranch_execz .LBB97_23
; %bb.22:
	v_lshlrev_b32_e32 v10, 1, v5
	v_mul_f64 v[8:9], v[1:2], v[8:9]
	v_mul_f64 v[5:6], v[1:2], v[6:7]
	v_ashrrev_i32_e32 v11, 31, v10
	v_lshlrev_b64 v[10:11], 3, v[10:11]
	s_waitcnt lgkmcnt(0)
	v_add_co_u32 v14, vcc_lo, s0, v10
	v_add_co_ci_u32_e64 v15, null, s1, v11, vcc_lo
	global_load_dwordx4 v[10:13], v[14:15], off
	s_waitcnt vmcnt(0)
	v_fma_f64 v[0:1], v[3:4], v[10:11], v[8:9]
	v_fma_f64 v[2:3], v[3:4], v[12:13], v[5:6]
	global_store_dwordx4 v[14:15], v[0:3], off
.LBB97_23:
	s_endpgm
	.section	.rodata,"a",@progbits
	.p2align	6, 0x0
	.amdhsa_kernel _ZN9rocsparseL19gebsrmvn_2xn_kernelILj128ELj6ELj8EdEEvi20rocsparse_direction_NS_24const_host_device_scalarIT2_EEPKiS6_PKS3_S8_S4_PS3_21rocsparse_index_base_b
		.amdhsa_group_segment_fixed_size 0
		.amdhsa_private_segment_fixed_size 0
		.amdhsa_kernarg_size 72
		.amdhsa_user_sgpr_count 6
		.amdhsa_user_sgpr_private_segment_buffer 1
		.amdhsa_user_sgpr_dispatch_ptr 0
		.amdhsa_user_sgpr_queue_ptr 0
		.amdhsa_user_sgpr_kernarg_segment_ptr 1
		.amdhsa_user_sgpr_dispatch_id 0
		.amdhsa_user_sgpr_flat_scratch_init 0
		.amdhsa_user_sgpr_private_segment_size 0
		.amdhsa_wavefront_size32 1
		.amdhsa_uses_dynamic_stack 0
		.amdhsa_system_sgpr_private_segment_wavefront_offset 0
		.amdhsa_system_sgpr_workgroup_id_x 1
		.amdhsa_system_sgpr_workgroup_id_y 0
		.amdhsa_system_sgpr_workgroup_id_z 0
		.amdhsa_system_sgpr_workgroup_info 0
		.amdhsa_system_vgpr_workitem_id 0
		.amdhsa_next_free_vgpr 54
		.amdhsa_next_free_sgpr 16
		.amdhsa_reserve_vcc 1
		.amdhsa_reserve_flat_scratch 0
		.amdhsa_float_round_mode_32 0
		.amdhsa_float_round_mode_16_64 0
		.amdhsa_float_denorm_mode_32 3
		.amdhsa_float_denorm_mode_16_64 3
		.amdhsa_dx10_clamp 1
		.amdhsa_ieee_mode 1
		.amdhsa_fp16_overflow 0
		.amdhsa_workgroup_processor_mode 1
		.amdhsa_memory_ordered 1
		.amdhsa_forward_progress 1
		.amdhsa_shared_vgpr_count 0
		.amdhsa_exception_fp_ieee_invalid_op 0
		.amdhsa_exception_fp_denorm_src 0
		.amdhsa_exception_fp_ieee_div_zero 0
		.amdhsa_exception_fp_ieee_overflow 0
		.amdhsa_exception_fp_ieee_underflow 0
		.amdhsa_exception_fp_ieee_inexact 0
		.amdhsa_exception_int_div_zero 0
	.end_amdhsa_kernel
	.section	.text._ZN9rocsparseL19gebsrmvn_2xn_kernelILj128ELj6ELj8EdEEvi20rocsparse_direction_NS_24const_host_device_scalarIT2_EEPKiS6_PKS3_S8_S4_PS3_21rocsparse_index_base_b,"axG",@progbits,_ZN9rocsparseL19gebsrmvn_2xn_kernelILj128ELj6ELj8EdEEvi20rocsparse_direction_NS_24const_host_device_scalarIT2_EEPKiS6_PKS3_S8_S4_PS3_21rocsparse_index_base_b,comdat
.Lfunc_end97:
	.size	_ZN9rocsparseL19gebsrmvn_2xn_kernelILj128ELj6ELj8EdEEvi20rocsparse_direction_NS_24const_host_device_scalarIT2_EEPKiS6_PKS3_S8_S4_PS3_21rocsparse_index_base_b, .Lfunc_end97-_ZN9rocsparseL19gebsrmvn_2xn_kernelILj128ELj6ELj8EdEEvi20rocsparse_direction_NS_24const_host_device_scalarIT2_EEPKiS6_PKS3_S8_S4_PS3_21rocsparse_index_base_b
                                        ; -- End function
	.set _ZN9rocsparseL19gebsrmvn_2xn_kernelILj128ELj6ELj8EdEEvi20rocsparse_direction_NS_24const_host_device_scalarIT2_EEPKiS6_PKS3_S8_S4_PS3_21rocsparse_index_base_b.num_vgpr, 54
	.set _ZN9rocsparseL19gebsrmvn_2xn_kernelILj128ELj6ELj8EdEEvi20rocsparse_direction_NS_24const_host_device_scalarIT2_EEPKiS6_PKS3_S8_S4_PS3_21rocsparse_index_base_b.num_agpr, 0
	.set _ZN9rocsparseL19gebsrmvn_2xn_kernelILj128ELj6ELj8EdEEvi20rocsparse_direction_NS_24const_host_device_scalarIT2_EEPKiS6_PKS3_S8_S4_PS3_21rocsparse_index_base_b.numbered_sgpr, 16
	.set _ZN9rocsparseL19gebsrmvn_2xn_kernelILj128ELj6ELj8EdEEvi20rocsparse_direction_NS_24const_host_device_scalarIT2_EEPKiS6_PKS3_S8_S4_PS3_21rocsparse_index_base_b.num_named_barrier, 0
	.set _ZN9rocsparseL19gebsrmvn_2xn_kernelILj128ELj6ELj8EdEEvi20rocsparse_direction_NS_24const_host_device_scalarIT2_EEPKiS6_PKS3_S8_S4_PS3_21rocsparse_index_base_b.private_seg_size, 0
	.set _ZN9rocsparseL19gebsrmvn_2xn_kernelILj128ELj6ELj8EdEEvi20rocsparse_direction_NS_24const_host_device_scalarIT2_EEPKiS6_PKS3_S8_S4_PS3_21rocsparse_index_base_b.uses_vcc, 1
	.set _ZN9rocsparseL19gebsrmvn_2xn_kernelILj128ELj6ELj8EdEEvi20rocsparse_direction_NS_24const_host_device_scalarIT2_EEPKiS6_PKS3_S8_S4_PS3_21rocsparse_index_base_b.uses_flat_scratch, 0
	.set _ZN9rocsparseL19gebsrmvn_2xn_kernelILj128ELj6ELj8EdEEvi20rocsparse_direction_NS_24const_host_device_scalarIT2_EEPKiS6_PKS3_S8_S4_PS3_21rocsparse_index_base_b.has_dyn_sized_stack, 0
	.set _ZN9rocsparseL19gebsrmvn_2xn_kernelILj128ELj6ELj8EdEEvi20rocsparse_direction_NS_24const_host_device_scalarIT2_EEPKiS6_PKS3_S8_S4_PS3_21rocsparse_index_base_b.has_recursion, 0
	.set _ZN9rocsparseL19gebsrmvn_2xn_kernelILj128ELj6ELj8EdEEvi20rocsparse_direction_NS_24const_host_device_scalarIT2_EEPKiS6_PKS3_S8_S4_PS3_21rocsparse_index_base_b.has_indirect_call, 0
	.section	.AMDGPU.csdata,"",@progbits
; Kernel info:
; codeLenInByte = 1976
; TotalNumSgprs: 18
; NumVgprs: 54
; ScratchSize: 0
; MemoryBound: 0
; FloatMode: 240
; IeeeMode: 1
; LDSByteSize: 0 bytes/workgroup (compile time only)
; SGPRBlocks: 0
; VGPRBlocks: 6
; NumSGPRsForWavesPerEU: 18
; NumVGPRsForWavesPerEU: 54
; Occupancy: 16
; WaveLimiterHint : 1
; COMPUTE_PGM_RSRC2:SCRATCH_EN: 0
; COMPUTE_PGM_RSRC2:USER_SGPR: 6
; COMPUTE_PGM_RSRC2:TRAP_HANDLER: 0
; COMPUTE_PGM_RSRC2:TGID_X_EN: 1
; COMPUTE_PGM_RSRC2:TGID_Y_EN: 0
; COMPUTE_PGM_RSRC2:TGID_Z_EN: 0
; COMPUTE_PGM_RSRC2:TIDIG_COMP_CNT: 0
	.section	.text._ZN9rocsparseL19gebsrmvn_2xn_kernelILj128ELj6ELj16EdEEvi20rocsparse_direction_NS_24const_host_device_scalarIT2_EEPKiS6_PKS3_S8_S4_PS3_21rocsparse_index_base_b,"axG",@progbits,_ZN9rocsparseL19gebsrmvn_2xn_kernelILj128ELj6ELj16EdEEvi20rocsparse_direction_NS_24const_host_device_scalarIT2_EEPKiS6_PKS3_S8_S4_PS3_21rocsparse_index_base_b,comdat
	.globl	_ZN9rocsparseL19gebsrmvn_2xn_kernelILj128ELj6ELj16EdEEvi20rocsparse_direction_NS_24const_host_device_scalarIT2_EEPKiS6_PKS3_S8_S4_PS3_21rocsparse_index_base_b ; -- Begin function _ZN9rocsparseL19gebsrmvn_2xn_kernelILj128ELj6ELj16EdEEvi20rocsparse_direction_NS_24const_host_device_scalarIT2_EEPKiS6_PKS3_S8_S4_PS3_21rocsparse_index_base_b
	.p2align	8
	.type	_ZN9rocsparseL19gebsrmvn_2xn_kernelILj128ELj6ELj16EdEEvi20rocsparse_direction_NS_24const_host_device_scalarIT2_EEPKiS6_PKS3_S8_S4_PS3_21rocsparse_index_base_b,@function
_ZN9rocsparseL19gebsrmvn_2xn_kernelILj128ELj6ELj16EdEEvi20rocsparse_direction_NS_24const_host_device_scalarIT2_EEPKiS6_PKS3_S8_S4_PS3_21rocsparse_index_base_b: ; @_ZN9rocsparseL19gebsrmvn_2xn_kernelILj128ELj6ELj16EdEEvi20rocsparse_direction_NS_24const_host_device_scalarIT2_EEPKiS6_PKS3_S8_S4_PS3_21rocsparse_index_base_b
; %bb.0:
	s_clause 0x2
	s_load_dwordx2 s[2:3], s[4:5], 0x40
	s_load_dwordx2 s[8:9], s[4:5], 0x8
	;; [unrolled: 1-line block ×3, first 2 shown]
	s_waitcnt lgkmcnt(0)
	s_bitcmp1_b32 s3, 0
	v_mov_b32_e32 v1, s8
	v_mov_b32_e32 v2, s9
	s_cselect_b32 s3, -1, 0
	s_and_b32 vcc_lo, exec_lo, s3
	s_xor_b32 s3, s3, -1
	s_cbranch_vccnz .LBB98_2
; %bb.1:
	v_mov_b32_e32 v1, s8
	v_mov_b32_e32 v2, s9
	flat_load_dwordx2 v[1:2], v[1:2]
.LBB98_2:
	v_mov_b32_e32 v4, s1
	v_mov_b32_e32 v3, s0
	s_andn2_b32 vcc_lo, exec_lo, s3
	s_cbranch_vccnz .LBB98_4
; %bb.3:
	v_mov_b32_e32 v4, s1
	v_mov_b32_e32 v3, s0
	flat_load_dwordx2 v[3:4], v[3:4]
.LBB98_4:
	s_waitcnt vmcnt(0) lgkmcnt(0)
	v_cmp_neq_f64_e32 vcc_lo, 0, v[1:2]
	v_cmp_neq_f64_e64 s0, 1.0, v[3:4]
	s_or_b32 s0, vcc_lo, s0
	s_and_saveexec_b32 s1, s0
	s_cbranch_execz .LBB98_23
; %bb.5:
	s_load_dwordx2 s[0:1], s[4:5], 0x0
	v_lshrrev_b32_e32 v5, 4, v0
	v_lshl_or_b32 v5, s6, 3, v5
	s_waitcnt lgkmcnt(0)
	v_cmp_gt_i32_e32 vcc_lo, s0, v5
	s_and_b32 exec_lo, exec_lo, vcc_lo
	s_cbranch_execz .LBB98_23
; %bb.6:
	s_load_dwordx8 s[8:15], s[4:5], 0x10
	v_ashrrev_i32_e32 v6, 31, v5
	v_and_b32_e32 v0, 15, v0
	s_cmp_lg_u32 s1, 0
	v_lshlrev_b64 v[6:7], 2, v[5:6]
	s_waitcnt lgkmcnt(0)
	v_add_co_u32 v6, vcc_lo, s8, v6
	v_add_co_ci_u32_e64 v7, null, s9, v7, vcc_lo
	global_load_dwordx2 v[6:7], v[6:7], off
	s_waitcnt vmcnt(0)
	v_subrev_nc_u32_e32 v6, s2, v6
	v_subrev_nc_u32_e32 v17, s2, v7
	v_add_nc_u32_e32 v8, v6, v0
	v_cmp_lt_i32_e64 s0, v8, v17
	s_cbranch_scc0 .LBB98_12
; %bb.7:
	v_mov_b32_e32 v6, 0
	v_mov_b32_e32 v10, 0
	;; [unrolled: 1-line block ×4, first 2 shown]
	s_and_saveexec_b32 s1, s0
	s_cbranch_execz .LBB98_11
; %bb.8:
	v_mad_u64_u32 v[12:13], null, v8, 12, 10
	v_mov_b32_e32 v6, 0
	v_mov_b32_e32 v10, 0
	;; [unrolled: 1-line block ×6, first 2 shown]
	s_mov_b32 s3, 0
.LBB98_9:                               ; =>This Inner Loop Header: Depth=1
	v_ashrrev_i32_e32 v16, 31, v15
	v_add_nc_u32_e32 v13, -10, v12
	v_mov_b32_e32 v43, v14
	v_lshlrev_b64 v[18:19], 2, v[15:16]
	v_add_nc_u32_e32 v15, 16, v15
	v_add_co_u32 v18, vcc_lo, s10, v18
	v_add_co_ci_u32_e64 v19, null, s11, v19, vcc_lo
	global_load_dword v9, v[18:19], off
	v_lshlrev_b64 v[18:19], 3, v[13:14]
	v_add_nc_u32_e32 v13, -6, v12
	v_lshlrev_b64 v[30:31], 3, v[13:14]
	v_add_co_u32 v22, vcc_lo, s12, v18
	v_add_co_ci_u32_e64 v23, null, s13, v19, vcc_lo
	s_waitcnt vmcnt(0)
	v_subrev_nc_u32_e32 v9, s2, v9
	v_mul_lo_u32 v42, v9, 6
	v_lshlrev_b64 v[20:21], 3, v[42:43]
	v_add_nc_u32_e32 v13, 2, v42
	v_lshlrev_b64 v[32:33], 3, v[13:14]
	v_add_co_u32 v26, vcc_lo, s14, v20
	v_add_co_ci_u32_e64 v27, null, s15, v21, vcc_lo
	s_clause 0x1
	global_load_dwordx4 v[18:21], v[22:23], off offset:16
	global_load_dwordx4 v[22:25], v[22:23], off
	global_load_dwordx4 v[26:29], v[26:27], off
	v_add_co_u32 v30, vcc_lo, s12, v30
	v_add_co_ci_u32_e64 v31, null, s13, v31, vcc_lo
	v_add_co_u32 v34, vcc_lo, s14, v32
	v_add_co_ci_u32_e64 v35, null, s15, v33, vcc_lo
	global_load_dwordx4 v[30:33], v[30:31], off
	global_load_dwordx4 v[34:37], v[34:35], off
	v_add_nc_u32_e32 v13, -4, v12
	v_lshlrev_b64 v[38:39], 3, v[13:14]
	v_add_nc_u32_e32 v13, -2, v12
	v_add_co_u32 v38, vcc_lo, s12, v38
	v_add_co_ci_u32_e64 v39, null, s13, v39, vcc_lo
	v_lshlrev_b64 v[43:44], 3, v[13:14]
	v_add_nc_u32_e32 v13, 4, v42
	global_load_dwordx4 v[38:41], v[38:39], off
	v_lshlrev_b64 v[45:46], 3, v[13:14]
	v_add_co_u32 v42, vcc_lo, s12, v43
	v_add_co_ci_u32_e64 v43, null, s13, v44, vcc_lo
	v_mov_b32_e32 v13, v14
	v_add_co_u32 v47, vcc_lo, s14, v45
	v_add_co_ci_u32_e64 v48, null, s15, v46, vcc_lo
	global_load_dwordx4 v[42:45], v[42:43], off
	global_load_dwordx4 v[46:49], v[47:48], off
	v_lshlrev_b64 v[50:51], 3, v[12:13]
	v_add_nc_u32_e32 v12, 0xc0, v12
	v_add_co_u32 v50, vcc_lo, s12, v50
	v_add_co_ci_u32_e64 v51, null, s13, v51, vcc_lo
	v_cmp_ge_i32_e32 vcc_lo, v15, v17
	global_load_dwordx4 v[50:53], v[50:51], off
	s_or_b32 s3, vcc_lo, s3
	s_waitcnt vmcnt(6)
	v_fma_f64 v[6:7], v[22:23], v[26:27], v[6:7]
	v_fma_f64 v[9:10], v[24:25], v[26:27], v[10:11]
	;; [unrolled: 1-line block ×4, first 2 shown]
	s_waitcnt vmcnt(4)
	v_fma_f64 v[6:7], v[30:31], v[34:35], v[6:7]
	v_fma_f64 v[9:10], v[32:33], v[34:35], v[9:10]
	s_waitcnt vmcnt(3)
	v_fma_f64 v[6:7], v[38:39], v[36:37], v[6:7]
	v_fma_f64 v[9:10], v[40:41], v[36:37], v[9:10]
	;; [unrolled: 3-line block ×4, first 2 shown]
	s_andn2_b32 exec_lo, exec_lo, s3
	s_cbranch_execnz .LBB98_9
; %bb.10:
	s_or_b32 exec_lo, exec_lo, s3
.LBB98_11:
	s_or_b32 exec_lo, exec_lo, s1
	s_cbranch_execz .LBB98_13
	s_branch .LBB98_18
.LBB98_12:
                                        ; implicit-def: $vgpr6_vgpr7
                                        ; implicit-def: $vgpr10_vgpr11
.LBB98_13:
	v_mov_b32_e32 v6, 0
	v_mov_b32_e32 v10, 0
	;; [unrolled: 1-line block ×4, first 2 shown]
	s_and_saveexec_b32 s1, s0
	s_cbranch_execz .LBB98_17
; %bb.14:
	v_mad_u64_u32 v[12:13], null, v8, 12, 11
	v_mov_b32_e32 v6, 0
	v_mov_b32_e32 v10, 0
	;; [unrolled: 1-line block ×5, first 2 shown]
	s_mov_b32 s0, 0
.LBB98_15:                              ; =>This Inner Loop Header: Depth=1
	v_ashrrev_i32_e32 v9, 31, v8
	v_add_nc_u32_e32 v13, -11, v12
	v_mov_b32_e32 v35, v14
	v_lshlrev_b64 v[15:16], 2, v[8:9]
	v_lshlrev_b64 v[18:19], 3, v[13:14]
	v_add_nc_u32_e32 v13, -4, v12
	v_add_nc_u32_e32 v8, 16, v8
	v_add_co_u32 v15, vcc_lo, s10, v15
	v_add_co_ci_u32_e64 v16, null, s11, v16, vcc_lo
	v_add_co_u32 v22, vcc_lo, s12, v18
	v_add_co_ci_u32_e64 v23, null, s13, v19, vcc_lo
	global_load_dword v9, v[15:16], off
	v_add_nc_u32_e32 v15, -5, v12
	v_mov_b32_e32 v16, v14
	v_lshlrev_b64 v[30:31], 3, v[13:14]
	v_lshlrev_b64 v[15:16], 3, v[15:16]
	v_add_co_u32 v15, vcc_lo, s12, v15
	v_add_co_ci_u32_e64 v16, null, s13, v16, vcc_lo
	s_waitcnt vmcnt(0)
	v_subrev_nc_u32_e32 v9, s2, v9
	v_mul_lo_u32 v34, v9, 6
	v_lshlrev_b64 v[18:19], 3, v[34:35]
	v_add_nc_u32_e32 v13, 2, v34
	v_add_co_u32 v26, vcc_lo, s14, v18
	v_add_co_ci_u32_e64 v27, null, s15, v19, vcc_lo
	s_clause 0x2
	global_load_dwordx4 v[18:21], v[22:23], off offset:16
	global_load_dwordx4 v[22:25], v[22:23], off
	global_load_dwordx2 v[15:16], v[15:16], off
	global_load_dwordx4 v[26:29], v[26:27], off
	v_add_co_u32 v30, vcc_lo, s12, v30
	v_add_co_ci_u32_e64 v31, null, s13, v31, vcc_lo
	global_load_dwordx2 v[38:39], v[30:31], off
	v_lshlrev_b64 v[30:31], 3, v[13:14]
	v_add_nc_u32_e32 v13, -3, v12
	v_lshlrev_b64 v[32:33], 3, v[13:14]
	v_add_co_u32 v30, vcc_lo, s14, v30
	v_add_co_ci_u32_e64 v31, null, s15, v31, vcc_lo
	v_add_nc_u32_e32 v13, -2, v12
	v_add_co_u32 v35, vcc_lo, s12, v32
	v_add_co_ci_u32_e64 v36, null, s13, v33, vcc_lo
	global_load_dwordx4 v[30:33], v[30:31], off
	global_load_dwordx2 v[40:41], v[35:36], off
	v_lshlrev_b64 v[35:36], 3, v[13:14]
	v_add_nc_u32_e32 v13, -7, v12
	v_add_co_u32 v35, vcc_lo, s12, v35
	v_add_co_ci_u32_e64 v36, null, s13, v36, vcc_lo
	v_lshlrev_b64 v[42:43], 3, v[13:14]
	v_add_nc_u32_e32 v13, 4, v34
	global_load_dwordx2 v[44:45], v[35:36], off
	v_lshlrev_b64 v[34:35], 3, v[13:14]
	v_add_nc_u32_e32 v13, -1, v12
	v_add_co_u32 v36, vcc_lo, s12, v42
	v_add_co_ci_u32_e64 v37, null, s13, v43, vcc_lo
	v_lshlrev_b64 v[42:43], 3, v[13:14]
	v_add_co_u32 v34, vcc_lo, s14, v34
	v_add_co_ci_u32_e64 v35, null, s15, v35, vcc_lo
	v_mov_b32_e32 v13, v14
	v_add_co_u32 v42, vcc_lo, s12, v42
	v_add_co_ci_u32_e64 v43, null, s13, v43, vcc_lo
	global_load_dwordx2 v[46:47], v[36:37], off
	global_load_dwordx4 v[34:37], v[34:35], off
	global_load_dwordx2 v[42:43], v[42:43], off
	v_lshlrev_b64 v[48:49], 3, v[12:13]
	v_add_nc_u32_e32 v13, -6, v12
	v_add_nc_u32_e32 v12, 0xc0, v12
	v_lshlrev_b64 v[50:51], 3, v[13:14]
	v_add_co_u32 v48, vcc_lo, s12, v48
	v_add_co_ci_u32_e64 v49, null, s13, v49, vcc_lo
	v_add_co_u32 v50, vcc_lo, s12, v50
	v_add_co_ci_u32_e64 v51, null, s13, v51, vcc_lo
	s_clause 0x1
	global_load_dwordx2 v[50:51], v[50:51], off
	global_load_dwordx2 v[48:49], v[48:49], off
	v_cmp_ge_i32_e32 vcc_lo, v8, v17
	s_or_b32 s0, vcc_lo, s0
	s_waitcnt vmcnt(9)
	v_fma_f64 v[6:7], v[22:23], v[26:27], v[6:7]
	v_fma_f64 v[9:10], v[15:16], v[26:27], v[10:11]
	;; [unrolled: 1-line block ×3, first 2 shown]
	s_waitcnt vmcnt(8)
	v_fma_f64 v[9:10], v[38:39], v[28:29], v[9:10]
	s_waitcnt vmcnt(7)
	v_fma_f64 v[6:7], v[18:19], v[30:31], v[6:7]
	;; [unrolled: 2-line block ×3, first 2 shown]
	v_fma_f64 v[6:7], v[20:21], v[32:33], v[6:7]
	s_waitcnt vmcnt(5)
	v_fma_f64 v[9:10], v[44:45], v[32:33], v[9:10]
	s_waitcnt vmcnt(3)
	;; [unrolled: 2-line block ×5, first 2 shown]
	v_fma_f64 v[10:11], v[48:49], v[36:37], v[9:10]
	s_andn2_b32 exec_lo, exec_lo, s0
	s_cbranch_execnz .LBB98_15
; %bb.16:
	s_or_b32 exec_lo, exec_lo, s0
.LBB98_17:
	s_or_b32 exec_lo, exec_lo, s1
.LBB98_18:
	v_mbcnt_lo_u32_b32 v14, -1, 0
	v_xor_b32_e32 v8, 8, v14
	v_cmp_gt_i32_e32 vcc_lo, 32, v8
	v_cndmask_b32_e32 v8, v14, v8, vcc_lo
	v_lshlrev_b32_e32 v13, 2, v8
	ds_bpermute_b32 v8, v13, v6
	ds_bpermute_b32 v9, v13, v7
	;; [unrolled: 1-line block ×4, first 2 shown]
	s_waitcnt lgkmcnt(2)
	v_add_f64 v[6:7], v[6:7], v[8:9]
	s_waitcnt lgkmcnt(0)
	v_add_f64 v[8:9], v[10:11], v[12:13]
	v_xor_b32_e32 v10, 4, v14
	v_cmp_gt_i32_e32 vcc_lo, 32, v10
	v_cndmask_b32_e32 v10, v14, v10, vcc_lo
	v_lshlrev_b32_e32 v13, 2, v10
	ds_bpermute_b32 v10, v13, v6
	ds_bpermute_b32 v11, v13, v7
	;; [unrolled: 1-line block ×4, first 2 shown]
	s_waitcnt lgkmcnt(2)
	v_add_f64 v[6:7], v[6:7], v[10:11]
	v_xor_b32_e32 v10, 2, v14
	s_waitcnt lgkmcnt(0)
	v_add_f64 v[8:9], v[8:9], v[12:13]
	v_cmp_gt_i32_e32 vcc_lo, 32, v10
	v_cndmask_b32_e32 v10, v14, v10, vcc_lo
	v_lshlrev_b32_e32 v13, 2, v10
	ds_bpermute_b32 v10, v13, v6
	ds_bpermute_b32 v11, v13, v7
	;; [unrolled: 1-line block ×4, first 2 shown]
	s_waitcnt lgkmcnt(2)
	v_add_f64 v[6:7], v[6:7], v[10:11]
	s_waitcnt lgkmcnt(0)
	v_add_f64 v[10:11], v[8:9], v[12:13]
	v_xor_b32_e32 v8, 1, v14
	v_cmp_gt_i32_e32 vcc_lo, 32, v8
	v_cndmask_b32_e32 v8, v14, v8, vcc_lo
	v_cmp_eq_u32_e32 vcc_lo, 15, v0
	v_lshlrev_b32_e32 v13, 2, v8
	ds_bpermute_b32 v8, v13, v6
	ds_bpermute_b32 v9, v13, v7
	;; [unrolled: 1-line block ×4, first 2 shown]
	s_and_b32 exec_lo, exec_lo, vcc_lo
	s_cbranch_execz .LBB98_23
; %bb.19:
	s_waitcnt lgkmcnt(2)
	v_add_f64 v[8:9], v[6:7], v[8:9]
	s_waitcnt lgkmcnt(0)
	v_add_f64 v[6:7], v[10:11], v[12:13]
	s_load_dwordx2 s[0:1], s[4:5], 0x38
	s_mov_b32 s2, exec_lo
	v_cmpx_eq_f64_e32 0, v[3:4]
	s_xor_b32 s2, exec_lo, s2
	s_cbranch_execz .LBB98_21
; %bb.20:
	v_lshlrev_b32_e32 v0, 1, v5
	v_mul_f64 v[3:4], v[1:2], v[8:9]
	v_mul_f64 v[5:6], v[1:2], v[6:7]
                                        ; implicit-def: $vgpr8_vgpr9
	v_ashrrev_i32_e32 v1, 31, v0
	v_lshlrev_b64 v[0:1], 3, v[0:1]
	s_waitcnt lgkmcnt(0)
	v_add_co_u32 v0, vcc_lo, s0, v0
	v_add_co_ci_u32_e64 v1, null, s1, v1, vcc_lo
	global_store_dwordx4 v[0:1], v[3:6], off
                                        ; implicit-def: $vgpr5
                                        ; implicit-def: $vgpr1_vgpr2
                                        ; implicit-def: $vgpr3_vgpr4
                                        ; implicit-def: $vgpr6_vgpr7
.LBB98_21:
	s_andn2_saveexec_b32 s2, s2
	s_cbranch_execz .LBB98_23
; %bb.22:
	v_lshlrev_b32_e32 v10, 1, v5
	v_mul_f64 v[8:9], v[1:2], v[8:9]
	v_mul_f64 v[5:6], v[1:2], v[6:7]
	v_ashrrev_i32_e32 v11, 31, v10
	v_lshlrev_b64 v[10:11], 3, v[10:11]
	s_waitcnt lgkmcnt(0)
	v_add_co_u32 v14, vcc_lo, s0, v10
	v_add_co_ci_u32_e64 v15, null, s1, v11, vcc_lo
	global_load_dwordx4 v[10:13], v[14:15], off
	s_waitcnt vmcnt(0)
	v_fma_f64 v[0:1], v[3:4], v[10:11], v[8:9]
	v_fma_f64 v[2:3], v[3:4], v[12:13], v[5:6]
	global_store_dwordx4 v[14:15], v[0:3], off
.LBB98_23:
	s_endpgm
	.section	.rodata,"a",@progbits
	.p2align	6, 0x0
	.amdhsa_kernel _ZN9rocsparseL19gebsrmvn_2xn_kernelILj128ELj6ELj16EdEEvi20rocsparse_direction_NS_24const_host_device_scalarIT2_EEPKiS6_PKS3_S8_S4_PS3_21rocsparse_index_base_b
		.amdhsa_group_segment_fixed_size 0
		.amdhsa_private_segment_fixed_size 0
		.amdhsa_kernarg_size 72
		.amdhsa_user_sgpr_count 6
		.amdhsa_user_sgpr_private_segment_buffer 1
		.amdhsa_user_sgpr_dispatch_ptr 0
		.amdhsa_user_sgpr_queue_ptr 0
		.amdhsa_user_sgpr_kernarg_segment_ptr 1
		.amdhsa_user_sgpr_dispatch_id 0
		.amdhsa_user_sgpr_flat_scratch_init 0
		.amdhsa_user_sgpr_private_segment_size 0
		.amdhsa_wavefront_size32 1
		.amdhsa_uses_dynamic_stack 0
		.amdhsa_system_sgpr_private_segment_wavefront_offset 0
		.amdhsa_system_sgpr_workgroup_id_x 1
		.amdhsa_system_sgpr_workgroup_id_y 0
		.amdhsa_system_sgpr_workgroup_id_z 0
		.amdhsa_system_sgpr_workgroup_info 0
		.amdhsa_system_vgpr_workitem_id 0
		.amdhsa_next_free_vgpr 54
		.amdhsa_next_free_sgpr 16
		.amdhsa_reserve_vcc 1
		.amdhsa_reserve_flat_scratch 0
		.amdhsa_float_round_mode_32 0
		.amdhsa_float_round_mode_16_64 0
		.amdhsa_float_denorm_mode_32 3
		.amdhsa_float_denorm_mode_16_64 3
		.amdhsa_dx10_clamp 1
		.amdhsa_ieee_mode 1
		.amdhsa_fp16_overflow 0
		.amdhsa_workgroup_processor_mode 1
		.amdhsa_memory_ordered 1
		.amdhsa_forward_progress 1
		.amdhsa_shared_vgpr_count 0
		.amdhsa_exception_fp_ieee_invalid_op 0
		.amdhsa_exception_fp_denorm_src 0
		.amdhsa_exception_fp_ieee_div_zero 0
		.amdhsa_exception_fp_ieee_overflow 0
		.amdhsa_exception_fp_ieee_underflow 0
		.amdhsa_exception_fp_ieee_inexact 0
		.amdhsa_exception_int_div_zero 0
	.end_amdhsa_kernel
	.section	.text._ZN9rocsparseL19gebsrmvn_2xn_kernelILj128ELj6ELj16EdEEvi20rocsparse_direction_NS_24const_host_device_scalarIT2_EEPKiS6_PKS3_S8_S4_PS3_21rocsparse_index_base_b,"axG",@progbits,_ZN9rocsparseL19gebsrmvn_2xn_kernelILj128ELj6ELj16EdEEvi20rocsparse_direction_NS_24const_host_device_scalarIT2_EEPKiS6_PKS3_S8_S4_PS3_21rocsparse_index_base_b,comdat
.Lfunc_end98:
	.size	_ZN9rocsparseL19gebsrmvn_2xn_kernelILj128ELj6ELj16EdEEvi20rocsparse_direction_NS_24const_host_device_scalarIT2_EEPKiS6_PKS3_S8_S4_PS3_21rocsparse_index_base_b, .Lfunc_end98-_ZN9rocsparseL19gebsrmvn_2xn_kernelILj128ELj6ELj16EdEEvi20rocsparse_direction_NS_24const_host_device_scalarIT2_EEPKiS6_PKS3_S8_S4_PS3_21rocsparse_index_base_b
                                        ; -- End function
	.set _ZN9rocsparseL19gebsrmvn_2xn_kernelILj128ELj6ELj16EdEEvi20rocsparse_direction_NS_24const_host_device_scalarIT2_EEPKiS6_PKS3_S8_S4_PS3_21rocsparse_index_base_b.num_vgpr, 54
	.set _ZN9rocsparseL19gebsrmvn_2xn_kernelILj128ELj6ELj16EdEEvi20rocsparse_direction_NS_24const_host_device_scalarIT2_EEPKiS6_PKS3_S8_S4_PS3_21rocsparse_index_base_b.num_agpr, 0
	.set _ZN9rocsparseL19gebsrmvn_2xn_kernelILj128ELj6ELj16EdEEvi20rocsparse_direction_NS_24const_host_device_scalarIT2_EEPKiS6_PKS3_S8_S4_PS3_21rocsparse_index_base_b.numbered_sgpr, 16
	.set _ZN9rocsparseL19gebsrmvn_2xn_kernelILj128ELj6ELj16EdEEvi20rocsparse_direction_NS_24const_host_device_scalarIT2_EEPKiS6_PKS3_S8_S4_PS3_21rocsparse_index_base_b.num_named_barrier, 0
	.set _ZN9rocsparseL19gebsrmvn_2xn_kernelILj128ELj6ELj16EdEEvi20rocsparse_direction_NS_24const_host_device_scalarIT2_EEPKiS6_PKS3_S8_S4_PS3_21rocsparse_index_base_b.private_seg_size, 0
	.set _ZN9rocsparseL19gebsrmvn_2xn_kernelILj128ELj6ELj16EdEEvi20rocsparse_direction_NS_24const_host_device_scalarIT2_EEPKiS6_PKS3_S8_S4_PS3_21rocsparse_index_base_b.uses_vcc, 1
	.set _ZN9rocsparseL19gebsrmvn_2xn_kernelILj128ELj6ELj16EdEEvi20rocsparse_direction_NS_24const_host_device_scalarIT2_EEPKiS6_PKS3_S8_S4_PS3_21rocsparse_index_base_b.uses_flat_scratch, 0
	.set _ZN9rocsparseL19gebsrmvn_2xn_kernelILj128ELj6ELj16EdEEvi20rocsparse_direction_NS_24const_host_device_scalarIT2_EEPKiS6_PKS3_S8_S4_PS3_21rocsparse_index_base_b.has_dyn_sized_stack, 0
	.set _ZN9rocsparseL19gebsrmvn_2xn_kernelILj128ELj6ELj16EdEEvi20rocsparse_direction_NS_24const_host_device_scalarIT2_EEPKiS6_PKS3_S8_S4_PS3_21rocsparse_index_base_b.has_recursion, 0
	.set _ZN9rocsparseL19gebsrmvn_2xn_kernelILj128ELj6ELj16EdEEvi20rocsparse_direction_NS_24const_host_device_scalarIT2_EEPKiS6_PKS3_S8_S4_PS3_21rocsparse_index_base_b.has_indirect_call, 0
	.section	.AMDGPU.csdata,"",@progbits
; Kernel info:
; codeLenInByte = 2048
; TotalNumSgprs: 18
; NumVgprs: 54
; ScratchSize: 0
; MemoryBound: 0
; FloatMode: 240
; IeeeMode: 1
; LDSByteSize: 0 bytes/workgroup (compile time only)
; SGPRBlocks: 0
; VGPRBlocks: 6
; NumSGPRsForWavesPerEU: 18
; NumVGPRsForWavesPerEU: 54
; Occupancy: 16
; WaveLimiterHint : 1
; COMPUTE_PGM_RSRC2:SCRATCH_EN: 0
; COMPUTE_PGM_RSRC2:USER_SGPR: 6
; COMPUTE_PGM_RSRC2:TRAP_HANDLER: 0
; COMPUTE_PGM_RSRC2:TGID_X_EN: 1
; COMPUTE_PGM_RSRC2:TGID_Y_EN: 0
; COMPUTE_PGM_RSRC2:TGID_Z_EN: 0
; COMPUTE_PGM_RSRC2:TIDIG_COMP_CNT: 0
	.section	.text._ZN9rocsparseL19gebsrmvn_2xn_kernelILj128ELj6ELj32EdEEvi20rocsparse_direction_NS_24const_host_device_scalarIT2_EEPKiS6_PKS3_S8_S4_PS3_21rocsparse_index_base_b,"axG",@progbits,_ZN9rocsparseL19gebsrmvn_2xn_kernelILj128ELj6ELj32EdEEvi20rocsparse_direction_NS_24const_host_device_scalarIT2_EEPKiS6_PKS3_S8_S4_PS3_21rocsparse_index_base_b,comdat
	.globl	_ZN9rocsparseL19gebsrmvn_2xn_kernelILj128ELj6ELj32EdEEvi20rocsparse_direction_NS_24const_host_device_scalarIT2_EEPKiS6_PKS3_S8_S4_PS3_21rocsparse_index_base_b ; -- Begin function _ZN9rocsparseL19gebsrmvn_2xn_kernelILj128ELj6ELj32EdEEvi20rocsparse_direction_NS_24const_host_device_scalarIT2_EEPKiS6_PKS3_S8_S4_PS3_21rocsparse_index_base_b
	.p2align	8
	.type	_ZN9rocsparseL19gebsrmvn_2xn_kernelILj128ELj6ELj32EdEEvi20rocsparse_direction_NS_24const_host_device_scalarIT2_EEPKiS6_PKS3_S8_S4_PS3_21rocsparse_index_base_b,@function
_ZN9rocsparseL19gebsrmvn_2xn_kernelILj128ELj6ELj32EdEEvi20rocsparse_direction_NS_24const_host_device_scalarIT2_EEPKiS6_PKS3_S8_S4_PS3_21rocsparse_index_base_b: ; @_ZN9rocsparseL19gebsrmvn_2xn_kernelILj128ELj6ELj32EdEEvi20rocsparse_direction_NS_24const_host_device_scalarIT2_EEPKiS6_PKS3_S8_S4_PS3_21rocsparse_index_base_b
; %bb.0:
	s_clause 0x2
	s_load_dwordx2 s[2:3], s[4:5], 0x40
	s_load_dwordx2 s[8:9], s[4:5], 0x8
	;; [unrolled: 1-line block ×3, first 2 shown]
	s_waitcnt lgkmcnt(0)
	s_bitcmp1_b32 s3, 0
	v_mov_b32_e32 v1, s8
	v_mov_b32_e32 v2, s9
	s_cselect_b32 s3, -1, 0
	s_and_b32 vcc_lo, exec_lo, s3
	s_xor_b32 s3, s3, -1
	s_cbranch_vccnz .LBB99_2
; %bb.1:
	v_mov_b32_e32 v1, s8
	v_mov_b32_e32 v2, s9
	flat_load_dwordx2 v[1:2], v[1:2]
.LBB99_2:
	v_mov_b32_e32 v4, s1
	v_mov_b32_e32 v3, s0
	s_andn2_b32 vcc_lo, exec_lo, s3
	s_cbranch_vccnz .LBB99_4
; %bb.3:
	v_mov_b32_e32 v4, s1
	v_mov_b32_e32 v3, s0
	flat_load_dwordx2 v[3:4], v[3:4]
.LBB99_4:
	s_waitcnt vmcnt(0) lgkmcnt(0)
	v_cmp_neq_f64_e32 vcc_lo, 0, v[1:2]
	v_cmp_neq_f64_e64 s0, 1.0, v[3:4]
	s_or_b32 s0, vcc_lo, s0
	s_and_saveexec_b32 s1, s0
	s_cbranch_execz .LBB99_23
; %bb.5:
	s_load_dwordx2 s[0:1], s[4:5], 0x0
	v_lshrrev_b32_e32 v5, 5, v0
	v_lshl_or_b32 v5, s6, 2, v5
	s_waitcnt lgkmcnt(0)
	v_cmp_gt_i32_e32 vcc_lo, s0, v5
	s_and_b32 exec_lo, exec_lo, vcc_lo
	s_cbranch_execz .LBB99_23
; %bb.6:
	s_load_dwordx8 s[8:15], s[4:5], 0x10
	v_ashrrev_i32_e32 v6, 31, v5
	v_and_b32_e32 v0, 31, v0
	s_cmp_lg_u32 s1, 0
	v_lshlrev_b64 v[6:7], 2, v[5:6]
	s_waitcnt lgkmcnt(0)
	v_add_co_u32 v6, vcc_lo, s8, v6
	v_add_co_ci_u32_e64 v7, null, s9, v7, vcc_lo
	global_load_dwordx2 v[6:7], v[6:7], off
	s_waitcnt vmcnt(0)
	v_subrev_nc_u32_e32 v6, s2, v6
	v_subrev_nc_u32_e32 v16, s2, v7
	v_add_nc_u32_e32 v10, v6, v0
	v_cmp_lt_i32_e64 s0, v10, v16
	s_cbranch_scc0 .LBB99_12
; %bb.7:
	v_mov_b32_e32 v6, 0
	v_mov_b32_e32 v8, 0
	;; [unrolled: 1-line block ×4, first 2 shown]
	s_and_saveexec_b32 s1, s0
	s_cbranch_execz .LBB99_11
; %bb.8:
	v_mad_u64_u32 v[11:12], null, v10, 12, 10
	v_mov_b32_e32 v6, 0
	v_mov_b32_e32 v8, 0
	;; [unrolled: 1-line block ×6, first 2 shown]
	s_mov_b32 s3, 0
.LBB99_9:                               ; =>This Inner Loop Header: Depth=1
	v_ashrrev_i32_e32 v15, 31, v14
	v_add_nc_u32_e32 v12, -10, v11
	v_mov_b32_e32 v42, v13
	v_lshlrev_b64 v[17:18], 2, v[14:15]
	v_add_nc_u32_e32 v14, 32, v14
	v_add_co_u32 v17, vcc_lo, s10, v17
	v_add_co_ci_u32_e64 v18, null, s11, v18, vcc_lo
	global_load_dword v15, v[17:18], off
	v_lshlrev_b64 v[17:18], 3, v[12:13]
	v_add_nc_u32_e32 v12, -6, v11
	v_lshlrev_b64 v[29:30], 3, v[12:13]
	v_add_co_u32 v21, vcc_lo, s12, v17
	v_add_co_ci_u32_e64 v22, null, s13, v18, vcc_lo
	s_waitcnt vmcnt(0)
	v_subrev_nc_u32_e32 v15, s2, v15
	v_mul_lo_u32 v41, v15, 6
	v_lshlrev_b64 v[19:20], 3, v[41:42]
	v_add_nc_u32_e32 v12, 2, v41
	v_lshlrev_b64 v[31:32], 3, v[12:13]
	v_add_co_u32 v25, vcc_lo, s14, v19
	v_add_co_ci_u32_e64 v26, null, s15, v20, vcc_lo
	s_clause 0x1
	global_load_dwordx4 v[17:20], v[21:22], off offset:16
	global_load_dwordx4 v[21:24], v[21:22], off
	global_load_dwordx4 v[25:28], v[25:26], off
	v_add_co_u32 v29, vcc_lo, s12, v29
	v_add_co_ci_u32_e64 v30, null, s13, v30, vcc_lo
	v_add_co_u32 v33, vcc_lo, s14, v31
	v_add_co_ci_u32_e64 v34, null, s15, v32, vcc_lo
	global_load_dwordx4 v[29:32], v[29:30], off
	global_load_dwordx4 v[33:36], v[33:34], off
	v_add_nc_u32_e32 v12, -4, v11
	v_lshlrev_b64 v[37:38], 3, v[12:13]
	v_add_nc_u32_e32 v12, -2, v11
	v_add_co_u32 v37, vcc_lo, s12, v37
	v_add_co_ci_u32_e64 v38, null, s13, v38, vcc_lo
	v_lshlrev_b64 v[42:43], 3, v[12:13]
	v_add_nc_u32_e32 v12, 4, v41
	global_load_dwordx4 v[37:40], v[37:38], off
	v_lshlrev_b64 v[44:45], 3, v[12:13]
	v_add_co_u32 v41, vcc_lo, s12, v42
	v_add_co_ci_u32_e64 v42, null, s13, v43, vcc_lo
	v_mov_b32_e32 v12, v13
	v_add_co_u32 v46, vcc_lo, s14, v44
	v_add_co_ci_u32_e64 v47, null, s15, v45, vcc_lo
	global_load_dwordx4 v[41:44], v[41:42], off
	global_load_dwordx4 v[45:48], v[46:47], off
	v_lshlrev_b64 v[49:50], 3, v[11:12]
	v_add_nc_u32_e32 v11, 0x180, v11
	v_add_co_u32 v49, vcc_lo, s12, v49
	v_add_co_ci_u32_e64 v50, null, s13, v50, vcc_lo
	v_cmp_ge_i32_e32 vcc_lo, v14, v16
	global_load_dwordx4 v[49:52], v[49:50], off
	s_or_b32 s3, vcc_lo, s3
	s_waitcnt vmcnt(6)
	v_fma_f64 v[6:7], v[21:22], v[25:26], v[6:7]
	v_fma_f64 v[8:9], v[23:24], v[25:26], v[8:9]
	;; [unrolled: 1-line block ×4, first 2 shown]
	s_waitcnt vmcnt(4)
	v_fma_f64 v[6:7], v[29:30], v[33:34], v[6:7]
	v_fma_f64 v[8:9], v[31:32], v[33:34], v[8:9]
	s_waitcnt vmcnt(3)
	v_fma_f64 v[6:7], v[37:38], v[35:36], v[6:7]
	v_fma_f64 v[8:9], v[39:40], v[35:36], v[8:9]
	;; [unrolled: 3-line block ×4, first 2 shown]
	s_andn2_b32 exec_lo, exec_lo, s3
	s_cbranch_execnz .LBB99_9
; %bb.10:
	s_or_b32 exec_lo, exec_lo, s3
.LBB99_11:
	s_or_b32 exec_lo, exec_lo, s1
	s_cbranch_execz .LBB99_13
	s_branch .LBB99_18
.LBB99_12:
                                        ; implicit-def: $vgpr6_vgpr7
                                        ; implicit-def: $vgpr8_vgpr9
.LBB99_13:
	v_mov_b32_e32 v6, 0
	v_mov_b32_e32 v8, 0
	v_mov_b32_e32 v7, 0
	v_mov_b32_e32 v9, 0
	s_and_saveexec_b32 s1, s0
	s_cbranch_execz .LBB99_17
; %bb.14:
	v_mad_u64_u32 v[12:13], null, v10, 12, 11
	v_mov_b32_e32 v6, 0
	v_mov_b32_e32 v8, 0
	;; [unrolled: 1-line block ×5, first 2 shown]
	s_mov_b32 s0, 0
.LBB99_15:                              ; =>This Inner Loop Header: Depth=1
	v_ashrrev_i32_e32 v11, 31, v10
	v_add_nc_u32_e32 v13, -11, v12
	v_mov_b32_e32 v34, v14
	v_lshlrev_b64 v[17:18], 2, v[10:11]
	v_lshlrev_b64 v[19:20], 3, v[13:14]
	v_add_nc_u32_e32 v13, -4, v12
	v_add_nc_u32_e32 v10, 32, v10
	v_add_co_u32 v17, vcc_lo, s10, v17
	v_add_co_ci_u32_e64 v18, null, s11, v18, vcc_lo
	v_add_co_u32 v21, vcc_lo, s12, v19
	v_add_co_ci_u32_e64 v22, null, s13, v20, vcc_lo
	global_load_dword v11, v[17:18], off
	v_add_nc_u32_e32 v17, -5, v12
	v_mov_b32_e32 v18, v14
	v_lshlrev_b64 v[29:30], 3, v[13:14]
	v_lshlrev_b64 v[17:18], 3, v[17:18]
	v_add_co_u32 v25, vcc_lo, s12, v17
	v_add_co_ci_u32_e64 v26, null, s13, v18, vcc_lo
	s_waitcnt vmcnt(0)
	v_subrev_nc_u32_e32 v11, s2, v11
	v_mul_lo_u32 v33, v11, 6
	v_lshlrev_b64 v[19:20], 3, v[33:34]
	v_add_nc_u32_e32 v13, 2, v33
	v_add_co_u32 v27, vcc_lo, s14, v19
	v_add_co_ci_u32_e64 v28, null, s15, v20, vcc_lo
	s_clause 0x2
	global_load_dwordx4 v[17:20], v[21:22], off offset:16
	global_load_dwordx4 v[21:24], v[21:22], off
	global_load_dwordx2 v[37:38], v[25:26], off
	global_load_dwordx4 v[25:28], v[27:28], off
	v_add_co_u32 v29, vcc_lo, s12, v29
	v_add_co_ci_u32_e64 v30, null, s13, v30, vcc_lo
	global_load_dwordx2 v[39:40], v[29:30], off
	v_lshlrev_b64 v[29:30], 3, v[13:14]
	v_add_nc_u32_e32 v13, -3, v12
	v_lshlrev_b64 v[31:32], 3, v[13:14]
	v_add_co_u32 v29, vcc_lo, s14, v29
	v_add_co_ci_u32_e64 v30, null, s15, v30, vcc_lo
	v_add_nc_u32_e32 v13, -2, v12
	v_add_co_u32 v34, vcc_lo, s12, v31
	v_add_co_ci_u32_e64 v35, null, s13, v32, vcc_lo
	global_load_dwordx4 v[29:32], v[29:30], off
	global_load_dwordx2 v[41:42], v[34:35], off
	v_lshlrev_b64 v[34:35], 3, v[13:14]
	v_add_nc_u32_e32 v13, -7, v12
	v_add_co_u32 v34, vcc_lo, s12, v34
	v_add_co_ci_u32_e64 v35, null, s13, v35, vcc_lo
	v_lshlrev_b64 v[43:44], 3, v[13:14]
	v_add_nc_u32_e32 v13, 4, v33
	global_load_dwordx2 v[45:46], v[34:35], off
	v_lshlrev_b64 v[33:34], 3, v[13:14]
	v_add_nc_u32_e32 v13, -1, v12
	v_add_co_u32 v35, vcc_lo, s12, v43
	v_add_co_ci_u32_e64 v36, null, s13, v44, vcc_lo
	v_lshlrev_b64 v[43:44], 3, v[13:14]
	v_add_co_u32 v33, vcc_lo, s14, v33
	v_add_co_ci_u32_e64 v34, null, s15, v34, vcc_lo
	v_mov_b32_e32 v13, v14
	v_add_co_u32 v43, vcc_lo, s12, v43
	v_add_co_ci_u32_e64 v44, null, s13, v44, vcc_lo
	global_load_dwordx2 v[47:48], v[35:36], off
	global_load_dwordx4 v[33:36], v[33:34], off
	global_load_dwordx2 v[43:44], v[43:44], off
	v_lshlrev_b64 v[49:50], 3, v[12:13]
	v_add_nc_u32_e32 v13, -6, v12
	v_add_nc_u32_e32 v12, 0x180, v12
	v_lshlrev_b64 v[51:52], 3, v[13:14]
	v_add_co_u32 v49, vcc_lo, s12, v49
	v_add_co_ci_u32_e64 v50, null, s13, v50, vcc_lo
	v_add_co_u32 v51, vcc_lo, s12, v51
	v_add_co_ci_u32_e64 v52, null, s13, v52, vcc_lo
	s_clause 0x1
	global_load_dwordx2 v[51:52], v[51:52], off
	global_load_dwordx2 v[49:50], v[49:50], off
	v_cmp_ge_i32_e32 vcc_lo, v10, v16
	s_or_b32 s0, vcc_lo, s0
	s_waitcnt vmcnt(9)
	v_fma_f64 v[6:7], v[21:22], v[25:26], v[6:7]
	v_fma_f64 v[8:9], v[37:38], v[25:26], v[8:9]
	;; [unrolled: 1-line block ×3, first 2 shown]
	s_waitcnt vmcnt(8)
	v_fma_f64 v[8:9], v[39:40], v[27:28], v[8:9]
	s_waitcnt vmcnt(7)
	v_fma_f64 v[6:7], v[17:18], v[29:30], v[6:7]
	;; [unrolled: 2-line block ×3, first 2 shown]
	v_fma_f64 v[6:7], v[19:20], v[31:32], v[6:7]
	s_waitcnt vmcnt(5)
	v_fma_f64 v[8:9], v[45:46], v[31:32], v[8:9]
	s_waitcnt vmcnt(3)
	;; [unrolled: 2-line block ×5, first 2 shown]
	v_fma_f64 v[8:9], v[49:50], v[35:36], v[8:9]
	s_andn2_b32 exec_lo, exec_lo, s0
	s_cbranch_execnz .LBB99_15
; %bb.16:
	s_or_b32 exec_lo, exec_lo, s0
.LBB99_17:
	s_or_b32 exec_lo, exec_lo, s1
.LBB99_18:
	v_mbcnt_lo_u32_b32 v14, -1, 0
	v_xor_b32_e32 v10, 16, v14
	v_cmp_gt_i32_e32 vcc_lo, 32, v10
	v_cndmask_b32_e32 v10, v14, v10, vcc_lo
	v_lshlrev_b32_e32 v13, 2, v10
	ds_bpermute_b32 v10, v13, v6
	ds_bpermute_b32 v11, v13, v7
	ds_bpermute_b32 v12, v13, v8
	ds_bpermute_b32 v13, v13, v9
	s_waitcnt lgkmcnt(2)
	v_add_f64 v[6:7], v[6:7], v[10:11]
	v_xor_b32_e32 v10, 8, v14
	s_waitcnt lgkmcnt(0)
	v_add_f64 v[8:9], v[8:9], v[12:13]
	v_cmp_gt_i32_e32 vcc_lo, 32, v10
	v_cndmask_b32_e32 v10, v14, v10, vcc_lo
	v_lshlrev_b32_e32 v13, 2, v10
	ds_bpermute_b32 v10, v13, v6
	ds_bpermute_b32 v11, v13, v7
	ds_bpermute_b32 v12, v13, v8
	ds_bpermute_b32 v13, v13, v9
	s_waitcnt lgkmcnt(2)
	v_add_f64 v[6:7], v[6:7], v[10:11]
	v_xor_b32_e32 v10, 4, v14
	s_waitcnt lgkmcnt(0)
	v_add_f64 v[8:9], v[8:9], v[12:13]
	;; [unrolled: 12-line block ×3, first 2 shown]
	v_cmp_gt_i32_e32 vcc_lo, 32, v10
	v_cndmask_b32_e32 v10, v14, v10, vcc_lo
	v_lshlrev_b32_e32 v13, 2, v10
	ds_bpermute_b32 v10, v13, v6
	ds_bpermute_b32 v11, v13, v7
	;; [unrolled: 1-line block ×4, first 2 shown]
	s_waitcnt lgkmcnt(2)
	v_add_f64 v[6:7], v[6:7], v[10:11]
	s_waitcnt lgkmcnt(0)
	v_add_f64 v[10:11], v[8:9], v[12:13]
	v_xor_b32_e32 v8, 1, v14
	v_cmp_gt_i32_e32 vcc_lo, 32, v8
	v_cndmask_b32_e32 v8, v14, v8, vcc_lo
	v_cmp_eq_u32_e32 vcc_lo, 31, v0
	v_lshlrev_b32_e32 v13, 2, v8
	ds_bpermute_b32 v8, v13, v6
	ds_bpermute_b32 v9, v13, v7
	;; [unrolled: 1-line block ×4, first 2 shown]
	s_and_b32 exec_lo, exec_lo, vcc_lo
	s_cbranch_execz .LBB99_23
; %bb.19:
	s_waitcnt lgkmcnt(2)
	v_add_f64 v[8:9], v[6:7], v[8:9]
	s_waitcnt lgkmcnt(0)
	v_add_f64 v[6:7], v[10:11], v[12:13]
	s_load_dwordx2 s[0:1], s[4:5], 0x38
	s_mov_b32 s2, exec_lo
	v_cmpx_eq_f64_e32 0, v[3:4]
	s_xor_b32 s2, exec_lo, s2
	s_cbranch_execz .LBB99_21
; %bb.20:
	v_lshlrev_b32_e32 v0, 1, v5
	v_mul_f64 v[3:4], v[1:2], v[8:9]
	v_mul_f64 v[5:6], v[1:2], v[6:7]
                                        ; implicit-def: $vgpr8_vgpr9
	v_ashrrev_i32_e32 v1, 31, v0
	v_lshlrev_b64 v[0:1], 3, v[0:1]
	s_waitcnt lgkmcnt(0)
	v_add_co_u32 v0, vcc_lo, s0, v0
	v_add_co_ci_u32_e64 v1, null, s1, v1, vcc_lo
	global_store_dwordx4 v[0:1], v[3:6], off
                                        ; implicit-def: $vgpr5
                                        ; implicit-def: $vgpr1_vgpr2
                                        ; implicit-def: $vgpr3_vgpr4
                                        ; implicit-def: $vgpr6_vgpr7
.LBB99_21:
	s_andn2_saveexec_b32 s2, s2
	s_cbranch_execz .LBB99_23
; %bb.22:
	v_lshlrev_b32_e32 v10, 1, v5
	v_mul_f64 v[8:9], v[1:2], v[8:9]
	v_mul_f64 v[5:6], v[1:2], v[6:7]
	v_ashrrev_i32_e32 v11, 31, v10
	v_lshlrev_b64 v[10:11], 3, v[10:11]
	s_waitcnt lgkmcnt(0)
	v_add_co_u32 v14, vcc_lo, s0, v10
	v_add_co_ci_u32_e64 v15, null, s1, v11, vcc_lo
	global_load_dwordx4 v[10:13], v[14:15], off
	s_waitcnt vmcnt(0)
	v_fma_f64 v[0:1], v[3:4], v[10:11], v[8:9]
	v_fma_f64 v[2:3], v[3:4], v[12:13], v[5:6]
	global_store_dwordx4 v[14:15], v[0:3], off
.LBB99_23:
	s_endpgm
	.section	.rodata,"a",@progbits
	.p2align	6, 0x0
	.amdhsa_kernel _ZN9rocsparseL19gebsrmvn_2xn_kernelILj128ELj6ELj32EdEEvi20rocsparse_direction_NS_24const_host_device_scalarIT2_EEPKiS6_PKS3_S8_S4_PS3_21rocsparse_index_base_b
		.amdhsa_group_segment_fixed_size 0
		.amdhsa_private_segment_fixed_size 0
		.amdhsa_kernarg_size 72
		.amdhsa_user_sgpr_count 6
		.amdhsa_user_sgpr_private_segment_buffer 1
		.amdhsa_user_sgpr_dispatch_ptr 0
		.amdhsa_user_sgpr_queue_ptr 0
		.amdhsa_user_sgpr_kernarg_segment_ptr 1
		.amdhsa_user_sgpr_dispatch_id 0
		.amdhsa_user_sgpr_flat_scratch_init 0
		.amdhsa_user_sgpr_private_segment_size 0
		.amdhsa_wavefront_size32 1
		.amdhsa_uses_dynamic_stack 0
		.amdhsa_system_sgpr_private_segment_wavefront_offset 0
		.amdhsa_system_sgpr_workgroup_id_x 1
		.amdhsa_system_sgpr_workgroup_id_y 0
		.amdhsa_system_sgpr_workgroup_id_z 0
		.amdhsa_system_sgpr_workgroup_info 0
		.amdhsa_system_vgpr_workitem_id 0
		.amdhsa_next_free_vgpr 53
		.amdhsa_next_free_sgpr 16
		.amdhsa_reserve_vcc 1
		.amdhsa_reserve_flat_scratch 0
		.amdhsa_float_round_mode_32 0
		.amdhsa_float_round_mode_16_64 0
		.amdhsa_float_denorm_mode_32 3
		.amdhsa_float_denorm_mode_16_64 3
		.amdhsa_dx10_clamp 1
		.amdhsa_ieee_mode 1
		.amdhsa_fp16_overflow 0
		.amdhsa_workgroup_processor_mode 1
		.amdhsa_memory_ordered 1
		.amdhsa_forward_progress 1
		.amdhsa_shared_vgpr_count 0
		.amdhsa_exception_fp_ieee_invalid_op 0
		.amdhsa_exception_fp_denorm_src 0
		.amdhsa_exception_fp_ieee_div_zero 0
		.amdhsa_exception_fp_ieee_overflow 0
		.amdhsa_exception_fp_ieee_underflow 0
		.amdhsa_exception_fp_ieee_inexact 0
		.amdhsa_exception_int_div_zero 0
	.end_amdhsa_kernel
	.section	.text._ZN9rocsparseL19gebsrmvn_2xn_kernelILj128ELj6ELj32EdEEvi20rocsparse_direction_NS_24const_host_device_scalarIT2_EEPKiS6_PKS3_S8_S4_PS3_21rocsparse_index_base_b,"axG",@progbits,_ZN9rocsparseL19gebsrmvn_2xn_kernelILj128ELj6ELj32EdEEvi20rocsparse_direction_NS_24const_host_device_scalarIT2_EEPKiS6_PKS3_S8_S4_PS3_21rocsparse_index_base_b,comdat
.Lfunc_end99:
	.size	_ZN9rocsparseL19gebsrmvn_2xn_kernelILj128ELj6ELj32EdEEvi20rocsparse_direction_NS_24const_host_device_scalarIT2_EEPKiS6_PKS3_S8_S4_PS3_21rocsparse_index_base_b, .Lfunc_end99-_ZN9rocsparseL19gebsrmvn_2xn_kernelILj128ELj6ELj32EdEEvi20rocsparse_direction_NS_24const_host_device_scalarIT2_EEPKiS6_PKS3_S8_S4_PS3_21rocsparse_index_base_b
                                        ; -- End function
	.set _ZN9rocsparseL19gebsrmvn_2xn_kernelILj128ELj6ELj32EdEEvi20rocsparse_direction_NS_24const_host_device_scalarIT2_EEPKiS6_PKS3_S8_S4_PS3_21rocsparse_index_base_b.num_vgpr, 53
	.set _ZN9rocsparseL19gebsrmvn_2xn_kernelILj128ELj6ELj32EdEEvi20rocsparse_direction_NS_24const_host_device_scalarIT2_EEPKiS6_PKS3_S8_S4_PS3_21rocsparse_index_base_b.num_agpr, 0
	.set _ZN9rocsparseL19gebsrmvn_2xn_kernelILj128ELj6ELj32EdEEvi20rocsparse_direction_NS_24const_host_device_scalarIT2_EEPKiS6_PKS3_S8_S4_PS3_21rocsparse_index_base_b.numbered_sgpr, 16
	.set _ZN9rocsparseL19gebsrmvn_2xn_kernelILj128ELj6ELj32EdEEvi20rocsparse_direction_NS_24const_host_device_scalarIT2_EEPKiS6_PKS3_S8_S4_PS3_21rocsparse_index_base_b.num_named_barrier, 0
	.set _ZN9rocsparseL19gebsrmvn_2xn_kernelILj128ELj6ELj32EdEEvi20rocsparse_direction_NS_24const_host_device_scalarIT2_EEPKiS6_PKS3_S8_S4_PS3_21rocsparse_index_base_b.private_seg_size, 0
	.set _ZN9rocsparseL19gebsrmvn_2xn_kernelILj128ELj6ELj32EdEEvi20rocsparse_direction_NS_24const_host_device_scalarIT2_EEPKiS6_PKS3_S8_S4_PS3_21rocsparse_index_base_b.uses_vcc, 1
	.set _ZN9rocsparseL19gebsrmvn_2xn_kernelILj128ELj6ELj32EdEEvi20rocsparse_direction_NS_24const_host_device_scalarIT2_EEPKiS6_PKS3_S8_S4_PS3_21rocsparse_index_base_b.uses_flat_scratch, 0
	.set _ZN9rocsparseL19gebsrmvn_2xn_kernelILj128ELj6ELj32EdEEvi20rocsparse_direction_NS_24const_host_device_scalarIT2_EEPKiS6_PKS3_S8_S4_PS3_21rocsparse_index_base_b.has_dyn_sized_stack, 0
	.set _ZN9rocsparseL19gebsrmvn_2xn_kernelILj128ELj6ELj32EdEEvi20rocsparse_direction_NS_24const_host_device_scalarIT2_EEPKiS6_PKS3_S8_S4_PS3_21rocsparse_index_base_b.has_recursion, 0
	.set _ZN9rocsparseL19gebsrmvn_2xn_kernelILj128ELj6ELj32EdEEvi20rocsparse_direction_NS_24const_host_device_scalarIT2_EEPKiS6_PKS3_S8_S4_PS3_21rocsparse_index_base_b.has_indirect_call, 0
	.section	.AMDGPU.csdata,"",@progbits
; Kernel info:
; codeLenInByte = 2120
; TotalNumSgprs: 18
; NumVgprs: 53
; ScratchSize: 0
; MemoryBound: 0
; FloatMode: 240
; IeeeMode: 1
; LDSByteSize: 0 bytes/workgroup (compile time only)
; SGPRBlocks: 0
; VGPRBlocks: 6
; NumSGPRsForWavesPerEU: 18
; NumVGPRsForWavesPerEU: 53
; Occupancy: 16
; WaveLimiterHint : 1
; COMPUTE_PGM_RSRC2:SCRATCH_EN: 0
; COMPUTE_PGM_RSRC2:USER_SGPR: 6
; COMPUTE_PGM_RSRC2:TRAP_HANDLER: 0
; COMPUTE_PGM_RSRC2:TGID_X_EN: 1
; COMPUTE_PGM_RSRC2:TGID_Y_EN: 0
; COMPUTE_PGM_RSRC2:TGID_Z_EN: 0
; COMPUTE_PGM_RSRC2:TIDIG_COMP_CNT: 0
	.section	.text._ZN9rocsparseL19gebsrmvn_2xn_kernelILj128ELj6ELj64EdEEvi20rocsparse_direction_NS_24const_host_device_scalarIT2_EEPKiS6_PKS3_S8_S4_PS3_21rocsparse_index_base_b,"axG",@progbits,_ZN9rocsparseL19gebsrmvn_2xn_kernelILj128ELj6ELj64EdEEvi20rocsparse_direction_NS_24const_host_device_scalarIT2_EEPKiS6_PKS3_S8_S4_PS3_21rocsparse_index_base_b,comdat
	.globl	_ZN9rocsparseL19gebsrmvn_2xn_kernelILj128ELj6ELj64EdEEvi20rocsparse_direction_NS_24const_host_device_scalarIT2_EEPKiS6_PKS3_S8_S4_PS3_21rocsparse_index_base_b ; -- Begin function _ZN9rocsparseL19gebsrmvn_2xn_kernelILj128ELj6ELj64EdEEvi20rocsparse_direction_NS_24const_host_device_scalarIT2_EEPKiS6_PKS3_S8_S4_PS3_21rocsparse_index_base_b
	.p2align	8
	.type	_ZN9rocsparseL19gebsrmvn_2xn_kernelILj128ELj6ELj64EdEEvi20rocsparse_direction_NS_24const_host_device_scalarIT2_EEPKiS6_PKS3_S8_S4_PS3_21rocsparse_index_base_b,@function
_ZN9rocsparseL19gebsrmvn_2xn_kernelILj128ELj6ELj64EdEEvi20rocsparse_direction_NS_24const_host_device_scalarIT2_EEPKiS6_PKS3_S8_S4_PS3_21rocsparse_index_base_b: ; @_ZN9rocsparseL19gebsrmvn_2xn_kernelILj128ELj6ELj64EdEEvi20rocsparse_direction_NS_24const_host_device_scalarIT2_EEPKiS6_PKS3_S8_S4_PS3_21rocsparse_index_base_b
; %bb.0:
	s_clause 0x2
	s_load_dwordx2 s[2:3], s[4:5], 0x40
	s_load_dwordx2 s[8:9], s[4:5], 0x8
	;; [unrolled: 1-line block ×3, first 2 shown]
	s_waitcnt lgkmcnt(0)
	s_bitcmp1_b32 s3, 0
	v_mov_b32_e32 v1, s8
	v_mov_b32_e32 v2, s9
	s_cselect_b32 s3, -1, 0
	s_and_b32 vcc_lo, exec_lo, s3
	s_xor_b32 s3, s3, -1
	s_cbranch_vccnz .LBB100_2
; %bb.1:
	v_mov_b32_e32 v1, s8
	v_mov_b32_e32 v2, s9
	flat_load_dwordx2 v[1:2], v[1:2]
.LBB100_2:
	v_mov_b32_e32 v4, s1
	v_mov_b32_e32 v3, s0
	s_andn2_b32 vcc_lo, exec_lo, s3
	s_cbranch_vccnz .LBB100_4
; %bb.3:
	v_mov_b32_e32 v4, s1
	v_mov_b32_e32 v3, s0
	flat_load_dwordx2 v[3:4], v[3:4]
.LBB100_4:
	s_waitcnt vmcnt(0) lgkmcnt(0)
	v_cmp_neq_f64_e32 vcc_lo, 0, v[1:2]
	v_cmp_neq_f64_e64 s0, 1.0, v[3:4]
	s_or_b32 s0, vcc_lo, s0
	s_and_saveexec_b32 s1, s0
	s_cbranch_execz .LBB100_23
; %bb.5:
	s_load_dwordx2 s[0:1], s[4:5], 0x0
	v_lshrrev_b32_e32 v5, 6, v0
	v_lshl_or_b32 v5, s6, 1, v5
	s_waitcnt lgkmcnt(0)
	v_cmp_gt_i32_e32 vcc_lo, s0, v5
	s_and_b32 exec_lo, exec_lo, vcc_lo
	s_cbranch_execz .LBB100_23
; %bb.6:
	s_load_dwordx8 s[8:15], s[4:5], 0x10
	v_ashrrev_i32_e32 v6, 31, v5
	v_and_b32_e32 v0, 63, v0
	s_cmp_lg_u32 s1, 0
	v_lshlrev_b64 v[6:7], 2, v[5:6]
	s_waitcnt lgkmcnt(0)
	v_add_co_u32 v6, vcc_lo, s8, v6
	v_add_co_ci_u32_e64 v7, null, s9, v7, vcc_lo
	global_load_dwordx2 v[6:7], v[6:7], off
	s_waitcnt vmcnt(0)
	v_subrev_nc_u32_e32 v6, s2, v6
	v_subrev_nc_u32_e32 v16, s2, v7
	v_add_nc_u32_e32 v10, v6, v0
	v_cmp_lt_i32_e64 s0, v10, v16
	s_cbranch_scc0 .LBB100_12
; %bb.7:
	v_mov_b32_e32 v6, 0
	v_mov_b32_e32 v8, 0
	;; [unrolled: 1-line block ×4, first 2 shown]
	s_and_saveexec_b32 s1, s0
	s_cbranch_execz .LBB100_11
; %bb.8:
	v_mad_u64_u32 v[11:12], null, v10, 12, 10
	v_mov_b32_e32 v6, 0
	v_mov_b32_e32 v8, 0
	;; [unrolled: 1-line block ×6, first 2 shown]
	s_mov_b32 s3, 0
.LBB100_9:                              ; =>This Inner Loop Header: Depth=1
	v_ashrrev_i32_e32 v15, 31, v14
	v_add_nc_u32_e32 v12, -10, v11
	v_mov_b32_e32 v42, v13
	v_lshlrev_b64 v[17:18], 2, v[14:15]
	v_add_nc_u32_e32 v14, 64, v14
	v_add_co_u32 v17, vcc_lo, s10, v17
	v_add_co_ci_u32_e64 v18, null, s11, v18, vcc_lo
	global_load_dword v15, v[17:18], off
	v_lshlrev_b64 v[17:18], 3, v[12:13]
	v_add_nc_u32_e32 v12, -6, v11
	v_lshlrev_b64 v[29:30], 3, v[12:13]
	v_add_co_u32 v21, vcc_lo, s12, v17
	v_add_co_ci_u32_e64 v22, null, s13, v18, vcc_lo
	s_waitcnt vmcnt(0)
	v_subrev_nc_u32_e32 v15, s2, v15
	v_mul_lo_u32 v41, v15, 6
	v_lshlrev_b64 v[19:20], 3, v[41:42]
	v_add_nc_u32_e32 v12, 2, v41
	v_lshlrev_b64 v[31:32], 3, v[12:13]
	v_add_co_u32 v25, vcc_lo, s14, v19
	v_add_co_ci_u32_e64 v26, null, s15, v20, vcc_lo
	s_clause 0x1
	global_load_dwordx4 v[17:20], v[21:22], off offset:16
	global_load_dwordx4 v[21:24], v[21:22], off
	global_load_dwordx4 v[25:28], v[25:26], off
	v_add_co_u32 v29, vcc_lo, s12, v29
	v_add_co_ci_u32_e64 v30, null, s13, v30, vcc_lo
	v_add_co_u32 v33, vcc_lo, s14, v31
	v_add_co_ci_u32_e64 v34, null, s15, v32, vcc_lo
	global_load_dwordx4 v[29:32], v[29:30], off
	global_load_dwordx4 v[33:36], v[33:34], off
	v_add_nc_u32_e32 v12, -4, v11
	v_lshlrev_b64 v[37:38], 3, v[12:13]
	v_add_nc_u32_e32 v12, -2, v11
	v_add_co_u32 v37, vcc_lo, s12, v37
	v_add_co_ci_u32_e64 v38, null, s13, v38, vcc_lo
	v_lshlrev_b64 v[42:43], 3, v[12:13]
	v_add_nc_u32_e32 v12, 4, v41
	global_load_dwordx4 v[37:40], v[37:38], off
	v_lshlrev_b64 v[44:45], 3, v[12:13]
	v_add_co_u32 v41, vcc_lo, s12, v42
	v_add_co_ci_u32_e64 v42, null, s13, v43, vcc_lo
	v_mov_b32_e32 v12, v13
	v_add_co_u32 v46, vcc_lo, s14, v44
	v_add_co_ci_u32_e64 v47, null, s15, v45, vcc_lo
	global_load_dwordx4 v[41:44], v[41:42], off
	global_load_dwordx4 v[45:48], v[46:47], off
	v_lshlrev_b64 v[49:50], 3, v[11:12]
	v_add_nc_u32_e32 v11, 0x300, v11
	v_add_co_u32 v49, vcc_lo, s12, v49
	v_add_co_ci_u32_e64 v50, null, s13, v50, vcc_lo
	v_cmp_ge_i32_e32 vcc_lo, v14, v16
	global_load_dwordx4 v[49:52], v[49:50], off
	s_or_b32 s3, vcc_lo, s3
	s_waitcnt vmcnt(6)
	v_fma_f64 v[6:7], v[21:22], v[25:26], v[6:7]
	v_fma_f64 v[8:9], v[23:24], v[25:26], v[8:9]
	;; [unrolled: 1-line block ×4, first 2 shown]
	s_waitcnt vmcnt(4)
	v_fma_f64 v[6:7], v[29:30], v[33:34], v[6:7]
	v_fma_f64 v[8:9], v[31:32], v[33:34], v[8:9]
	s_waitcnt vmcnt(3)
	v_fma_f64 v[6:7], v[37:38], v[35:36], v[6:7]
	v_fma_f64 v[8:9], v[39:40], v[35:36], v[8:9]
	;; [unrolled: 3-line block ×4, first 2 shown]
	s_andn2_b32 exec_lo, exec_lo, s3
	s_cbranch_execnz .LBB100_9
; %bb.10:
	s_or_b32 exec_lo, exec_lo, s3
.LBB100_11:
	s_or_b32 exec_lo, exec_lo, s1
	s_cbranch_execz .LBB100_13
	s_branch .LBB100_18
.LBB100_12:
                                        ; implicit-def: $vgpr6_vgpr7
                                        ; implicit-def: $vgpr8_vgpr9
.LBB100_13:
	v_mov_b32_e32 v6, 0
	v_mov_b32_e32 v8, 0
	;; [unrolled: 1-line block ×4, first 2 shown]
	s_and_saveexec_b32 s1, s0
	s_cbranch_execz .LBB100_17
; %bb.14:
	v_mad_u64_u32 v[12:13], null, v10, 12, 11
	v_mov_b32_e32 v6, 0
	v_mov_b32_e32 v8, 0
	;; [unrolled: 1-line block ×5, first 2 shown]
	s_mov_b32 s0, 0
.LBB100_15:                             ; =>This Inner Loop Header: Depth=1
	v_ashrrev_i32_e32 v11, 31, v10
	v_add_nc_u32_e32 v13, -11, v12
	v_mov_b32_e32 v34, v14
	v_lshlrev_b64 v[17:18], 2, v[10:11]
	v_lshlrev_b64 v[19:20], 3, v[13:14]
	v_add_nc_u32_e32 v13, -4, v12
	v_add_nc_u32_e32 v10, 64, v10
	v_add_co_u32 v17, vcc_lo, s10, v17
	v_add_co_ci_u32_e64 v18, null, s11, v18, vcc_lo
	v_add_co_u32 v21, vcc_lo, s12, v19
	v_add_co_ci_u32_e64 v22, null, s13, v20, vcc_lo
	global_load_dword v11, v[17:18], off
	v_add_nc_u32_e32 v17, -5, v12
	v_mov_b32_e32 v18, v14
	v_lshlrev_b64 v[29:30], 3, v[13:14]
	v_lshlrev_b64 v[17:18], 3, v[17:18]
	v_add_co_u32 v25, vcc_lo, s12, v17
	v_add_co_ci_u32_e64 v26, null, s13, v18, vcc_lo
	s_waitcnt vmcnt(0)
	v_subrev_nc_u32_e32 v11, s2, v11
	v_mul_lo_u32 v33, v11, 6
	v_lshlrev_b64 v[19:20], 3, v[33:34]
	v_add_nc_u32_e32 v13, 2, v33
	v_add_co_u32 v27, vcc_lo, s14, v19
	v_add_co_ci_u32_e64 v28, null, s15, v20, vcc_lo
	s_clause 0x2
	global_load_dwordx4 v[17:20], v[21:22], off offset:16
	global_load_dwordx4 v[21:24], v[21:22], off
	global_load_dwordx2 v[37:38], v[25:26], off
	global_load_dwordx4 v[25:28], v[27:28], off
	v_add_co_u32 v29, vcc_lo, s12, v29
	v_add_co_ci_u32_e64 v30, null, s13, v30, vcc_lo
	global_load_dwordx2 v[39:40], v[29:30], off
	v_lshlrev_b64 v[29:30], 3, v[13:14]
	v_add_nc_u32_e32 v13, -3, v12
	v_lshlrev_b64 v[31:32], 3, v[13:14]
	v_add_co_u32 v29, vcc_lo, s14, v29
	v_add_co_ci_u32_e64 v30, null, s15, v30, vcc_lo
	v_add_nc_u32_e32 v13, -2, v12
	v_add_co_u32 v34, vcc_lo, s12, v31
	v_add_co_ci_u32_e64 v35, null, s13, v32, vcc_lo
	global_load_dwordx4 v[29:32], v[29:30], off
	global_load_dwordx2 v[41:42], v[34:35], off
	v_lshlrev_b64 v[34:35], 3, v[13:14]
	v_add_nc_u32_e32 v13, -7, v12
	v_add_co_u32 v34, vcc_lo, s12, v34
	v_add_co_ci_u32_e64 v35, null, s13, v35, vcc_lo
	v_lshlrev_b64 v[43:44], 3, v[13:14]
	v_add_nc_u32_e32 v13, 4, v33
	global_load_dwordx2 v[45:46], v[34:35], off
	v_lshlrev_b64 v[33:34], 3, v[13:14]
	v_add_nc_u32_e32 v13, -1, v12
	v_add_co_u32 v35, vcc_lo, s12, v43
	v_add_co_ci_u32_e64 v36, null, s13, v44, vcc_lo
	v_lshlrev_b64 v[43:44], 3, v[13:14]
	v_add_co_u32 v33, vcc_lo, s14, v33
	v_add_co_ci_u32_e64 v34, null, s15, v34, vcc_lo
	v_mov_b32_e32 v13, v14
	v_add_co_u32 v43, vcc_lo, s12, v43
	v_add_co_ci_u32_e64 v44, null, s13, v44, vcc_lo
	global_load_dwordx2 v[47:48], v[35:36], off
	global_load_dwordx4 v[33:36], v[33:34], off
	global_load_dwordx2 v[43:44], v[43:44], off
	v_lshlrev_b64 v[49:50], 3, v[12:13]
	v_add_nc_u32_e32 v13, -6, v12
	v_add_nc_u32_e32 v12, 0x300, v12
	v_lshlrev_b64 v[51:52], 3, v[13:14]
	v_add_co_u32 v49, vcc_lo, s12, v49
	v_add_co_ci_u32_e64 v50, null, s13, v50, vcc_lo
	v_add_co_u32 v51, vcc_lo, s12, v51
	v_add_co_ci_u32_e64 v52, null, s13, v52, vcc_lo
	s_clause 0x1
	global_load_dwordx2 v[51:52], v[51:52], off
	global_load_dwordx2 v[49:50], v[49:50], off
	v_cmp_ge_i32_e32 vcc_lo, v10, v16
	s_or_b32 s0, vcc_lo, s0
	s_waitcnt vmcnt(9)
	v_fma_f64 v[6:7], v[21:22], v[25:26], v[6:7]
	v_fma_f64 v[8:9], v[37:38], v[25:26], v[8:9]
	;; [unrolled: 1-line block ×3, first 2 shown]
	s_waitcnt vmcnt(8)
	v_fma_f64 v[8:9], v[39:40], v[27:28], v[8:9]
	s_waitcnt vmcnt(7)
	v_fma_f64 v[6:7], v[17:18], v[29:30], v[6:7]
	;; [unrolled: 2-line block ×3, first 2 shown]
	v_fma_f64 v[6:7], v[19:20], v[31:32], v[6:7]
	s_waitcnt vmcnt(5)
	v_fma_f64 v[8:9], v[45:46], v[31:32], v[8:9]
	s_waitcnt vmcnt(3)
	;; [unrolled: 2-line block ×5, first 2 shown]
	v_fma_f64 v[8:9], v[49:50], v[35:36], v[8:9]
	s_andn2_b32 exec_lo, exec_lo, s0
	s_cbranch_execnz .LBB100_15
; %bb.16:
	s_or_b32 exec_lo, exec_lo, s0
.LBB100_17:
	s_or_b32 exec_lo, exec_lo, s1
.LBB100_18:
	v_mbcnt_lo_u32_b32 v14, -1, 0
	v_or_b32_e32 v10, 32, v14
	v_cmp_gt_i32_e32 vcc_lo, 32, v10
	v_cndmask_b32_e32 v10, v14, v10, vcc_lo
	v_lshlrev_b32_e32 v13, 2, v10
	ds_bpermute_b32 v10, v13, v6
	ds_bpermute_b32 v11, v13, v7
	ds_bpermute_b32 v12, v13, v8
	ds_bpermute_b32 v13, v13, v9
	s_waitcnt lgkmcnt(2)
	v_add_f64 v[6:7], v[6:7], v[10:11]
	v_xor_b32_e32 v10, 16, v14
	s_waitcnt lgkmcnt(0)
	v_add_f64 v[8:9], v[8:9], v[12:13]
	v_cmp_gt_i32_e32 vcc_lo, 32, v10
	v_cndmask_b32_e32 v10, v14, v10, vcc_lo
	v_lshlrev_b32_e32 v13, 2, v10
	ds_bpermute_b32 v10, v13, v6
	ds_bpermute_b32 v11, v13, v7
	ds_bpermute_b32 v12, v13, v8
	ds_bpermute_b32 v13, v13, v9
	s_waitcnt lgkmcnt(2)
	v_add_f64 v[6:7], v[6:7], v[10:11]
	v_xor_b32_e32 v10, 8, v14
	s_waitcnt lgkmcnt(0)
	v_add_f64 v[8:9], v[8:9], v[12:13]
	;; [unrolled: 12-line block ×4, first 2 shown]
	v_cmp_gt_i32_e32 vcc_lo, 32, v10
	v_cndmask_b32_e32 v10, v14, v10, vcc_lo
	v_lshlrev_b32_e32 v13, 2, v10
	ds_bpermute_b32 v10, v13, v6
	ds_bpermute_b32 v11, v13, v7
	;; [unrolled: 1-line block ×4, first 2 shown]
	s_waitcnt lgkmcnt(2)
	v_add_f64 v[6:7], v[6:7], v[10:11]
	s_waitcnt lgkmcnt(0)
	v_add_f64 v[10:11], v[8:9], v[12:13]
	v_xor_b32_e32 v8, 1, v14
	v_cmp_gt_i32_e32 vcc_lo, 32, v8
	v_cndmask_b32_e32 v8, v14, v8, vcc_lo
	v_cmp_eq_u32_e32 vcc_lo, 63, v0
	v_lshlrev_b32_e32 v13, 2, v8
	ds_bpermute_b32 v8, v13, v6
	ds_bpermute_b32 v9, v13, v7
	;; [unrolled: 1-line block ×4, first 2 shown]
	s_and_b32 exec_lo, exec_lo, vcc_lo
	s_cbranch_execz .LBB100_23
; %bb.19:
	s_waitcnt lgkmcnt(2)
	v_add_f64 v[8:9], v[6:7], v[8:9]
	s_waitcnt lgkmcnt(0)
	v_add_f64 v[6:7], v[10:11], v[12:13]
	s_load_dwordx2 s[0:1], s[4:5], 0x38
	s_mov_b32 s2, exec_lo
	v_cmpx_eq_f64_e32 0, v[3:4]
	s_xor_b32 s2, exec_lo, s2
	s_cbranch_execz .LBB100_21
; %bb.20:
	v_lshlrev_b32_e32 v0, 1, v5
	v_mul_f64 v[3:4], v[1:2], v[8:9]
	v_mul_f64 v[5:6], v[1:2], v[6:7]
                                        ; implicit-def: $vgpr8_vgpr9
	v_ashrrev_i32_e32 v1, 31, v0
	v_lshlrev_b64 v[0:1], 3, v[0:1]
	s_waitcnt lgkmcnt(0)
	v_add_co_u32 v0, vcc_lo, s0, v0
	v_add_co_ci_u32_e64 v1, null, s1, v1, vcc_lo
	global_store_dwordx4 v[0:1], v[3:6], off
                                        ; implicit-def: $vgpr5
                                        ; implicit-def: $vgpr1_vgpr2
                                        ; implicit-def: $vgpr3_vgpr4
                                        ; implicit-def: $vgpr6_vgpr7
.LBB100_21:
	s_andn2_saveexec_b32 s2, s2
	s_cbranch_execz .LBB100_23
; %bb.22:
	v_lshlrev_b32_e32 v10, 1, v5
	v_mul_f64 v[8:9], v[1:2], v[8:9]
	v_mul_f64 v[5:6], v[1:2], v[6:7]
	v_ashrrev_i32_e32 v11, 31, v10
	v_lshlrev_b64 v[10:11], 3, v[10:11]
	s_waitcnt lgkmcnt(0)
	v_add_co_u32 v14, vcc_lo, s0, v10
	v_add_co_ci_u32_e64 v15, null, s1, v11, vcc_lo
	global_load_dwordx4 v[10:13], v[14:15], off
	s_waitcnt vmcnt(0)
	v_fma_f64 v[0:1], v[3:4], v[10:11], v[8:9]
	v_fma_f64 v[2:3], v[3:4], v[12:13], v[5:6]
	global_store_dwordx4 v[14:15], v[0:3], off
.LBB100_23:
	s_endpgm
	.section	.rodata,"a",@progbits
	.p2align	6, 0x0
	.amdhsa_kernel _ZN9rocsparseL19gebsrmvn_2xn_kernelILj128ELj6ELj64EdEEvi20rocsparse_direction_NS_24const_host_device_scalarIT2_EEPKiS6_PKS3_S8_S4_PS3_21rocsparse_index_base_b
		.amdhsa_group_segment_fixed_size 0
		.amdhsa_private_segment_fixed_size 0
		.amdhsa_kernarg_size 72
		.amdhsa_user_sgpr_count 6
		.amdhsa_user_sgpr_private_segment_buffer 1
		.amdhsa_user_sgpr_dispatch_ptr 0
		.amdhsa_user_sgpr_queue_ptr 0
		.amdhsa_user_sgpr_kernarg_segment_ptr 1
		.amdhsa_user_sgpr_dispatch_id 0
		.amdhsa_user_sgpr_flat_scratch_init 0
		.amdhsa_user_sgpr_private_segment_size 0
		.amdhsa_wavefront_size32 1
		.amdhsa_uses_dynamic_stack 0
		.amdhsa_system_sgpr_private_segment_wavefront_offset 0
		.amdhsa_system_sgpr_workgroup_id_x 1
		.amdhsa_system_sgpr_workgroup_id_y 0
		.amdhsa_system_sgpr_workgroup_id_z 0
		.amdhsa_system_sgpr_workgroup_info 0
		.amdhsa_system_vgpr_workitem_id 0
		.amdhsa_next_free_vgpr 53
		.amdhsa_next_free_sgpr 16
		.amdhsa_reserve_vcc 1
		.amdhsa_reserve_flat_scratch 0
		.amdhsa_float_round_mode_32 0
		.amdhsa_float_round_mode_16_64 0
		.amdhsa_float_denorm_mode_32 3
		.amdhsa_float_denorm_mode_16_64 3
		.amdhsa_dx10_clamp 1
		.amdhsa_ieee_mode 1
		.amdhsa_fp16_overflow 0
		.amdhsa_workgroup_processor_mode 1
		.amdhsa_memory_ordered 1
		.amdhsa_forward_progress 1
		.amdhsa_shared_vgpr_count 0
		.amdhsa_exception_fp_ieee_invalid_op 0
		.amdhsa_exception_fp_denorm_src 0
		.amdhsa_exception_fp_ieee_div_zero 0
		.amdhsa_exception_fp_ieee_overflow 0
		.amdhsa_exception_fp_ieee_underflow 0
		.amdhsa_exception_fp_ieee_inexact 0
		.amdhsa_exception_int_div_zero 0
	.end_amdhsa_kernel
	.section	.text._ZN9rocsparseL19gebsrmvn_2xn_kernelILj128ELj6ELj64EdEEvi20rocsparse_direction_NS_24const_host_device_scalarIT2_EEPKiS6_PKS3_S8_S4_PS3_21rocsparse_index_base_b,"axG",@progbits,_ZN9rocsparseL19gebsrmvn_2xn_kernelILj128ELj6ELj64EdEEvi20rocsparse_direction_NS_24const_host_device_scalarIT2_EEPKiS6_PKS3_S8_S4_PS3_21rocsparse_index_base_b,comdat
.Lfunc_end100:
	.size	_ZN9rocsparseL19gebsrmvn_2xn_kernelILj128ELj6ELj64EdEEvi20rocsparse_direction_NS_24const_host_device_scalarIT2_EEPKiS6_PKS3_S8_S4_PS3_21rocsparse_index_base_b, .Lfunc_end100-_ZN9rocsparseL19gebsrmvn_2xn_kernelILj128ELj6ELj64EdEEvi20rocsparse_direction_NS_24const_host_device_scalarIT2_EEPKiS6_PKS3_S8_S4_PS3_21rocsparse_index_base_b
                                        ; -- End function
	.set _ZN9rocsparseL19gebsrmvn_2xn_kernelILj128ELj6ELj64EdEEvi20rocsparse_direction_NS_24const_host_device_scalarIT2_EEPKiS6_PKS3_S8_S4_PS3_21rocsparse_index_base_b.num_vgpr, 53
	.set _ZN9rocsparseL19gebsrmvn_2xn_kernelILj128ELj6ELj64EdEEvi20rocsparse_direction_NS_24const_host_device_scalarIT2_EEPKiS6_PKS3_S8_S4_PS3_21rocsparse_index_base_b.num_agpr, 0
	.set _ZN9rocsparseL19gebsrmvn_2xn_kernelILj128ELj6ELj64EdEEvi20rocsparse_direction_NS_24const_host_device_scalarIT2_EEPKiS6_PKS3_S8_S4_PS3_21rocsparse_index_base_b.numbered_sgpr, 16
	.set _ZN9rocsparseL19gebsrmvn_2xn_kernelILj128ELj6ELj64EdEEvi20rocsparse_direction_NS_24const_host_device_scalarIT2_EEPKiS6_PKS3_S8_S4_PS3_21rocsparse_index_base_b.num_named_barrier, 0
	.set _ZN9rocsparseL19gebsrmvn_2xn_kernelILj128ELj6ELj64EdEEvi20rocsparse_direction_NS_24const_host_device_scalarIT2_EEPKiS6_PKS3_S8_S4_PS3_21rocsparse_index_base_b.private_seg_size, 0
	.set _ZN9rocsparseL19gebsrmvn_2xn_kernelILj128ELj6ELj64EdEEvi20rocsparse_direction_NS_24const_host_device_scalarIT2_EEPKiS6_PKS3_S8_S4_PS3_21rocsparse_index_base_b.uses_vcc, 1
	.set _ZN9rocsparseL19gebsrmvn_2xn_kernelILj128ELj6ELj64EdEEvi20rocsparse_direction_NS_24const_host_device_scalarIT2_EEPKiS6_PKS3_S8_S4_PS3_21rocsparse_index_base_b.uses_flat_scratch, 0
	.set _ZN9rocsparseL19gebsrmvn_2xn_kernelILj128ELj6ELj64EdEEvi20rocsparse_direction_NS_24const_host_device_scalarIT2_EEPKiS6_PKS3_S8_S4_PS3_21rocsparse_index_base_b.has_dyn_sized_stack, 0
	.set _ZN9rocsparseL19gebsrmvn_2xn_kernelILj128ELj6ELj64EdEEvi20rocsparse_direction_NS_24const_host_device_scalarIT2_EEPKiS6_PKS3_S8_S4_PS3_21rocsparse_index_base_b.has_recursion, 0
	.set _ZN9rocsparseL19gebsrmvn_2xn_kernelILj128ELj6ELj64EdEEvi20rocsparse_direction_NS_24const_host_device_scalarIT2_EEPKiS6_PKS3_S8_S4_PS3_21rocsparse_index_base_b.has_indirect_call, 0
	.section	.AMDGPU.csdata,"",@progbits
; Kernel info:
; codeLenInByte = 2192
; TotalNumSgprs: 18
; NumVgprs: 53
; ScratchSize: 0
; MemoryBound: 0
; FloatMode: 240
; IeeeMode: 1
; LDSByteSize: 0 bytes/workgroup (compile time only)
; SGPRBlocks: 0
; VGPRBlocks: 6
; NumSGPRsForWavesPerEU: 18
; NumVGPRsForWavesPerEU: 53
; Occupancy: 16
; WaveLimiterHint : 1
; COMPUTE_PGM_RSRC2:SCRATCH_EN: 0
; COMPUTE_PGM_RSRC2:USER_SGPR: 6
; COMPUTE_PGM_RSRC2:TRAP_HANDLER: 0
; COMPUTE_PGM_RSRC2:TGID_X_EN: 1
; COMPUTE_PGM_RSRC2:TGID_Y_EN: 0
; COMPUTE_PGM_RSRC2:TGID_Z_EN: 0
; COMPUTE_PGM_RSRC2:TIDIG_COMP_CNT: 0
	.section	.text._ZN9rocsparseL19gebsrmvn_2xn_kernelILj128ELj7ELj4EdEEvi20rocsparse_direction_NS_24const_host_device_scalarIT2_EEPKiS6_PKS3_S8_S4_PS3_21rocsparse_index_base_b,"axG",@progbits,_ZN9rocsparseL19gebsrmvn_2xn_kernelILj128ELj7ELj4EdEEvi20rocsparse_direction_NS_24const_host_device_scalarIT2_EEPKiS6_PKS3_S8_S4_PS3_21rocsparse_index_base_b,comdat
	.globl	_ZN9rocsparseL19gebsrmvn_2xn_kernelILj128ELj7ELj4EdEEvi20rocsparse_direction_NS_24const_host_device_scalarIT2_EEPKiS6_PKS3_S8_S4_PS3_21rocsparse_index_base_b ; -- Begin function _ZN9rocsparseL19gebsrmvn_2xn_kernelILj128ELj7ELj4EdEEvi20rocsparse_direction_NS_24const_host_device_scalarIT2_EEPKiS6_PKS3_S8_S4_PS3_21rocsparse_index_base_b
	.p2align	8
	.type	_ZN9rocsparseL19gebsrmvn_2xn_kernelILj128ELj7ELj4EdEEvi20rocsparse_direction_NS_24const_host_device_scalarIT2_EEPKiS6_PKS3_S8_S4_PS3_21rocsparse_index_base_b,@function
_ZN9rocsparseL19gebsrmvn_2xn_kernelILj128ELj7ELj4EdEEvi20rocsparse_direction_NS_24const_host_device_scalarIT2_EEPKiS6_PKS3_S8_S4_PS3_21rocsparse_index_base_b: ; @_ZN9rocsparseL19gebsrmvn_2xn_kernelILj128ELj7ELj4EdEEvi20rocsparse_direction_NS_24const_host_device_scalarIT2_EEPKiS6_PKS3_S8_S4_PS3_21rocsparse_index_base_b
; %bb.0:
	s_clause 0x2
	s_load_dwordx2 s[2:3], s[4:5], 0x40
	s_load_dwordx2 s[8:9], s[4:5], 0x8
	;; [unrolled: 1-line block ×3, first 2 shown]
	s_waitcnt lgkmcnt(0)
	s_bitcmp1_b32 s3, 0
	v_mov_b32_e32 v1, s8
	v_mov_b32_e32 v2, s9
	s_cselect_b32 s3, -1, 0
	s_and_b32 vcc_lo, exec_lo, s3
	s_xor_b32 s3, s3, -1
	s_cbranch_vccnz .LBB101_2
; %bb.1:
	v_mov_b32_e32 v1, s8
	v_mov_b32_e32 v2, s9
	flat_load_dwordx2 v[1:2], v[1:2]
.LBB101_2:
	v_mov_b32_e32 v4, s1
	v_mov_b32_e32 v3, s0
	s_andn2_b32 vcc_lo, exec_lo, s3
	s_cbranch_vccnz .LBB101_4
; %bb.3:
	v_mov_b32_e32 v4, s1
	v_mov_b32_e32 v3, s0
	flat_load_dwordx2 v[3:4], v[3:4]
.LBB101_4:
	s_waitcnt vmcnt(0) lgkmcnt(0)
	v_cmp_neq_f64_e32 vcc_lo, 0, v[1:2]
	v_cmp_neq_f64_e64 s0, 1.0, v[3:4]
	s_or_b32 s0, vcc_lo, s0
	s_and_saveexec_b32 s1, s0
	s_cbranch_execz .LBB101_23
; %bb.5:
	s_load_dwordx2 s[0:1], s[4:5], 0x0
	v_lshrrev_b32_e32 v5, 2, v0
	v_lshl_or_b32 v5, s6, 5, v5
	s_waitcnt lgkmcnt(0)
	v_cmp_gt_i32_e32 vcc_lo, s0, v5
	s_and_b32 exec_lo, exec_lo, vcc_lo
	s_cbranch_execz .LBB101_23
; %bb.6:
	s_load_dwordx8 s[8:15], s[4:5], 0x10
	v_ashrrev_i32_e32 v6, 31, v5
	v_and_b32_e32 v0, 3, v0
	s_cmp_lg_u32 s1, 0
	v_lshlrev_b64 v[6:7], 2, v[5:6]
	s_waitcnt lgkmcnt(0)
	v_add_co_u32 v6, vcc_lo, s8, v6
	v_add_co_ci_u32_e64 v7, null, s9, v7, vcc_lo
	global_load_dwordx2 v[6:7], v[6:7], off
	s_waitcnt vmcnt(0)
	v_subrev_nc_u32_e32 v6, s2, v6
	v_subrev_nc_u32_e32 v17, s2, v7
	v_add_nc_u32_e32 v6, v6, v0
	v_cmp_lt_i32_e64 s0, v6, v17
	s_cbranch_scc0 .LBB101_12
; %bb.7:
	v_mov_b32_e32 v8, 0
	v_mov_b32_e32 v10, 0
	;; [unrolled: 1-line block ×4, first 2 shown]
	s_and_saveexec_b32 s3, s0
	s_cbranch_execz .LBB101_11
; %bb.8:
	v_mad_u64_u32 v[12:13], null, v6, 14, 12
	v_mov_b32_e32 v8, 0
	v_mov_b32_e32 v10, 0
	;; [unrolled: 1-line block ×6, first 2 shown]
	s_mov_b32 s6, 0
.LBB101_9:                              ; =>This Inner Loop Header: Depth=1
	v_ashrrev_i32_e32 v16, 31, v15
	v_add_nc_u32_e32 v13, -12, v12
	v_mov_b32_e32 v43, v14
	v_lshlrev_b64 v[18:19], 2, v[15:16]
	v_add_nc_u32_e32 v15, 4, v15
	v_add_co_u32 v18, vcc_lo, s10, v18
	v_add_co_ci_u32_e64 v19, null, s11, v19, vcc_lo
	global_load_dword v7, v[18:19], off
	v_lshlrev_b64 v[18:19], 3, v[13:14]
	v_add_nc_u32_e32 v13, -10, v12
	v_lshlrev_b64 v[20:21], 3, v[13:14]
	v_add_co_u32 v18, vcc_lo, s12, v18
	v_add_co_ci_u32_e64 v19, null, s13, v19, vcc_lo
	v_add_co_u32 v22, vcc_lo, s12, v20
	s_waitcnt vmcnt(0)
	v_subrev_nc_u32_e32 v7, s2, v7
	v_mul_lo_u32 v42, v7, 7
	v_lshlrev_b64 v[23:24], 3, v[42:43]
	v_add_nc_u32_e32 v13, 1, v42
	v_add_co_u32 v26, s1, s14, v23
	v_add_co_ci_u32_e64 v23, null, s13, v21, vcc_lo
	v_add_co_ci_u32_e64 v27, null, s15, v24, s1
	s_clause 0x1
	global_load_dwordx4 v[18:21], v[18:19], off
	global_load_dwordx4 v[22:25], v[22:23], off
	global_load_dwordx2 v[46:47], v[26:27], off
	v_lshlrev_b64 v[26:27], 3, v[13:14]
	v_add_nc_u32_e32 v13, -8, v12
	v_lshlrev_b64 v[28:29], 3, v[13:14]
	v_add_co_u32 v26, vcc_lo, s14, v26
	v_add_co_ci_u32_e64 v27, null, s15, v27, vcc_lo
	v_add_nc_u32_e32 v13, 2, v42
	v_add_co_u32 v28, vcc_lo, s12, v28
	global_load_dwordx2 v[48:49], v[26:27], off
	v_add_co_ci_u32_e64 v29, null, s13, v29, vcc_lo
	v_lshlrev_b64 v[26:27], 3, v[13:14]
	v_add_nc_u32_e32 v13, -6, v12
	v_add_co_u32 v30, vcc_lo, s14, v26
	v_add_co_ci_u32_e64 v31, null, s15, v27, vcc_lo
	global_load_dwordx4 v[26:29], v[28:29], off
	global_load_dwordx2 v[50:51], v[30:31], off
	v_lshlrev_b64 v[32:33], 3, v[13:14]
	v_add_nc_u32_e32 v13, 3, v42
	v_lshlrev_b64 v[30:31], 3, v[13:14]
	v_add_co_u32 v32, vcc_lo, s12, v32
	v_add_co_ci_u32_e64 v33, null, s13, v33, vcc_lo
	v_add_nc_u32_e32 v13, -4, v12
	v_add_co_u32 v34, vcc_lo, s14, v30
	v_add_co_ci_u32_e64 v35, null, s15, v31, vcc_lo
	global_load_dwordx4 v[30:33], v[32:33], off
	global_load_dwordx2 v[52:53], v[34:35], off
	v_lshlrev_b64 v[36:37], 3, v[13:14]
	v_add_nc_u32_e32 v13, 4, v42
	v_lshlrev_b64 v[34:35], 3, v[13:14]
	v_add_co_u32 v36, vcc_lo, s12, v36
	v_add_co_ci_u32_e64 v37, null, s13, v37, vcc_lo
	;; [unrolled: 10-line block ×3, first 2 shown]
	v_mov_b32_e32 v13, v14
	v_add_co_u32 v43, vcc_lo, s14, v40
	v_add_co_ci_u32_e64 v44, null, s15, v41, vcc_lo
	global_load_dwordx4 v[38:41], v[38:39], off
	global_load_dwordx2 v[56:57], v[43:44], off
	v_lshlrev_b64 v[43:44], 3, v[12:13]
	v_add_nc_u32_e32 v13, 6, v42
	v_add_nc_u32_e32 v12, 56, v12
	v_lshlrev_b64 v[58:59], 3, v[13:14]
	v_add_co_u32 v42, vcc_lo, s12, v43
	v_add_co_ci_u32_e64 v43, null, s13, v44, vcc_lo
	v_add_co_u32 v58, vcc_lo, s14, v58
	v_add_co_ci_u32_e64 v59, null, s15, v59, vcc_lo
	global_load_dwordx4 v[42:45], v[42:43], off
	global_load_dwordx2 v[58:59], v[58:59], off
	v_cmp_ge_i32_e32 vcc_lo, v15, v17
	s_or_b32 s6, vcc_lo, s6
	s_waitcnt vmcnt(11)
	v_fma_f64 v[7:8], v[18:19], v[46:47], v[8:9]
	v_fma_f64 v[9:10], v[20:21], v[46:47], v[10:11]
	s_waitcnt vmcnt(10)
	v_fma_f64 v[7:8], v[22:23], v[48:49], v[7:8]
	v_fma_f64 v[9:10], v[24:25], v[48:49], v[9:10]
	;; [unrolled: 3-line block ×7, first 2 shown]
	s_andn2_b32 exec_lo, exec_lo, s6
	s_cbranch_execnz .LBB101_9
; %bb.10:
	s_or_b32 exec_lo, exec_lo, s6
.LBB101_11:
	s_or_b32 exec_lo, exec_lo, s3
	s_cbranch_execz .LBB101_13
	s_branch .LBB101_18
.LBB101_12:
                                        ; implicit-def: $vgpr8_vgpr9
                                        ; implicit-def: $vgpr10_vgpr11
.LBB101_13:
	v_mov_b32_e32 v8, 0
	v_mov_b32_e32 v10, 0
	;; [unrolled: 1-line block ×4, first 2 shown]
	s_and_saveexec_b32 s1, s0
	s_cbranch_execz .LBB101_17
; %bb.14:
	v_mad_u64_u32 v[12:13], null, v6, 14, 13
	v_mov_b32_e32 v8, 0
	v_mov_b32_e32 v10, 0
	;; [unrolled: 1-line block ×5, first 2 shown]
	s_mov_b32 s3, 0
.LBB101_15:                             ; =>This Inner Loop Header: Depth=1
	v_ashrrev_i32_e32 v7, 31, v6
	v_add_nc_u32_e32 v18, -6, v12
	v_mov_b32_e32 v23, v15
	v_mov_b32_e32 v19, v15
	v_lshlrev_b64 v[13:14], 2, v[6:7]
	v_add_nc_u32_e32 v6, 4, v6
	v_lshlrev_b64 v[18:19], 3, v[18:19]
	v_add_co_u32 v13, vcc_lo, s10, v13
	v_add_co_ci_u32_e64 v14, null, s11, v14, vcc_lo
	global_load_dword v7, v[13:14], off
	v_add_nc_u32_e32 v14, -13, v12
	v_mov_b32_e32 v13, v15
	v_lshlrev_b64 v[20:21], 3, v[14:15]
	v_lshlrev_b64 v[24:25], 3, v[12:13]
	v_add_co_u32 v13, vcc_lo, s12, v20
	v_add_co_ci_u32_e64 v14, null, s13, v21, vcc_lo
	v_add_co_u32 v26, vcc_lo, s12, v18
	v_add_co_ci_u32_e64 v27, null, s13, v19, vcc_lo
	s_clause 0x1
	global_load_dwordx4 v[18:21], v[13:14], off
	global_load_dwordx2 v[26:27], v[26:27], off
	v_add_co_u32 v24, vcc_lo, s12, v24
	v_add_co_ci_u32_e64 v25, null, s13, v25, vcc_lo
	s_waitcnt vmcnt(2)
	v_subrev_nc_u32_e32 v7, s2, v7
	v_mul_lo_u32 v22, v7, 7
	v_lshlrev_b64 v[28:29], 3, v[22:23]
	v_add_nc_u32_e32 v14, 1, v22
	v_lshlrev_b64 v[30:31], 3, v[14:15]
	v_add_co_u32 v28, s0, s14, v28
	v_add_co_ci_u32_e64 v29, null, s15, v29, s0
	v_add_nc_u32_e32 v14, -5, v12
	v_add_co_u32 v30, s0, s14, v30
	global_load_dwordx2 v[28:29], v[28:29], off
	v_add_co_ci_u32_e64 v31, null, s15, v31, s0
	v_lshlrev_b64 v[32:33], 3, v[14:15]
	v_add_nc_u32_e32 v14, -11, v12
	global_load_dwordx2 v[30:31], v[30:31], off
	v_add_co_u32 v32, s0, s12, v32
	v_add_co_ci_u32_e64 v33, null, s13, v33, s0
	v_lshlrev_b64 v[34:35], 3, v[14:15]
	v_add_nc_u32_e32 v14, 2, v22
	global_load_dwordx2 v[32:33], v[32:33], off
	v_lshlrev_b64 v[36:37], 3, v[14:15]
	v_add_nc_u32_e32 v14, -4, v12
	v_add_co_u32 v34, s0, s12, v34
	v_add_co_ci_u32_e64 v35, null, s13, v35, s0
	v_lshlrev_b64 v[38:39], 3, v[14:15]
	v_add_co_u32 v36, s0, s14, v36
	v_add_co_ci_u32_e64 v37, null, s15, v37, s0
	v_add_nc_u32_e32 v14, -10, v12
	v_add_co_u32 v38, s0, s12, v38
	v_add_co_ci_u32_e64 v39, null, s13, v39, s0
	v_lshlrev_b64 v[40:41], 3, v[14:15]
	v_add_nc_u32_e32 v14, 3, v22
	global_load_dwordx2 v[34:35], v[34:35], off
	global_load_dwordx2 v[36:37], v[36:37], off
	;; [unrolled: 1-line block ×3, first 2 shown]
	v_lshlrev_b64 v[42:43], 3, v[14:15]
	v_add_nc_u32_e32 v14, -3, v12
	v_add_co_u32 v40, s0, s12, v40
	v_add_co_ci_u32_e64 v41, null, s13, v41, s0
	v_lshlrev_b64 v[44:45], 3, v[14:15]
	v_add_co_u32 v42, s0, s14, v42
	v_add_co_ci_u32_e64 v43, null, s15, v43, s0
	v_add_nc_u32_e32 v14, -9, v12
	v_add_co_u32 v44, s0, s12, v44
	v_add_co_ci_u32_e64 v45, null, s13, v45, s0
	v_lshlrev_b64 v[46:47], 3, v[14:15]
	v_add_nc_u32_e32 v14, 4, v22
	global_load_dwordx2 v[40:41], v[40:41], off
	global_load_dwordx2 v[42:43], v[42:43], off
	;; [unrolled: 1-line block ×3, first 2 shown]
	v_lshlrev_b64 v[48:49], 3, v[14:15]
	v_add_nc_u32_e32 v14, -2, v12
	v_add_co_u32 v46, s0, s12, v46
	v_add_co_ci_u32_e64 v47, null, s13, v47, s0
	v_lshlrev_b64 v[50:51], 3, v[14:15]
	v_add_co_u32 v48, s0, s14, v48
	v_add_co_ci_u32_e64 v49, null, s15, v49, s0
	v_add_nc_u32_e32 v14, -8, v12
	v_add_co_u32 v50, s0, s12, v50
	v_add_co_ci_u32_e64 v51, null, s13, v51, s0
	global_load_dwordx2 v[46:47], v[46:47], off
	v_lshlrev_b64 v[52:53], 3, v[14:15]
	v_add_nc_u32_e32 v14, 5, v22
	global_load_dwordx2 v[48:49], v[48:49], off
	global_load_dwordx2 v[50:51], v[50:51], off
	v_lshlrev_b64 v[54:55], 3, v[14:15]
	v_add_nc_u32_e32 v14, -1, v12
	v_add_co_u32 v52, s0, s12, v52
	v_add_co_ci_u32_e64 v53, null, s13, v53, s0
	v_lshlrev_b64 v[13:14], 3, v[14:15]
	v_add_co_u32 v54, s0, s14, v54
	v_add_co_ci_u32_e64 v55, null, s15, v55, s0
	global_load_dwordx2 v[52:53], v[52:53], off
	v_add_co_u32 v13, s0, s12, v13
	v_add_co_ci_u32_e64 v14, null, s13, v14, s0
	global_load_dwordx2 v[54:55], v[54:55], off
	global_load_dwordx2 v[56:57], v[13:14], off
	v_add_nc_u32_e32 v14, -7, v12
	v_add_nc_u32_e32 v12, 56, v12
	v_lshlrev_b64 v[58:59], 3, v[14:15]
	v_add_nc_u32_e32 v14, 6, v22
	v_lshlrev_b64 v[13:14], 3, v[14:15]
	v_add_co_u32 v22, vcc_lo, s12, v58
	v_add_co_ci_u32_e64 v23, null, s13, v59, vcc_lo
	v_add_co_u32 v13, vcc_lo, s14, v13
	v_add_co_ci_u32_e64 v14, null, s15, v14, vcc_lo
	s_clause 0x1
	global_load_dwordx2 v[24:25], v[24:25], off
	global_load_dwordx2 v[22:23], v[22:23], off
	;; [unrolled: 1-line block ×3, first 2 shown]
	v_cmp_ge_i32_e32 vcc_lo, v6, v17
	s_or_b32 s3, vcc_lo, s3
	s_waitcnt vmcnt(17)
	v_fma_f64 v[7:8], v[18:19], v[28:29], v[8:9]
	v_fma_f64 v[9:10], v[26:27], v[28:29], v[10:11]
	s_waitcnt vmcnt(16)
	v_fma_f64 v[7:8], v[20:21], v[30:31], v[7:8]
	s_waitcnt vmcnt(15)
	;; [unrolled: 2-line block ×11, first 2 shown]
	v_fma_f64 v[8:9], v[22:23], v[13:14], v[7:8]
	v_fma_f64 v[10:11], v[24:25], v[13:14], v[10:11]
	s_andn2_b32 exec_lo, exec_lo, s3
	s_cbranch_execnz .LBB101_15
; %bb.16:
	s_or_b32 exec_lo, exec_lo, s3
.LBB101_17:
	s_or_b32 exec_lo, exec_lo, s1
.LBB101_18:
	v_mbcnt_lo_u32_b32 v14, -1, 0
	v_xor_b32_e32 v6, 2, v14
	v_cmp_gt_i32_e32 vcc_lo, 32, v6
	v_cndmask_b32_e32 v6, v14, v6, vcc_lo
	v_lshlrev_b32_e32 v13, 2, v6
	ds_bpermute_b32 v6, v13, v8
	ds_bpermute_b32 v7, v13, v9
	;; [unrolled: 1-line block ×4, first 2 shown]
	s_waitcnt lgkmcnt(2)
	v_add_f64 v[6:7], v[8:9], v[6:7]
	v_xor_b32_e32 v8, 1, v14
	s_waitcnt lgkmcnt(0)
	v_add_f64 v[10:11], v[10:11], v[12:13]
	v_cmp_gt_i32_e32 vcc_lo, 32, v8
	v_cndmask_b32_e32 v8, v14, v8, vcc_lo
	v_cmp_eq_u32_e32 vcc_lo, 3, v0
	v_lshlrev_b32_e32 v13, 2, v8
	ds_bpermute_b32 v8, v13, v6
	ds_bpermute_b32 v9, v13, v7
	;; [unrolled: 1-line block ×4, first 2 shown]
	s_and_b32 exec_lo, exec_lo, vcc_lo
	s_cbranch_execz .LBB101_23
; %bb.19:
	s_waitcnt lgkmcnt(2)
	v_add_f64 v[8:9], v[6:7], v[8:9]
	s_waitcnt lgkmcnt(0)
	v_add_f64 v[6:7], v[10:11], v[12:13]
	s_load_dwordx2 s[0:1], s[4:5], 0x38
	s_mov_b32 s2, exec_lo
	v_cmpx_eq_f64_e32 0, v[3:4]
	s_xor_b32 s2, exec_lo, s2
	s_cbranch_execz .LBB101_21
; %bb.20:
	v_lshlrev_b32_e32 v0, 1, v5
	v_mul_f64 v[3:4], v[1:2], v[8:9]
	v_mul_f64 v[5:6], v[1:2], v[6:7]
                                        ; implicit-def: $vgpr8_vgpr9
	v_ashrrev_i32_e32 v1, 31, v0
	v_lshlrev_b64 v[0:1], 3, v[0:1]
	s_waitcnt lgkmcnt(0)
	v_add_co_u32 v0, vcc_lo, s0, v0
	v_add_co_ci_u32_e64 v1, null, s1, v1, vcc_lo
	global_store_dwordx4 v[0:1], v[3:6], off
                                        ; implicit-def: $vgpr5
                                        ; implicit-def: $vgpr1_vgpr2
                                        ; implicit-def: $vgpr3_vgpr4
                                        ; implicit-def: $vgpr6_vgpr7
.LBB101_21:
	s_andn2_saveexec_b32 s2, s2
	s_cbranch_execz .LBB101_23
; %bb.22:
	v_lshlrev_b32_e32 v10, 1, v5
	v_mul_f64 v[8:9], v[1:2], v[8:9]
	v_mul_f64 v[5:6], v[1:2], v[6:7]
	v_ashrrev_i32_e32 v11, 31, v10
	v_lshlrev_b64 v[10:11], 3, v[10:11]
	s_waitcnt lgkmcnt(0)
	v_add_co_u32 v14, vcc_lo, s0, v10
	v_add_co_ci_u32_e64 v15, null, s1, v11, vcc_lo
	global_load_dwordx4 v[10:13], v[14:15], off
	s_waitcnt vmcnt(0)
	v_fma_f64 v[0:1], v[3:4], v[10:11], v[8:9]
	v_fma_f64 v[2:3], v[3:4], v[12:13], v[5:6]
	global_store_dwordx4 v[14:15], v[0:3], off
.LBB101_23:
	s_endpgm
	.section	.rodata,"a",@progbits
	.p2align	6, 0x0
	.amdhsa_kernel _ZN9rocsparseL19gebsrmvn_2xn_kernelILj128ELj7ELj4EdEEvi20rocsparse_direction_NS_24const_host_device_scalarIT2_EEPKiS6_PKS3_S8_S4_PS3_21rocsparse_index_base_b
		.amdhsa_group_segment_fixed_size 0
		.amdhsa_private_segment_fixed_size 0
		.amdhsa_kernarg_size 72
		.amdhsa_user_sgpr_count 6
		.amdhsa_user_sgpr_private_segment_buffer 1
		.amdhsa_user_sgpr_dispatch_ptr 0
		.amdhsa_user_sgpr_queue_ptr 0
		.amdhsa_user_sgpr_kernarg_segment_ptr 1
		.amdhsa_user_sgpr_dispatch_id 0
		.amdhsa_user_sgpr_flat_scratch_init 0
		.amdhsa_user_sgpr_private_segment_size 0
		.amdhsa_wavefront_size32 1
		.amdhsa_uses_dynamic_stack 0
		.amdhsa_system_sgpr_private_segment_wavefront_offset 0
		.amdhsa_system_sgpr_workgroup_id_x 1
		.amdhsa_system_sgpr_workgroup_id_y 0
		.amdhsa_system_sgpr_workgroup_id_z 0
		.amdhsa_system_sgpr_workgroup_info 0
		.amdhsa_system_vgpr_workitem_id 0
		.amdhsa_next_free_vgpr 60
		.amdhsa_next_free_sgpr 16
		.amdhsa_reserve_vcc 1
		.amdhsa_reserve_flat_scratch 0
		.amdhsa_float_round_mode_32 0
		.amdhsa_float_round_mode_16_64 0
		.amdhsa_float_denorm_mode_32 3
		.amdhsa_float_denorm_mode_16_64 3
		.amdhsa_dx10_clamp 1
		.amdhsa_ieee_mode 1
		.amdhsa_fp16_overflow 0
		.amdhsa_workgroup_processor_mode 1
		.amdhsa_memory_ordered 1
		.amdhsa_forward_progress 1
		.amdhsa_shared_vgpr_count 0
		.amdhsa_exception_fp_ieee_invalid_op 0
		.amdhsa_exception_fp_denorm_src 0
		.amdhsa_exception_fp_ieee_div_zero 0
		.amdhsa_exception_fp_ieee_overflow 0
		.amdhsa_exception_fp_ieee_underflow 0
		.amdhsa_exception_fp_ieee_inexact 0
		.amdhsa_exception_int_div_zero 0
	.end_amdhsa_kernel
	.section	.text._ZN9rocsparseL19gebsrmvn_2xn_kernelILj128ELj7ELj4EdEEvi20rocsparse_direction_NS_24const_host_device_scalarIT2_EEPKiS6_PKS3_S8_S4_PS3_21rocsparse_index_base_b,"axG",@progbits,_ZN9rocsparseL19gebsrmvn_2xn_kernelILj128ELj7ELj4EdEEvi20rocsparse_direction_NS_24const_host_device_scalarIT2_EEPKiS6_PKS3_S8_S4_PS3_21rocsparse_index_base_b,comdat
.Lfunc_end101:
	.size	_ZN9rocsparseL19gebsrmvn_2xn_kernelILj128ELj7ELj4EdEEvi20rocsparse_direction_NS_24const_host_device_scalarIT2_EEPKiS6_PKS3_S8_S4_PS3_21rocsparse_index_base_b, .Lfunc_end101-_ZN9rocsparseL19gebsrmvn_2xn_kernelILj128ELj7ELj4EdEEvi20rocsparse_direction_NS_24const_host_device_scalarIT2_EEPKiS6_PKS3_S8_S4_PS3_21rocsparse_index_base_b
                                        ; -- End function
	.set _ZN9rocsparseL19gebsrmvn_2xn_kernelILj128ELj7ELj4EdEEvi20rocsparse_direction_NS_24const_host_device_scalarIT2_EEPKiS6_PKS3_S8_S4_PS3_21rocsparse_index_base_b.num_vgpr, 60
	.set _ZN9rocsparseL19gebsrmvn_2xn_kernelILj128ELj7ELj4EdEEvi20rocsparse_direction_NS_24const_host_device_scalarIT2_EEPKiS6_PKS3_S8_S4_PS3_21rocsparse_index_base_b.num_agpr, 0
	.set _ZN9rocsparseL19gebsrmvn_2xn_kernelILj128ELj7ELj4EdEEvi20rocsparse_direction_NS_24const_host_device_scalarIT2_EEPKiS6_PKS3_S8_S4_PS3_21rocsparse_index_base_b.numbered_sgpr, 16
	.set _ZN9rocsparseL19gebsrmvn_2xn_kernelILj128ELj7ELj4EdEEvi20rocsparse_direction_NS_24const_host_device_scalarIT2_EEPKiS6_PKS3_S8_S4_PS3_21rocsparse_index_base_b.num_named_barrier, 0
	.set _ZN9rocsparseL19gebsrmvn_2xn_kernelILj128ELj7ELj4EdEEvi20rocsparse_direction_NS_24const_host_device_scalarIT2_EEPKiS6_PKS3_S8_S4_PS3_21rocsparse_index_base_b.private_seg_size, 0
	.set _ZN9rocsparseL19gebsrmvn_2xn_kernelILj128ELj7ELj4EdEEvi20rocsparse_direction_NS_24const_host_device_scalarIT2_EEPKiS6_PKS3_S8_S4_PS3_21rocsparse_index_base_b.uses_vcc, 1
	.set _ZN9rocsparseL19gebsrmvn_2xn_kernelILj128ELj7ELj4EdEEvi20rocsparse_direction_NS_24const_host_device_scalarIT2_EEPKiS6_PKS3_S8_S4_PS3_21rocsparse_index_base_b.uses_flat_scratch, 0
	.set _ZN9rocsparseL19gebsrmvn_2xn_kernelILj128ELj7ELj4EdEEvi20rocsparse_direction_NS_24const_host_device_scalarIT2_EEPKiS6_PKS3_S8_S4_PS3_21rocsparse_index_base_b.has_dyn_sized_stack, 0
	.set _ZN9rocsparseL19gebsrmvn_2xn_kernelILj128ELj7ELj4EdEEvi20rocsparse_direction_NS_24const_host_device_scalarIT2_EEPKiS6_PKS3_S8_S4_PS3_21rocsparse_index_base_b.has_recursion, 0
	.set _ZN9rocsparseL19gebsrmvn_2xn_kernelILj128ELj7ELj4EdEEvi20rocsparse_direction_NS_24const_host_device_scalarIT2_EEPKiS6_PKS3_S8_S4_PS3_21rocsparse_index_base_b.has_indirect_call, 0
	.section	.AMDGPU.csdata,"",@progbits
; Kernel info:
; codeLenInByte = 2436
; TotalNumSgprs: 18
; NumVgprs: 60
; ScratchSize: 0
; MemoryBound: 0
; FloatMode: 240
; IeeeMode: 1
; LDSByteSize: 0 bytes/workgroup (compile time only)
; SGPRBlocks: 0
; VGPRBlocks: 7
; NumSGPRsForWavesPerEU: 18
; NumVGPRsForWavesPerEU: 60
; Occupancy: 16
; WaveLimiterHint : 1
; COMPUTE_PGM_RSRC2:SCRATCH_EN: 0
; COMPUTE_PGM_RSRC2:USER_SGPR: 6
; COMPUTE_PGM_RSRC2:TRAP_HANDLER: 0
; COMPUTE_PGM_RSRC2:TGID_X_EN: 1
; COMPUTE_PGM_RSRC2:TGID_Y_EN: 0
; COMPUTE_PGM_RSRC2:TGID_Z_EN: 0
; COMPUTE_PGM_RSRC2:TIDIG_COMP_CNT: 0
	.section	.text._ZN9rocsparseL19gebsrmvn_2xn_kernelILj128ELj7ELj8EdEEvi20rocsparse_direction_NS_24const_host_device_scalarIT2_EEPKiS6_PKS3_S8_S4_PS3_21rocsparse_index_base_b,"axG",@progbits,_ZN9rocsparseL19gebsrmvn_2xn_kernelILj128ELj7ELj8EdEEvi20rocsparse_direction_NS_24const_host_device_scalarIT2_EEPKiS6_PKS3_S8_S4_PS3_21rocsparse_index_base_b,comdat
	.globl	_ZN9rocsparseL19gebsrmvn_2xn_kernelILj128ELj7ELj8EdEEvi20rocsparse_direction_NS_24const_host_device_scalarIT2_EEPKiS6_PKS3_S8_S4_PS3_21rocsparse_index_base_b ; -- Begin function _ZN9rocsparseL19gebsrmvn_2xn_kernelILj128ELj7ELj8EdEEvi20rocsparse_direction_NS_24const_host_device_scalarIT2_EEPKiS6_PKS3_S8_S4_PS3_21rocsparse_index_base_b
	.p2align	8
	.type	_ZN9rocsparseL19gebsrmvn_2xn_kernelILj128ELj7ELj8EdEEvi20rocsparse_direction_NS_24const_host_device_scalarIT2_EEPKiS6_PKS3_S8_S4_PS3_21rocsparse_index_base_b,@function
_ZN9rocsparseL19gebsrmvn_2xn_kernelILj128ELj7ELj8EdEEvi20rocsparse_direction_NS_24const_host_device_scalarIT2_EEPKiS6_PKS3_S8_S4_PS3_21rocsparse_index_base_b: ; @_ZN9rocsparseL19gebsrmvn_2xn_kernelILj128ELj7ELj8EdEEvi20rocsparse_direction_NS_24const_host_device_scalarIT2_EEPKiS6_PKS3_S8_S4_PS3_21rocsparse_index_base_b
; %bb.0:
	s_clause 0x2
	s_load_dwordx2 s[2:3], s[4:5], 0x40
	s_load_dwordx2 s[8:9], s[4:5], 0x8
	s_load_dwordx2 s[0:1], s[4:5], 0x30
	s_waitcnt lgkmcnt(0)
	s_bitcmp1_b32 s3, 0
	v_mov_b32_e32 v1, s8
	v_mov_b32_e32 v2, s9
	s_cselect_b32 s3, -1, 0
	s_and_b32 vcc_lo, exec_lo, s3
	s_xor_b32 s3, s3, -1
	s_cbranch_vccnz .LBB102_2
; %bb.1:
	v_mov_b32_e32 v1, s8
	v_mov_b32_e32 v2, s9
	flat_load_dwordx2 v[1:2], v[1:2]
.LBB102_2:
	v_mov_b32_e32 v4, s1
	v_mov_b32_e32 v3, s0
	s_andn2_b32 vcc_lo, exec_lo, s3
	s_cbranch_vccnz .LBB102_4
; %bb.3:
	v_mov_b32_e32 v4, s1
	v_mov_b32_e32 v3, s0
	flat_load_dwordx2 v[3:4], v[3:4]
.LBB102_4:
	s_waitcnt vmcnt(0) lgkmcnt(0)
	v_cmp_neq_f64_e32 vcc_lo, 0, v[1:2]
	v_cmp_neq_f64_e64 s0, 1.0, v[3:4]
	s_or_b32 s0, vcc_lo, s0
	s_and_saveexec_b32 s1, s0
	s_cbranch_execz .LBB102_23
; %bb.5:
	s_load_dwordx2 s[0:1], s[4:5], 0x0
	v_lshrrev_b32_e32 v5, 3, v0
	v_lshl_or_b32 v5, s6, 4, v5
	s_waitcnt lgkmcnt(0)
	v_cmp_gt_i32_e32 vcc_lo, s0, v5
	s_and_b32 exec_lo, exec_lo, vcc_lo
	s_cbranch_execz .LBB102_23
; %bb.6:
	s_load_dwordx8 s[8:15], s[4:5], 0x10
	v_ashrrev_i32_e32 v6, 31, v5
	v_and_b32_e32 v0, 7, v0
	s_cmp_lg_u32 s1, 0
	v_lshlrev_b64 v[6:7], 2, v[5:6]
	s_waitcnt lgkmcnt(0)
	v_add_co_u32 v6, vcc_lo, s8, v6
	v_add_co_ci_u32_e64 v7, null, s9, v7, vcc_lo
	global_load_dwordx2 v[6:7], v[6:7], off
	s_waitcnt vmcnt(0)
	v_subrev_nc_u32_e32 v6, s2, v6
	v_subrev_nc_u32_e32 v17, s2, v7
	v_add_nc_u32_e32 v8, v6, v0
	v_cmp_lt_i32_e64 s0, v8, v17
	s_cbranch_scc0 .LBB102_12
; %bb.7:
	v_mov_b32_e32 v6, 0
	v_mov_b32_e32 v10, 0
	;; [unrolled: 1-line block ×4, first 2 shown]
	s_and_saveexec_b32 s3, s0
	s_cbranch_execz .LBB102_11
; %bb.8:
	v_mad_u64_u32 v[12:13], null, v8, 14, 12
	v_mov_b32_e32 v6, 0
	v_mov_b32_e32 v10, 0
	;; [unrolled: 1-line block ×6, first 2 shown]
	s_mov_b32 s6, 0
.LBB102_9:                              ; =>This Inner Loop Header: Depth=1
	v_ashrrev_i32_e32 v16, 31, v15
	v_add_nc_u32_e32 v13, -12, v12
	v_mov_b32_e32 v43, v14
	v_lshlrev_b64 v[18:19], 2, v[15:16]
	v_add_nc_u32_e32 v15, 8, v15
	v_add_co_u32 v18, vcc_lo, s10, v18
	v_add_co_ci_u32_e64 v19, null, s11, v19, vcc_lo
	global_load_dword v9, v[18:19], off
	v_lshlrev_b64 v[18:19], 3, v[13:14]
	v_add_nc_u32_e32 v13, -10, v12
	v_lshlrev_b64 v[20:21], 3, v[13:14]
	v_add_co_u32 v18, vcc_lo, s12, v18
	v_add_co_ci_u32_e64 v19, null, s13, v19, vcc_lo
	v_add_co_u32 v22, vcc_lo, s12, v20
	s_waitcnt vmcnt(0)
	v_subrev_nc_u32_e32 v9, s2, v9
	v_mul_lo_u32 v42, v9, 7
	v_lshlrev_b64 v[23:24], 3, v[42:43]
	v_add_nc_u32_e32 v13, 1, v42
	v_add_co_u32 v26, s1, s14, v23
	v_add_co_ci_u32_e64 v23, null, s13, v21, vcc_lo
	v_add_co_ci_u32_e64 v27, null, s15, v24, s1
	s_clause 0x1
	global_load_dwordx4 v[18:21], v[18:19], off
	global_load_dwordx4 v[22:25], v[22:23], off
	global_load_dwordx2 v[46:47], v[26:27], off
	v_lshlrev_b64 v[26:27], 3, v[13:14]
	v_add_nc_u32_e32 v13, -8, v12
	v_lshlrev_b64 v[28:29], 3, v[13:14]
	v_add_co_u32 v26, vcc_lo, s14, v26
	v_add_co_ci_u32_e64 v27, null, s15, v27, vcc_lo
	v_add_nc_u32_e32 v13, 2, v42
	v_add_co_u32 v28, vcc_lo, s12, v28
	global_load_dwordx2 v[48:49], v[26:27], off
	v_add_co_ci_u32_e64 v29, null, s13, v29, vcc_lo
	v_lshlrev_b64 v[26:27], 3, v[13:14]
	v_add_nc_u32_e32 v13, -6, v12
	v_add_co_u32 v30, vcc_lo, s14, v26
	v_add_co_ci_u32_e64 v31, null, s15, v27, vcc_lo
	global_load_dwordx4 v[26:29], v[28:29], off
	global_load_dwordx2 v[50:51], v[30:31], off
	v_lshlrev_b64 v[32:33], 3, v[13:14]
	v_add_nc_u32_e32 v13, 3, v42
	v_lshlrev_b64 v[30:31], 3, v[13:14]
	v_add_co_u32 v32, vcc_lo, s12, v32
	v_add_co_ci_u32_e64 v33, null, s13, v33, vcc_lo
	v_add_nc_u32_e32 v13, -4, v12
	v_add_co_u32 v34, vcc_lo, s14, v30
	v_add_co_ci_u32_e64 v35, null, s15, v31, vcc_lo
	global_load_dwordx4 v[30:33], v[32:33], off
	global_load_dwordx2 v[52:53], v[34:35], off
	v_lshlrev_b64 v[36:37], 3, v[13:14]
	v_add_nc_u32_e32 v13, 4, v42
	v_lshlrev_b64 v[34:35], 3, v[13:14]
	v_add_co_u32 v36, vcc_lo, s12, v36
	v_add_co_ci_u32_e64 v37, null, s13, v37, vcc_lo
	;; [unrolled: 10-line block ×3, first 2 shown]
	v_mov_b32_e32 v13, v14
	v_add_co_u32 v43, vcc_lo, s14, v40
	v_add_co_ci_u32_e64 v44, null, s15, v41, vcc_lo
	global_load_dwordx4 v[38:41], v[38:39], off
	global_load_dwordx2 v[56:57], v[43:44], off
	v_lshlrev_b64 v[43:44], 3, v[12:13]
	v_add_nc_u32_e32 v13, 6, v42
	v_add_nc_u32_e32 v12, 0x70, v12
	v_lshlrev_b64 v[58:59], 3, v[13:14]
	v_add_co_u32 v42, vcc_lo, s12, v43
	v_add_co_ci_u32_e64 v43, null, s13, v44, vcc_lo
	v_add_co_u32 v58, vcc_lo, s14, v58
	v_add_co_ci_u32_e64 v59, null, s15, v59, vcc_lo
	global_load_dwordx4 v[42:45], v[42:43], off
	global_load_dwordx2 v[58:59], v[58:59], off
	v_cmp_ge_i32_e32 vcc_lo, v15, v17
	s_or_b32 s6, vcc_lo, s6
	s_waitcnt vmcnt(11)
	v_fma_f64 v[6:7], v[18:19], v[46:47], v[6:7]
	v_fma_f64 v[9:10], v[20:21], v[46:47], v[10:11]
	s_waitcnt vmcnt(10)
	v_fma_f64 v[6:7], v[22:23], v[48:49], v[6:7]
	v_fma_f64 v[9:10], v[24:25], v[48:49], v[9:10]
	;; [unrolled: 3-line block ×7, first 2 shown]
	s_andn2_b32 exec_lo, exec_lo, s6
	s_cbranch_execnz .LBB102_9
; %bb.10:
	s_or_b32 exec_lo, exec_lo, s6
.LBB102_11:
	s_or_b32 exec_lo, exec_lo, s3
	s_cbranch_execz .LBB102_13
	s_branch .LBB102_18
.LBB102_12:
                                        ; implicit-def: $vgpr6_vgpr7
                                        ; implicit-def: $vgpr10_vgpr11
.LBB102_13:
	v_mov_b32_e32 v6, 0
	v_mov_b32_e32 v10, 0
	v_mov_b32_e32 v7, 0
	v_mov_b32_e32 v11, 0
	s_and_saveexec_b32 s1, s0
	s_cbranch_execz .LBB102_17
; %bb.14:
	v_mad_u64_u32 v[12:13], null, v8, 14, 13
	v_mov_b32_e32 v6, 0
	v_mov_b32_e32 v10, 0
	;; [unrolled: 1-line block ×5, first 2 shown]
	s_mov_b32 s3, 0
.LBB102_15:                             ; =>This Inner Loop Header: Depth=1
	v_ashrrev_i32_e32 v9, 31, v8
	v_add_nc_u32_e32 v18, -6, v12
	v_mov_b32_e32 v23, v15
	v_mov_b32_e32 v19, v15
	v_lshlrev_b64 v[13:14], 2, v[8:9]
	v_add_nc_u32_e32 v8, 8, v8
	v_lshlrev_b64 v[18:19], 3, v[18:19]
	v_add_co_u32 v13, vcc_lo, s10, v13
	v_add_co_ci_u32_e64 v14, null, s11, v14, vcc_lo
	global_load_dword v9, v[13:14], off
	v_add_nc_u32_e32 v14, -13, v12
	v_mov_b32_e32 v13, v15
	v_lshlrev_b64 v[20:21], 3, v[14:15]
	v_lshlrev_b64 v[24:25], 3, v[12:13]
	v_add_co_u32 v13, vcc_lo, s12, v20
	v_add_co_ci_u32_e64 v14, null, s13, v21, vcc_lo
	v_add_co_u32 v26, vcc_lo, s12, v18
	v_add_co_ci_u32_e64 v27, null, s13, v19, vcc_lo
	s_clause 0x1
	global_load_dwordx4 v[18:21], v[13:14], off
	global_load_dwordx2 v[26:27], v[26:27], off
	v_add_co_u32 v24, vcc_lo, s12, v24
	v_add_co_ci_u32_e64 v25, null, s13, v25, vcc_lo
	s_waitcnt vmcnt(2)
	v_subrev_nc_u32_e32 v9, s2, v9
	v_mul_lo_u32 v22, v9, 7
	v_lshlrev_b64 v[28:29], 3, v[22:23]
	v_add_nc_u32_e32 v14, 1, v22
	v_lshlrev_b64 v[30:31], 3, v[14:15]
	v_add_co_u32 v28, s0, s14, v28
	v_add_co_ci_u32_e64 v29, null, s15, v29, s0
	v_add_nc_u32_e32 v14, -5, v12
	v_add_co_u32 v30, s0, s14, v30
	global_load_dwordx2 v[28:29], v[28:29], off
	v_add_co_ci_u32_e64 v31, null, s15, v31, s0
	v_lshlrev_b64 v[32:33], 3, v[14:15]
	v_add_nc_u32_e32 v14, -11, v12
	global_load_dwordx2 v[30:31], v[30:31], off
	v_add_co_u32 v32, s0, s12, v32
	v_add_co_ci_u32_e64 v33, null, s13, v33, s0
	v_lshlrev_b64 v[34:35], 3, v[14:15]
	v_add_nc_u32_e32 v14, 2, v22
	global_load_dwordx2 v[32:33], v[32:33], off
	v_lshlrev_b64 v[36:37], 3, v[14:15]
	v_add_nc_u32_e32 v14, -4, v12
	v_add_co_u32 v34, s0, s12, v34
	v_add_co_ci_u32_e64 v35, null, s13, v35, s0
	v_lshlrev_b64 v[38:39], 3, v[14:15]
	v_add_co_u32 v36, s0, s14, v36
	v_add_co_ci_u32_e64 v37, null, s15, v37, s0
	v_add_nc_u32_e32 v14, -10, v12
	v_add_co_u32 v38, s0, s12, v38
	v_add_co_ci_u32_e64 v39, null, s13, v39, s0
	v_lshlrev_b64 v[40:41], 3, v[14:15]
	v_add_nc_u32_e32 v14, 3, v22
	global_load_dwordx2 v[34:35], v[34:35], off
	global_load_dwordx2 v[36:37], v[36:37], off
	;; [unrolled: 1-line block ×3, first 2 shown]
	v_lshlrev_b64 v[42:43], 3, v[14:15]
	v_add_nc_u32_e32 v14, -3, v12
	v_add_co_u32 v40, s0, s12, v40
	v_add_co_ci_u32_e64 v41, null, s13, v41, s0
	v_lshlrev_b64 v[44:45], 3, v[14:15]
	v_add_co_u32 v42, s0, s14, v42
	v_add_co_ci_u32_e64 v43, null, s15, v43, s0
	v_add_nc_u32_e32 v14, -9, v12
	v_add_co_u32 v44, s0, s12, v44
	v_add_co_ci_u32_e64 v45, null, s13, v45, s0
	v_lshlrev_b64 v[46:47], 3, v[14:15]
	v_add_nc_u32_e32 v14, 4, v22
	global_load_dwordx2 v[40:41], v[40:41], off
	global_load_dwordx2 v[42:43], v[42:43], off
	;; [unrolled: 1-line block ×3, first 2 shown]
	v_lshlrev_b64 v[48:49], 3, v[14:15]
	v_add_nc_u32_e32 v14, -2, v12
	v_add_co_u32 v46, s0, s12, v46
	v_add_co_ci_u32_e64 v47, null, s13, v47, s0
	v_lshlrev_b64 v[50:51], 3, v[14:15]
	v_add_co_u32 v48, s0, s14, v48
	v_add_co_ci_u32_e64 v49, null, s15, v49, s0
	v_add_nc_u32_e32 v14, -8, v12
	v_add_co_u32 v50, s0, s12, v50
	v_add_co_ci_u32_e64 v51, null, s13, v51, s0
	global_load_dwordx2 v[46:47], v[46:47], off
	v_lshlrev_b64 v[52:53], 3, v[14:15]
	v_add_nc_u32_e32 v14, 5, v22
	global_load_dwordx2 v[48:49], v[48:49], off
	global_load_dwordx2 v[50:51], v[50:51], off
	v_lshlrev_b64 v[54:55], 3, v[14:15]
	v_add_nc_u32_e32 v14, -1, v12
	v_add_co_u32 v52, s0, s12, v52
	v_add_co_ci_u32_e64 v53, null, s13, v53, s0
	v_lshlrev_b64 v[13:14], 3, v[14:15]
	v_add_co_u32 v54, s0, s14, v54
	v_add_co_ci_u32_e64 v55, null, s15, v55, s0
	global_load_dwordx2 v[52:53], v[52:53], off
	v_add_co_u32 v13, s0, s12, v13
	v_add_co_ci_u32_e64 v14, null, s13, v14, s0
	global_load_dwordx2 v[54:55], v[54:55], off
	global_load_dwordx2 v[56:57], v[13:14], off
	v_add_nc_u32_e32 v14, -7, v12
	v_add_nc_u32_e32 v12, 0x70, v12
	v_lshlrev_b64 v[58:59], 3, v[14:15]
	v_add_nc_u32_e32 v14, 6, v22
	v_lshlrev_b64 v[13:14], 3, v[14:15]
	v_add_co_u32 v22, vcc_lo, s12, v58
	v_add_co_ci_u32_e64 v23, null, s13, v59, vcc_lo
	v_add_co_u32 v13, vcc_lo, s14, v13
	v_add_co_ci_u32_e64 v14, null, s15, v14, vcc_lo
	s_clause 0x1
	global_load_dwordx2 v[24:25], v[24:25], off
	global_load_dwordx2 v[22:23], v[22:23], off
	;; [unrolled: 1-line block ×3, first 2 shown]
	v_cmp_ge_i32_e32 vcc_lo, v8, v17
	s_or_b32 s3, vcc_lo, s3
	s_waitcnt vmcnt(17)
	v_fma_f64 v[6:7], v[18:19], v[28:29], v[6:7]
	v_fma_f64 v[9:10], v[26:27], v[28:29], v[10:11]
	s_waitcnt vmcnt(16)
	v_fma_f64 v[6:7], v[20:21], v[30:31], v[6:7]
	s_waitcnt vmcnt(15)
	;; [unrolled: 2-line block ×11, first 2 shown]
	v_fma_f64 v[6:7], v[22:23], v[13:14], v[6:7]
	v_fma_f64 v[10:11], v[24:25], v[13:14], v[9:10]
	s_andn2_b32 exec_lo, exec_lo, s3
	s_cbranch_execnz .LBB102_15
; %bb.16:
	s_or_b32 exec_lo, exec_lo, s3
.LBB102_17:
	s_or_b32 exec_lo, exec_lo, s1
.LBB102_18:
	v_mbcnt_lo_u32_b32 v14, -1, 0
	v_xor_b32_e32 v8, 4, v14
	v_cmp_gt_i32_e32 vcc_lo, 32, v8
	v_cndmask_b32_e32 v8, v14, v8, vcc_lo
	v_lshlrev_b32_e32 v13, 2, v8
	ds_bpermute_b32 v8, v13, v6
	ds_bpermute_b32 v9, v13, v7
	;; [unrolled: 1-line block ×4, first 2 shown]
	s_waitcnt lgkmcnt(2)
	v_add_f64 v[6:7], v[6:7], v[8:9]
	s_waitcnt lgkmcnt(0)
	v_add_f64 v[8:9], v[10:11], v[12:13]
	v_xor_b32_e32 v10, 2, v14
	v_cmp_gt_i32_e32 vcc_lo, 32, v10
	v_cndmask_b32_e32 v10, v14, v10, vcc_lo
	v_lshlrev_b32_e32 v13, 2, v10
	ds_bpermute_b32 v10, v13, v6
	ds_bpermute_b32 v11, v13, v7
	;; [unrolled: 1-line block ×4, first 2 shown]
	s_waitcnt lgkmcnt(2)
	v_add_f64 v[6:7], v[6:7], v[10:11]
	s_waitcnt lgkmcnt(0)
	v_add_f64 v[10:11], v[8:9], v[12:13]
	v_xor_b32_e32 v8, 1, v14
	v_cmp_gt_i32_e32 vcc_lo, 32, v8
	v_cndmask_b32_e32 v8, v14, v8, vcc_lo
	v_cmp_eq_u32_e32 vcc_lo, 7, v0
	v_lshlrev_b32_e32 v13, 2, v8
	ds_bpermute_b32 v8, v13, v6
	ds_bpermute_b32 v9, v13, v7
	;; [unrolled: 1-line block ×4, first 2 shown]
	s_and_b32 exec_lo, exec_lo, vcc_lo
	s_cbranch_execz .LBB102_23
; %bb.19:
	s_waitcnt lgkmcnt(2)
	v_add_f64 v[8:9], v[6:7], v[8:9]
	s_waitcnt lgkmcnt(0)
	v_add_f64 v[6:7], v[10:11], v[12:13]
	s_load_dwordx2 s[0:1], s[4:5], 0x38
	s_mov_b32 s2, exec_lo
	v_cmpx_eq_f64_e32 0, v[3:4]
	s_xor_b32 s2, exec_lo, s2
	s_cbranch_execz .LBB102_21
; %bb.20:
	v_lshlrev_b32_e32 v0, 1, v5
	v_mul_f64 v[3:4], v[1:2], v[8:9]
	v_mul_f64 v[5:6], v[1:2], v[6:7]
                                        ; implicit-def: $vgpr8_vgpr9
	v_ashrrev_i32_e32 v1, 31, v0
	v_lshlrev_b64 v[0:1], 3, v[0:1]
	s_waitcnt lgkmcnt(0)
	v_add_co_u32 v0, vcc_lo, s0, v0
	v_add_co_ci_u32_e64 v1, null, s1, v1, vcc_lo
	global_store_dwordx4 v[0:1], v[3:6], off
                                        ; implicit-def: $vgpr5
                                        ; implicit-def: $vgpr1_vgpr2
                                        ; implicit-def: $vgpr3_vgpr4
                                        ; implicit-def: $vgpr6_vgpr7
.LBB102_21:
	s_andn2_saveexec_b32 s2, s2
	s_cbranch_execz .LBB102_23
; %bb.22:
	v_lshlrev_b32_e32 v10, 1, v5
	v_mul_f64 v[8:9], v[1:2], v[8:9]
	v_mul_f64 v[5:6], v[1:2], v[6:7]
	v_ashrrev_i32_e32 v11, 31, v10
	v_lshlrev_b64 v[10:11], 3, v[10:11]
	s_waitcnt lgkmcnt(0)
	v_add_co_u32 v14, vcc_lo, s0, v10
	v_add_co_ci_u32_e64 v15, null, s1, v11, vcc_lo
	global_load_dwordx4 v[10:13], v[14:15], off
	s_waitcnt vmcnt(0)
	v_fma_f64 v[0:1], v[3:4], v[10:11], v[8:9]
	v_fma_f64 v[2:3], v[3:4], v[12:13], v[5:6]
	global_store_dwordx4 v[14:15], v[0:3], off
.LBB102_23:
	s_endpgm
	.section	.rodata,"a",@progbits
	.p2align	6, 0x0
	.amdhsa_kernel _ZN9rocsparseL19gebsrmvn_2xn_kernelILj128ELj7ELj8EdEEvi20rocsparse_direction_NS_24const_host_device_scalarIT2_EEPKiS6_PKS3_S8_S4_PS3_21rocsparse_index_base_b
		.amdhsa_group_segment_fixed_size 0
		.amdhsa_private_segment_fixed_size 0
		.amdhsa_kernarg_size 72
		.amdhsa_user_sgpr_count 6
		.amdhsa_user_sgpr_private_segment_buffer 1
		.amdhsa_user_sgpr_dispatch_ptr 0
		.amdhsa_user_sgpr_queue_ptr 0
		.amdhsa_user_sgpr_kernarg_segment_ptr 1
		.amdhsa_user_sgpr_dispatch_id 0
		.amdhsa_user_sgpr_flat_scratch_init 0
		.amdhsa_user_sgpr_private_segment_size 0
		.amdhsa_wavefront_size32 1
		.amdhsa_uses_dynamic_stack 0
		.amdhsa_system_sgpr_private_segment_wavefront_offset 0
		.amdhsa_system_sgpr_workgroup_id_x 1
		.amdhsa_system_sgpr_workgroup_id_y 0
		.amdhsa_system_sgpr_workgroup_id_z 0
		.amdhsa_system_sgpr_workgroup_info 0
		.amdhsa_system_vgpr_workitem_id 0
		.amdhsa_next_free_vgpr 60
		.amdhsa_next_free_sgpr 16
		.amdhsa_reserve_vcc 1
		.amdhsa_reserve_flat_scratch 0
		.amdhsa_float_round_mode_32 0
		.amdhsa_float_round_mode_16_64 0
		.amdhsa_float_denorm_mode_32 3
		.amdhsa_float_denorm_mode_16_64 3
		.amdhsa_dx10_clamp 1
		.amdhsa_ieee_mode 1
		.amdhsa_fp16_overflow 0
		.amdhsa_workgroup_processor_mode 1
		.amdhsa_memory_ordered 1
		.amdhsa_forward_progress 1
		.amdhsa_shared_vgpr_count 0
		.amdhsa_exception_fp_ieee_invalid_op 0
		.amdhsa_exception_fp_denorm_src 0
		.amdhsa_exception_fp_ieee_div_zero 0
		.amdhsa_exception_fp_ieee_overflow 0
		.amdhsa_exception_fp_ieee_underflow 0
		.amdhsa_exception_fp_ieee_inexact 0
		.amdhsa_exception_int_div_zero 0
	.end_amdhsa_kernel
	.section	.text._ZN9rocsparseL19gebsrmvn_2xn_kernelILj128ELj7ELj8EdEEvi20rocsparse_direction_NS_24const_host_device_scalarIT2_EEPKiS6_PKS3_S8_S4_PS3_21rocsparse_index_base_b,"axG",@progbits,_ZN9rocsparseL19gebsrmvn_2xn_kernelILj128ELj7ELj8EdEEvi20rocsparse_direction_NS_24const_host_device_scalarIT2_EEPKiS6_PKS3_S8_S4_PS3_21rocsparse_index_base_b,comdat
.Lfunc_end102:
	.size	_ZN9rocsparseL19gebsrmvn_2xn_kernelILj128ELj7ELj8EdEEvi20rocsparse_direction_NS_24const_host_device_scalarIT2_EEPKiS6_PKS3_S8_S4_PS3_21rocsparse_index_base_b, .Lfunc_end102-_ZN9rocsparseL19gebsrmvn_2xn_kernelILj128ELj7ELj8EdEEvi20rocsparse_direction_NS_24const_host_device_scalarIT2_EEPKiS6_PKS3_S8_S4_PS3_21rocsparse_index_base_b
                                        ; -- End function
	.set _ZN9rocsparseL19gebsrmvn_2xn_kernelILj128ELj7ELj8EdEEvi20rocsparse_direction_NS_24const_host_device_scalarIT2_EEPKiS6_PKS3_S8_S4_PS3_21rocsparse_index_base_b.num_vgpr, 60
	.set _ZN9rocsparseL19gebsrmvn_2xn_kernelILj128ELj7ELj8EdEEvi20rocsparse_direction_NS_24const_host_device_scalarIT2_EEPKiS6_PKS3_S8_S4_PS3_21rocsparse_index_base_b.num_agpr, 0
	.set _ZN9rocsparseL19gebsrmvn_2xn_kernelILj128ELj7ELj8EdEEvi20rocsparse_direction_NS_24const_host_device_scalarIT2_EEPKiS6_PKS3_S8_S4_PS3_21rocsparse_index_base_b.numbered_sgpr, 16
	.set _ZN9rocsparseL19gebsrmvn_2xn_kernelILj128ELj7ELj8EdEEvi20rocsparse_direction_NS_24const_host_device_scalarIT2_EEPKiS6_PKS3_S8_S4_PS3_21rocsparse_index_base_b.num_named_barrier, 0
	.set _ZN9rocsparseL19gebsrmvn_2xn_kernelILj128ELj7ELj8EdEEvi20rocsparse_direction_NS_24const_host_device_scalarIT2_EEPKiS6_PKS3_S8_S4_PS3_21rocsparse_index_base_b.private_seg_size, 0
	.set _ZN9rocsparseL19gebsrmvn_2xn_kernelILj128ELj7ELj8EdEEvi20rocsparse_direction_NS_24const_host_device_scalarIT2_EEPKiS6_PKS3_S8_S4_PS3_21rocsparse_index_base_b.uses_vcc, 1
	.set _ZN9rocsparseL19gebsrmvn_2xn_kernelILj128ELj7ELj8EdEEvi20rocsparse_direction_NS_24const_host_device_scalarIT2_EEPKiS6_PKS3_S8_S4_PS3_21rocsparse_index_base_b.uses_flat_scratch, 0
	.set _ZN9rocsparseL19gebsrmvn_2xn_kernelILj128ELj7ELj8EdEEvi20rocsparse_direction_NS_24const_host_device_scalarIT2_EEPKiS6_PKS3_S8_S4_PS3_21rocsparse_index_base_b.has_dyn_sized_stack, 0
	.set _ZN9rocsparseL19gebsrmvn_2xn_kernelILj128ELj7ELj8EdEEvi20rocsparse_direction_NS_24const_host_device_scalarIT2_EEPKiS6_PKS3_S8_S4_PS3_21rocsparse_index_base_b.has_recursion, 0
	.set _ZN9rocsparseL19gebsrmvn_2xn_kernelILj128ELj7ELj8EdEEvi20rocsparse_direction_NS_24const_host_device_scalarIT2_EEPKiS6_PKS3_S8_S4_PS3_21rocsparse_index_base_b.has_indirect_call, 0
	.section	.AMDGPU.csdata,"",@progbits
; Kernel info:
; codeLenInByte = 2516
; TotalNumSgprs: 18
; NumVgprs: 60
; ScratchSize: 0
; MemoryBound: 0
; FloatMode: 240
; IeeeMode: 1
; LDSByteSize: 0 bytes/workgroup (compile time only)
; SGPRBlocks: 0
; VGPRBlocks: 7
; NumSGPRsForWavesPerEU: 18
; NumVGPRsForWavesPerEU: 60
; Occupancy: 16
; WaveLimiterHint : 1
; COMPUTE_PGM_RSRC2:SCRATCH_EN: 0
; COMPUTE_PGM_RSRC2:USER_SGPR: 6
; COMPUTE_PGM_RSRC2:TRAP_HANDLER: 0
; COMPUTE_PGM_RSRC2:TGID_X_EN: 1
; COMPUTE_PGM_RSRC2:TGID_Y_EN: 0
; COMPUTE_PGM_RSRC2:TGID_Z_EN: 0
; COMPUTE_PGM_RSRC2:TIDIG_COMP_CNT: 0
	.section	.text._ZN9rocsparseL19gebsrmvn_2xn_kernelILj128ELj7ELj16EdEEvi20rocsparse_direction_NS_24const_host_device_scalarIT2_EEPKiS6_PKS3_S8_S4_PS3_21rocsparse_index_base_b,"axG",@progbits,_ZN9rocsparseL19gebsrmvn_2xn_kernelILj128ELj7ELj16EdEEvi20rocsparse_direction_NS_24const_host_device_scalarIT2_EEPKiS6_PKS3_S8_S4_PS3_21rocsparse_index_base_b,comdat
	.globl	_ZN9rocsparseL19gebsrmvn_2xn_kernelILj128ELj7ELj16EdEEvi20rocsparse_direction_NS_24const_host_device_scalarIT2_EEPKiS6_PKS3_S8_S4_PS3_21rocsparse_index_base_b ; -- Begin function _ZN9rocsparseL19gebsrmvn_2xn_kernelILj128ELj7ELj16EdEEvi20rocsparse_direction_NS_24const_host_device_scalarIT2_EEPKiS6_PKS3_S8_S4_PS3_21rocsparse_index_base_b
	.p2align	8
	.type	_ZN9rocsparseL19gebsrmvn_2xn_kernelILj128ELj7ELj16EdEEvi20rocsparse_direction_NS_24const_host_device_scalarIT2_EEPKiS6_PKS3_S8_S4_PS3_21rocsparse_index_base_b,@function
_ZN9rocsparseL19gebsrmvn_2xn_kernelILj128ELj7ELj16EdEEvi20rocsparse_direction_NS_24const_host_device_scalarIT2_EEPKiS6_PKS3_S8_S4_PS3_21rocsparse_index_base_b: ; @_ZN9rocsparseL19gebsrmvn_2xn_kernelILj128ELj7ELj16EdEEvi20rocsparse_direction_NS_24const_host_device_scalarIT2_EEPKiS6_PKS3_S8_S4_PS3_21rocsparse_index_base_b
; %bb.0:
	s_clause 0x2
	s_load_dwordx2 s[2:3], s[4:5], 0x40
	s_load_dwordx2 s[8:9], s[4:5], 0x8
	s_load_dwordx2 s[0:1], s[4:5], 0x30
	s_waitcnt lgkmcnt(0)
	s_bitcmp1_b32 s3, 0
	v_mov_b32_e32 v1, s8
	v_mov_b32_e32 v2, s9
	s_cselect_b32 s3, -1, 0
	s_and_b32 vcc_lo, exec_lo, s3
	s_xor_b32 s3, s3, -1
	s_cbranch_vccnz .LBB103_2
; %bb.1:
	v_mov_b32_e32 v1, s8
	v_mov_b32_e32 v2, s9
	flat_load_dwordx2 v[1:2], v[1:2]
.LBB103_2:
	v_mov_b32_e32 v4, s1
	v_mov_b32_e32 v3, s0
	s_andn2_b32 vcc_lo, exec_lo, s3
	s_cbranch_vccnz .LBB103_4
; %bb.3:
	v_mov_b32_e32 v4, s1
	v_mov_b32_e32 v3, s0
	flat_load_dwordx2 v[3:4], v[3:4]
.LBB103_4:
	s_waitcnt vmcnt(0) lgkmcnt(0)
	v_cmp_neq_f64_e32 vcc_lo, 0, v[1:2]
	v_cmp_neq_f64_e64 s0, 1.0, v[3:4]
	s_or_b32 s0, vcc_lo, s0
	s_and_saveexec_b32 s1, s0
	s_cbranch_execz .LBB103_23
; %bb.5:
	s_load_dwordx2 s[0:1], s[4:5], 0x0
	v_lshrrev_b32_e32 v5, 4, v0
	v_lshl_or_b32 v5, s6, 3, v5
	s_waitcnt lgkmcnt(0)
	v_cmp_gt_i32_e32 vcc_lo, s0, v5
	s_and_b32 exec_lo, exec_lo, vcc_lo
	s_cbranch_execz .LBB103_23
; %bb.6:
	s_load_dwordx8 s[8:15], s[4:5], 0x10
	v_ashrrev_i32_e32 v6, 31, v5
	v_and_b32_e32 v0, 15, v0
	s_cmp_lg_u32 s1, 0
	v_lshlrev_b64 v[6:7], 2, v[5:6]
	s_waitcnt lgkmcnt(0)
	v_add_co_u32 v6, vcc_lo, s8, v6
	v_add_co_ci_u32_e64 v7, null, s9, v7, vcc_lo
	global_load_dwordx2 v[6:7], v[6:7], off
	s_waitcnt vmcnt(0)
	v_subrev_nc_u32_e32 v6, s2, v6
	v_subrev_nc_u32_e32 v17, s2, v7
	v_add_nc_u32_e32 v8, v6, v0
	v_cmp_lt_i32_e64 s0, v8, v17
	s_cbranch_scc0 .LBB103_12
; %bb.7:
	v_mov_b32_e32 v6, 0
	v_mov_b32_e32 v10, 0
	;; [unrolled: 1-line block ×4, first 2 shown]
	s_and_saveexec_b32 s3, s0
	s_cbranch_execz .LBB103_11
; %bb.8:
	v_mad_u64_u32 v[12:13], null, v8, 14, 12
	v_mov_b32_e32 v6, 0
	v_mov_b32_e32 v10, 0
	;; [unrolled: 1-line block ×6, first 2 shown]
	s_mov_b32 s6, 0
.LBB103_9:                              ; =>This Inner Loop Header: Depth=1
	v_ashrrev_i32_e32 v16, 31, v15
	v_add_nc_u32_e32 v13, -12, v12
	v_mov_b32_e32 v43, v14
	v_lshlrev_b64 v[18:19], 2, v[15:16]
	v_add_nc_u32_e32 v15, 16, v15
	v_add_co_u32 v18, vcc_lo, s10, v18
	v_add_co_ci_u32_e64 v19, null, s11, v19, vcc_lo
	global_load_dword v9, v[18:19], off
	v_lshlrev_b64 v[18:19], 3, v[13:14]
	v_add_nc_u32_e32 v13, -10, v12
	v_lshlrev_b64 v[20:21], 3, v[13:14]
	v_add_co_u32 v18, vcc_lo, s12, v18
	v_add_co_ci_u32_e64 v19, null, s13, v19, vcc_lo
	v_add_co_u32 v22, vcc_lo, s12, v20
	s_waitcnt vmcnt(0)
	v_subrev_nc_u32_e32 v9, s2, v9
	v_mul_lo_u32 v42, v9, 7
	v_lshlrev_b64 v[23:24], 3, v[42:43]
	v_add_nc_u32_e32 v13, 1, v42
	v_add_co_u32 v26, s1, s14, v23
	v_add_co_ci_u32_e64 v23, null, s13, v21, vcc_lo
	v_add_co_ci_u32_e64 v27, null, s15, v24, s1
	s_clause 0x1
	global_load_dwordx4 v[18:21], v[18:19], off
	global_load_dwordx4 v[22:25], v[22:23], off
	global_load_dwordx2 v[46:47], v[26:27], off
	v_lshlrev_b64 v[26:27], 3, v[13:14]
	v_add_nc_u32_e32 v13, -8, v12
	v_lshlrev_b64 v[28:29], 3, v[13:14]
	v_add_co_u32 v26, vcc_lo, s14, v26
	v_add_co_ci_u32_e64 v27, null, s15, v27, vcc_lo
	v_add_nc_u32_e32 v13, 2, v42
	v_add_co_u32 v28, vcc_lo, s12, v28
	global_load_dwordx2 v[48:49], v[26:27], off
	v_add_co_ci_u32_e64 v29, null, s13, v29, vcc_lo
	v_lshlrev_b64 v[26:27], 3, v[13:14]
	v_add_nc_u32_e32 v13, -6, v12
	v_add_co_u32 v30, vcc_lo, s14, v26
	v_add_co_ci_u32_e64 v31, null, s15, v27, vcc_lo
	global_load_dwordx4 v[26:29], v[28:29], off
	global_load_dwordx2 v[50:51], v[30:31], off
	v_lshlrev_b64 v[32:33], 3, v[13:14]
	v_add_nc_u32_e32 v13, 3, v42
	v_lshlrev_b64 v[30:31], 3, v[13:14]
	v_add_co_u32 v32, vcc_lo, s12, v32
	v_add_co_ci_u32_e64 v33, null, s13, v33, vcc_lo
	v_add_nc_u32_e32 v13, -4, v12
	v_add_co_u32 v34, vcc_lo, s14, v30
	v_add_co_ci_u32_e64 v35, null, s15, v31, vcc_lo
	global_load_dwordx4 v[30:33], v[32:33], off
	global_load_dwordx2 v[52:53], v[34:35], off
	v_lshlrev_b64 v[36:37], 3, v[13:14]
	v_add_nc_u32_e32 v13, 4, v42
	v_lshlrev_b64 v[34:35], 3, v[13:14]
	v_add_co_u32 v36, vcc_lo, s12, v36
	v_add_co_ci_u32_e64 v37, null, s13, v37, vcc_lo
	;; [unrolled: 10-line block ×3, first 2 shown]
	v_mov_b32_e32 v13, v14
	v_add_co_u32 v43, vcc_lo, s14, v40
	v_add_co_ci_u32_e64 v44, null, s15, v41, vcc_lo
	global_load_dwordx4 v[38:41], v[38:39], off
	global_load_dwordx2 v[56:57], v[43:44], off
	v_lshlrev_b64 v[43:44], 3, v[12:13]
	v_add_nc_u32_e32 v13, 6, v42
	v_add_nc_u32_e32 v12, 0xe0, v12
	v_lshlrev_b64 v[58:59], 3, v[13:14]
	v_add_co_u32 v42, vcc_lo, s12, v43
	v_add_co_ci_u32_e64 v43, null, s13, v44, vcc_lo
	v_add_co_u32 v58, vcc_lo, s14, v58
	v_add_co_ci_u32_e64 v59, null, s15, v59, vcc_lo
	global_load_dwordx4 v[42:45], v[42:43], off
	global_load_dwordx2 v[58:59], v[58:59], off
	v_cmp_ge_i32_e32 vcc_lo, v15, v17
	s_or_b32 s6, vcc_lo, s6
	s_waitcnt vmcnt(11)
	v_fma_f64 v[6:7], v[18:19], v[46:47], v[6:7]
	v_fma_f64 v[9:10], v[20:21], v[46:47], v[10:11]
	s_waitcnt vmcnt(10)
	v_fma_f64 v[6:7], v[22:23], v[48:49], v[6:7]
	v_fma_f64 v[9:10], v[24:25], v[48:49], v[9:10]
	;; [unrolled: 3-line block ×7, first 2 shown]
	s_andn2_b32 exec_lo, exec_lo, s6
	s_cbranch_execnz .LBB103_9
; %bb.10:
	s_or_b32 exec_lo, exec_lo, s6
.LBB103_11:
	s_or_b32 exec_lo, exec_lo, s3
	s_cbranch_execz .LBB103_13
	s_branch .LBB103_18
.LBB103_12:
                                        ; implicit-def: $vgpr6_vgpr7
                                        ; implicit-def: $vgpr10_vgpr11
.LBB103_13:
	v_mov_b32_e32 v6, 0
	v_mov_b32_e32 v10, 0
	;; [unrolled: 1-line block ×4, first 2 shown]
	s_and_saveexec_b32 s1, s0
	s_cbranch_execz .LBB103_17
; %bb.14:
	v_mad_u64_u32 v[12:13], null, v8, 14, 13
	v_mov_b32_e32 v6, 0
	v_mov_b32_e32 v10, 0
	;; [unrolled: 1-line block ×5, first 2 shown]
	s_mov_b32 s3, 0
.LBB103_15:                             ; =>This Inner Loop Header: Depth=1
	v_ashrrev_i32_e32 v9, 31, v8
	v_add_nc_u32_e32 v18, -6, v12
	v_mov_b32_e32 v23, v15
	v_mov_b32_e32 v19, v15
	v_lshlrev_b64 v[13:14], 2, v[8:9]
	v_add_nc_u32_e32 v8, 16, v8
	v_lshlrev_b64 v[18:19], 3, v[18:19]
	v_add_co_u32 v13, vcc_lo, s10, v13
	v_add_co_ci_u32_e64 v14, null, s11, v14, vcc_lo
	global_load_dword v9, v[13:14], off
	v_add_nc_u32_e32 v14, -13, v12
	v_mov_b32_e32 v13, v15
	v_lshlrev_b64 v[20:21], 3, v[14:15]
	v_lshlrev_b64 v[24:25], 3, v[12:13]
	v_add_co_u32 v13, vcc_lo, s12, v20
	v_add_co_ci_u32_e64 v14, null, s13, v21, vcc_lo
	v_add_co_u32 v26, vcc_lo, s12, v18
	v_add_co_ci_u32_e64 v27, null, s13, v19, vcc_lo
	s_clause 0x1
	global_load_dwordx4 v[18:21], v[13:14], off
	global_load_dwordx2 v[26:27], v[26:27], off
	v_add_co_u32 v24, vcc_lo, s12, v24
	v_add_co_ci_u32_e64 v25, null, s13, v25, vcc_lo
	s_waitcnt vmcnt(2)
	v_subrev_nc_u32_e32 v9, s2, v9
	v_mul_lo_u32 v22, v9, 7
	v_lshlrev_b64 v[28:29], 3, v[22:23]
	v_add_nc_u32_e32 v14, 1, v22
	v_lshlrev_b64 v[30:31], 3, v[14:15]
	v_add_co_u32 v28, s0, s14, v28
	v_add_co_ci_u32_e64 v29, null, s15, v29, s0
	v_add_nc_u32_e32 v14, -5, v12
	v_add_co_u32 v30, s0, s14, v30
	global_load_dwordx2 v[28:29], v[28:29], off
	v_add_co_ci_u32_e64 v31, null, s15, v31, s0
	v_lshlrev_b64 v[32:33], 3, v[14:15]
	v_add_nc_u32_e32 v14, -11, v12
	global_load_dwordx2 v[30:31], v[30:31], off
	v_add_co_u32 v32, s0, s12, v32
	v_add_co_ci_u32_e64 v33, null, s13, v33, s0
	v_lshlrev_b64 v[34:35], 3, v[14:15]
	v_add_nc_u32_e32 v14, 2, v22
	global_load_dwordx2 v[32:33], v[32:33], off
	v_lshlrev_b64 v[36:37], 3, v[14:15]
	v_add_nc_u32_e32 v14, -4, v12
	v_add_co_u32 v34, s0, s12, v34
	v_add_co_ci_u32_e64 v35, null, s13, v35, s0
	v_lshlrev_b64 v[38:39], 3, v[14:15]
	v_add_co_u32 v36, s0, s14, v36
	v_add_co_ci_u32_e64 v37, null, s15, v37, s0
	v_add_nc_u32_e32 v14, -10, v12
	v_add_co_u32 v38, s0, s12, v38
	v_add_co_ci_u32_e64 v39, null, s13, v39, s0
	v_lshlrev_b64 v[40:41], 3, v[14:15]
	v_add_nc_u32_e32 v14, 3, v22
	global_load_dwordx2 v[34:35], v[34:35], off
	global_load_dwordx2 v[36:37], v[36:37], off
	global_load_dwordx2 v[38:39], v[38:39], off
	v_lshlrev_b64 v[42:43], 3, v[14:15]
	v_add_nc_u32_e32 v14, -3, v12
	v_add_co_u32 v40, s0, s12, v40
	v_add_co_ci_u32_e64 v41, null, s13, v41, s0
	v_lshlrev_b64 v[44:45], 3, v[14:15]
	v_add_co_u32 v42, s0, s14, v42
	v_add_co_ci_u32_e64 v43, null, s15, v43, s0
	v_add_nc_u32_e32 v14, -9, v12
	v_add_co_u32 v44, s0, s12, v44
	v_add_co_ci_u32_e64 v45, null, s13, v45, s0
	v_lshlrev_b64 v[46:47], 3, v[14:15]
	v_add_nc_u32_e32 v14, 4, v22
	global_load_dwordx2 v[40:41], v[40:41], off
	global_load_dwordx2 v[42:43], v[42:43], off
	;; [unrolled: 1-line block ×3, first 2 shown]
	v_lshlrev_b64 v[48:49], 3, v[14:15]
	v_add_nc_u32_e32 v14, -2, v12
	v_add_co_u32 v46, s0, s12, v46
	v_add_co_ci_u32_e64 v47, null, s13, v47, s0
	v_lshlrev_b64 v[50:51], 3, v[14:15]
	v_add_co_u32 v48, s0, s14, v48
	v_add_co_ci_u32_e64 v49, null, s15, v49, s0
	v_add_nc_u32_e32 v14, -8, v12
	v_add_co_u32 v50, s0, s12, v50
	v_add_co_ci_u32_e64 v51, null, s13, v51, s0
	global_load_dwordx2 v[46:47], v[46:47], off
	v_lshlrev_b64 v[52:53], 3, v[14:15]
	v_add_nc_u32_e32 v14, 5, v22
	global_load_dwordx2 v[48:49], v[48:49], off
	global_load_dwordx2 v[50:51], v[50:51], off
	v_lshlrev_b64 v[54:55], 3, v[14:15]
	v_add_nc_u32_e32 v14, -1, v12
	v_add_co_u32 v52, s0, s12, v52
	v_add_co_ci_u32_e64 v53, null, s13, v53, s0
	v_lshlrev_b64 v[13:14], 3, v[14:15]
	v_add_co_u32 v54, s0, s14, v54
	v_add_co_ci_u32_e64 v55, null, s15, v55, s0
	global_load_dwordx2 v[52:53], v[52:53], off
	v_add_co_u32 v13, s0, s12, v13
	v_add_co_ci_u32_e64 v14, null, s13, v14, s0
	global_load_dwordx2 v[54:55], v[54:55], off
	global_load_dwordx2 v[56:57], v[13:14], off
	v_add_nc_u32_e32 v14, -7, v12
	v_add_nc_u32_e32 v12, 0xe0, v12
	v_lshlrev_b64 v[58:59], 3, v[14:15]
	v_add_nc_u32_e32 v14, 6, v22
	v_lshlrev_b64 v[13:14], 3, v[14:15]
	v_add_co_u32 v22, vcc_lo, s12, v58
	v_add_co_ci_u32_e64 v23, null, s13, v59, vcc_lo
	v_add_co_u32 v13, vcc_lo, s14, v13
	v_add_co_ci_u32_e64 v14, null, s15, v14, vcc_lo
	s_clause 0x1
	global_load_dwordx2 v[24:25], v[24:25], off
	global_load_dwordx2 v[22:23], v[22:23], off
	;; [unrolled: 1-line block ×3, first 2 shown]
	v_cmp_ge_i32_e32 vcc_lo, v8, v17
	s_or_b32 s3, vcc_lo, s3
	s_waitcnt vmcnt(17)
	v_fma_f64 v[6:7], v[18:19], v[28:29], v[6:7]
	v_fma_f64 v[9:10], v[26:27], v[28:29], v[10:11]
	s_waitcnt vmcnt(16)
	v_fma_f64 v[6:7], v[20:21], v[30:31], v[6:7]
	s_waitcnt vmcnt(15)
	;; [unrolled: 2-line block ×11, first 2 shown]
	v_fma_f64 v[6:7], v[22:23], v[13:14], v[6:7]
	v_fma_f64 v[10:11], v[24:25], v[13:14], v[9:10]
	s_andn2_b32 exec_lo, exec_lo, s3
	s_cbranch_execnz .LBB103_15
; %bb.16:
	s_or_b32 exec_lo, exec_lo, s3
.LBB103_17:
	s_or_b32 exec_lo, exec_lo, s1
.LBB103_18:
	v_mbcnt_lo_u32_b32 v14, -1, 0
	v_xor_b32_e32 v8, 8, v14
	v_cmp_gt_i32_e32 vcc_lo, 32, v8
	v_cndmask_b32_e32 v8, v14, v8, vcc_lo
	v_lshlrev_b32_e32 v13, 2, v8
	ds_bpermute_b32 v8, v13, v6
	ds_bpermute_b32 v9, v13, v7
	;; [unrolled: 1-line block ×4, first 2 shown]
	s_waitcnt lgkmcnt(2)
	v_add_f64 v[6:7], v[6:7], v[8:9]
	s_waitcnt lgkmcnt(0)
	v_add_f64 v[8:9], v[10:11], v[12:13]
	v_xor_b32_e32 v10, 4, v14
	v_cmp_gt_i32_e32 vcc_lo, 32, v10
	v_cndmask_b32_e32 v10, v14, v10, vcc_lo
	v_lshlrev_b32_e32 v13, 2, v10
	ds_bpermute_b32 v10, v13, v6
	ds_bpermute_b32 v11, v13, v7
	;; [unrolled: 1-line block ×4, first 2 shown]
	s_waitcnt lgkmcnt(2)
	v_add_f64 v[6:7], v[6:7], v[10:11]
	v_xor_b32_e32 v10, 2, v14
	s_waitcnt lgkmcnt(0)
	v_add_f64 v[8:9], v[8:9], v[12:13]
	v_cmp_gt_i32_e32 vcc_lo, 32, v10
	v_cndmask_b32_e32 v10, v14, v10, vcc_lo
	v_lshlrev_b32_e32 v13, 2, v10
	ds_bpermute_b32 v10, v13, v6
	ds_bpermute_b32 v11, v13, v7
	;; [unrolled: 1-line block ×4, first 2 shown]
	s_waitcnt lgkmcnt(2)
	v_add_f64 v[6:7], v[6:7], v[10:11]
	s_waitcnt lgkmcnt(0)
	v_add_f64 v[10:11], v[8:9], v[12:13]
	v_xor_b32_e32 v8, 1, v14
	v_cmp_gt_i32_e32 vcc_lo, 32, v8
	v_cndmask_b32_e32 v8, v14, v8, vcc_lo
	v_cmp_eq_u32_e32 vcc_lo, 15, v0
	v_lshlrev_b32_e32 v13, 2, v8
	ds_bpermute_b32 v8, v13, v6
	ds_bpermute_b32 v9, v13, v7
	;; [unrolled: 1-line block ×4, first 2 shown]
	s_and_b32 exec_lo, exec_lo, vcc_lo
	s_cbranch_execz .LBB103_23
; %bb.19:
	s_waitcnt lgkmcnt(2)
	v_add_f64 v[8:9], v[6:7], v[8:9]
	s_waitcnt lgkmcnt(0)
	v_add_f64 v[6:7], v[10:11], v[12:13]
	s_load_dwordx2 s[0:1], s[4:5], 0x38
	s_mov_b32 s2, exec_lo
	v_cmpx_eq_f64_e32 0, v[3:4]
	s_xor_b32 s2, exec_lo, s2
	s_cbranch_execz .LBB103_21
; %bb.20:
	v_lshlrev_b32_e32 v0, 1, v5
	v_mul_f64 v[3:4], v[1:2], v[8:9]
	v_mul_f64 v[5:6], v[1:2], v[6:7]
                                        ; implicit-def: $vgpr8_vgpr9
	v_ashrrev_i32_e32 v1, 31, v0
	v_lshlrev_b64 v[0:1], 3, v[0:1]
	s_waitcnt lgkmcnt(0)
	v_add_co_u32 v0, vcc_lo, s0, v0
	v_add_co_ci_u32_e64 v1, null, s1, v1, vcc_lo
	global_store_dwordx4 v[0:1], v[3:6], off
                                        ; implicit-def: $vgpr5
                                        ; implicit-def: $vgpr1_vgpr2
                                        ; implicit-def: $vgpr3_vgpr4
                                        ; implicit-def: $vgpr6_vgpr7
.LBB103_21:
	s_andn2_saveexec_b32 s2, s2
	s_cbranch_execz .LBB103_23
; %bb.22:
	v_lshlrev_b32_e32 v10, 1, v5
	v_mul_f64 v[8:9], v[1:2], v[8:9]
	v_mul_f64 v[5:6], v[1:2], v[6:7]
	v_ashrrev_i32_e32 v11, 31, v10
	v_lshlrev_b64 v[10:11], 3, v[10:11]
	s_waitcnt lgkmcnt(0)
	v_add_co_u32 v14, vcc_lo, s0, v10
	v_add_co_ci_u32_e64 v15, null, s1, v11, vcc_lo
	global_load_dwordx4 v[10:13], v[14:15], off
	s_waitcnt vmcnt(0)
	v_fma_f64 v[0:1], v[3:4], v[10:11], v[8:9]
	v_fma_f64 v[2:3], v[3:4], v[12:13], v[5:6]
	global_store_dwordx4 v[14:15], v[0:3], off
.LBB103_23:
	s_endpgm
	.section	.rodata,"a",@progbits
	.p2align	6, 0x0
	.amdhsa_kernel _ZN9rocsparseL19gebsrmvn_2xn_kernelILj128ELj7ELj16EdEEvi20rocsparse_direction_NS_24const_host_device_scalarIT2_EEPKiS6_PKS3_S8_S4_PS3_21rocsparse_index_base_b
		.amdhsa_group_segment_fixed_size 0
		.amdhsa_private_segment_fixed_size 0
		.amdhsa_kernarg_size 72
		.amdhsa_user_sgpr_count 6
		.amdhsa_user_sgpr_private_segment_buffer 1
		.amdhsa_user_sgpr_dispatch_ptr 0
		.amdhsa_user_sgpr_queue_ptr 0
		.amdhsa_user_sgpr_kernarg_segment_ptr 1
		.amdhsa_user_sgpr_dispatch_id 0
		.amdhsa_user_sgpr_flat_scratch_init 0
		.amdhsa_user_sgpr_private_segment_size 0
		.amdhsa_wavefront_size32 1
		.amdhsa_uses_dynamic_stack 0
		.amdhsa_system_sgpr_private_segment_wavefront_offset 0
		.amdhsa_system_sgpr_workgroup_id_x 1
		.amdhsa_system_sgpr_workgroup_id_y 0
		.amdhsa_system_sgpr_workgroup_id_z 0
		.amdhsa_system_sgpr_workgroup_info 0
		.amdhsa_system_vgpr_workitem_id 0
		.amdhsa_next_free_vgpr 60
		.amdhsa_next_free_sgpr 16
		.amdhsa_reserve_vcc 1
		.amdhsa_reserve_flat_scratch 0
		.amdhsa_float_round_mode_32 0
		.amdhsa_float_round_mode_16_64 0
		.amdhsa_float_denorm_mode_32 3
		.amdhsa_float_denorm_mode_16_64 3
		.amdhsa_dx10_clamp 1
		.amdhsa_ieee_mode 1
		.amdhsa_fp16_overflow 0
		.amdhsa_workgroup_processor_mode 1
		.amdhsa_memory_ordered 1
		.amdhsa_forward_progress 1
		.amdhsa_shared_vgpr_count 0
		.amdhsa_exception_fp_ieee_invalid_op 0
		.amdhsa_exception_fp_denorm_src 0
		.amdhsa_exception_fp_ieee_div_zero 0
		.amdhsa_exception_fp_ieee_overflow 0
		.amdhsa_exception_fp_ieee_underflow 0
		.amdhsa_exception_fp_ieee_inexact 0
		.amdhsa_exception_int_div_zero 0
	.end_amdhsa_kernel
	.section	.text._ZN9rocsparseL19gebsrmvn_2xn_kernelILj128ELj7ELj16EdEEvi20rocsparse_direction_NS_24const_host_device_scalarIT2_EEPKiS6_PKS3_S8_S4_PS3_21rocsparse_index_base_b,"axG",@progbits,_ZN9rocsparseL19gebsrmvn_2xn_kernelILj128ELj7ELj16EdEEvi20rocsparse_direction_NS_24const_host_device_scalarIT2_EEPKiS6_PKS3_S8_S4_PS3_21rocsparse_index_base_b,comdat
.Lfunc_end103:
	.size	_ZN9rocsparseL19gebsrmvn_2xn_kernelILj128ELj7ELj16EdEEvi20rocsparse_direction_NS_24const_host_device_scalarIT2_EEPKiS6_PKS3_S8_S4_PS3_21rocsparse_index_base_b, .Lfunc_end103-_ZN9rocsparseL19gebsrmvn_2xn_kernelILj128ELj7ELj16EdEEvi20rocsparse_direction_NS_24const_host_device_scalarIT2_EEPKiS6_PKS3_S8_S4_PS3_21rocsparse_index_base_b
                                        ; -- End function
	.set _ZN9rocsparseL19gebsrmvn_2xn_kernelILj128ELj7ELj16EdEEvi20rocsparse_direction_NS_24const_host_device_scalarIT2_EEPKiS6_PKS3_S8_S4_PS3_21rocsparse_index_base_b.num_vgpr, 60
	.set _ZN9rocsparseL19gebsrmvn_2xn_kernelILj128ELj7ELj16EdEEvi20rocsparse_direction_NS_24const_host_device_scalarIT2_EEPKiS6_PKS3_S8_S4_PS3_21rocsparse_index_base_b.num_agpr, 0
	.set _ZN9rocsparseL19gebsrmvn_2xn_kernelILj128ELj7ELj16EdEEvi20rocsparse_direction_NS_24const_host_device_scalarIT2_EEPKiS6_PKS3_S8_S4_PS3_21rocsparse_index_base_b.numbered_sgpr, 16
	.set _ZN9rocsparseL19gebsrmvn_2xn_kernelILj128ELj7ELj16EdEEvi20rocsparse_direction_NS_24const_host_device_scalarIT2_EEPKiS6_PKS3_S8_S4_PS3_21rocsparse_index_base_b.num_named_barrier, 0
	.set _ZN9rocsparseL19gebsrmvn_2xn_kernelILj128ELj7ELj16EdEEvi20rocsparse_direction_NS_24const_host_device_scalarIT2_EEPKiS6_PKS3_S8_S4_PS3_21rocsparse_index_base_b.private_seg_size, 0
	.set _ZN9rocsparseL19gebsrmvn_2xn_kernelILj128ELj7ELj16EdEEvi20rocsparse_direction_NS_24const_host_device_scalarIT2_EEPKiS6_PKS3_S8_S4_PS3_21rocsparse_index_base_b.uses_vcc, 1
	.set _ZN9rocsparseL19gebsrmvn_2xn_kernelILj128ELj7ELj16EdEEvi20rocsparse_direction_NS_24const_host_device_scalarIT2_EEPKiS6_PKS3_S8_S4_PS3_21rocsparse_index_base_b.uses_flat_scratch, 0
	.set _ZN9rocsparseL19gebsrmvn_2xn_kernelILj128ELj7ELj16EdEEvi20rocsparse_direction_NS_24const_host_device_scalarIT2_EEPKiS6_PKS3_S8_S4_PS3_21rocsparse_index_base_b.has_dyn_sized_stack, 0
	.set _ZN9rocsparseL19gebsrmvn_2xn_kernelILj128ELj7ELj16EdEEvi20rocsparse_direction_NS_24const_host_device_scalarIT2_EEPKiS6_PKS3_S8_S4_PS3_21rocsparse_index_base_b.has_recursion, 0
	.set _ZN9rocsparseL19gebsrmvn_2xn_kernelILj128ELj7ELj16EdEEvi20rocsparse_direction_NS_24const_host_device_scalarIT2_EEPKiS6_PKS3_S8_S4_PS3_21rocsparse_index_base_b.has_indirect_call, 0
	.section	.AMDGPU.csdata,"",@progbits
; Kernel info:
; codeLenInByte = 2588
; TotalNumSgprs: 18
; NumVgprs: 60
; ScratchSize: 0
; MemoryBound: 0
; FloatMode: 240
; IeeeMode: 1
; LDSByteSize: 0 bytes/workgroup (compile time only)
; SGPRBlocks: 0
; VGPRBlocks: 7
; NumSGPRsForWavesPerEU: 18
; NumVGPRsForWavesPerEU: 60
; Occupancy: 16
; WaveLimiterHint : 1
; COMPUTE_PGM_RSRC2:SCRATCH_EN: 0
; COMPUTE_PGM_RSRC2:USER_SGPR: 6
; COMPUTE_PGM_RSRC2:TRAP_HANDLER: 0
; COMPUTE_PGM_RSRC2:TGID_X_EN: 1
; COMPUTE_PGM_RSRC2:TGID_Y_EN: 0
; COMPUTE_PGM_RSRC2:TGID_Z_EN: 0
; COMPUTE_PGM_RSRC2:TIDIG_COMP_CNT: 0
	.section	.text._ZN9rocsparseL19gebsrmvn_2xn_kernelILj128ELj7ELj32EdEEvi20rocsparse_direction_NS_24const_host_device_scalarIT2_EEPKiS6_PKS3_S8_S4_PS3_21rocsparse_index_base_b,"axG",@progbits,_ZN9rocsparseL19gebsrmvn_2xn_kernelILj128ELj7ELj32EdEEvi20rocsparse_direction_NS_24const_host_device_scalarIT2_EEPKiS6_PKS3_S8_S4_PS3_21rocsparse_index_base_b,comdat
	.globl	_ZN9rocsparseL19gebsrmvn_2xn_kernelILj128ELj7ELj32EdEEvi20rocsparse_direction_NS_24const_host_device_scalarIT2_EEPKiS6_PKS3_S8_S4_PS3_21rocsparse_index_base_b ; -- Begin function _ZN9rocsparseL19gebsrmvn_2xn_kernelILj128ELj7ELj32EdEEvi20rocsparse_direction_NS_24const_host_device_scalarIT2_EEPKiS6_PKS3_S8_S4_PS3_21rocsparse_index_base_b
	.p2align	8
	.type	_ZN9rocsparseL19gebsrmvn_2xn_kernelILj128ELj7ELj32EdEEvi20rocsparse_direction_NS_24const_host_device_scalarIT2_EEPKiS6_PKS3_S8_S4_PS3_21rocsparse_index_base_b,@function
_ZN9rocsparseL19gebsrmvn_2xn_kernelILj128ELj7ELj32EdEEvi20rocsparse_direction_NS_24const_host_device_scalarIT2_EEPKiS6_PKS3_S8_S4_PS3_21rocsparse_index_base_b: ; @_ZN9rocsparseL19gebsrmvn_2xn_kernelILj128ELj7ELj32EdEEvi20rocsparse_direction_NS_24const_host_device_scalarIT2_EEPKiS6_PKS3_S8_S4_PS3_21rocsparse_index_base_b
; %bb.0:
	s_clause 0x2
	s_load_dwordx2 s[2:3], s[4:5], 0x40
	s_load_dwordx2 s[8:9], s[4:5], 0x8
	s_load_dwordx2 s[0:1], s[4:5], 0x30
	s_waitcnt lgkmcnt(0)
	s_bitcmp1_b32 s3, 0
	v_mov_b32_e32 v1, s8
	v_mov_b32_e32 v2, s9
	s_cselect_b32 s3, -1, 0
	s_and_b32 vcc_lo, exec_lo, s3
	s_xor_b32 s3, s3, -1
	s_cbranch_vccnz .LBB104_2
; %bb.1:
	v_mov_b32_e32 v1, s8
	v_mov_b32_e32 v2, s9
	flat_load_dwordx2 v[1:2], v[1:2]
.LBB104_2:
	v_mov_b32_e32 v4, s1
	v_mov_b32_e32 v3, s0
	s_andn2_b32 vcc_lo, exec_lo, s3
	s_cbranch_vccnz .LBB104_4
; %bb.3:
	v_mov_b32_e32 v4, s1
	v_mov_b32_e32 v3, s0
	flat_load_dwordx2 v[3:4], v[3:4]
.LBB104_4:
	s_waitcnt vmcnt(0) lgkmcnt(0)
	v_cmp_neq_f64_e32 vcc_lo, 0, v[1:2]
	v_cmp_neq_f64_e64 s0, 1.0, v[3:4]
	s_or_b32 s0, vcc_lo, s0
	s_and_saveexec_b32 s1, s0
	s_cbranch_execz .LBB104_23
; %bb.5:
	s_load_dwordx2 s[0:1], s[4:5], 0x0
	v_lshrrev_b32_e32 v5, 5, v0
	v_lshl_or_b32 v5, s6, 2, v5
	s_waitcnt lgkmcnt(0)
	v_cmp_gt_i32_e32 vcc_lo, s0, v5
	s_and_b32 exec_lo, exec_lo, vcc_lo
	s_cbranch_execz .LBB104_23
; %bb.6:
	s_load_dwordx8 s[8:15], s[4:5], 0x10
	v_ashrrev_i32_e32 v6, 31, v5
	v_and_b32_e32 v0, 31, v0
	s_cmp_lg_u32 s1, 0
	v_lshlrev_b64 v[6:7], 2, v[5:6]
	s_waitcnt lgkmcnt(0)
	v_add_co_u32 v6, vcc_lo, s8, v6
	v_add_co_ci_u32_e64 v7, null, s9, v7, vcc_lo
	global_load_dwordx2 v[6:7], v[6:7], off
	s_waitcnt vmcnt(0)
	v_subrev_nc_u32_e32 v6, s2, v6
	v_subrev_nc_u32_e32 v16, s2, v7
	v_add_nc_u32_e32 v10, v6, v0
	v_cmp_lt_i32_e64 s0, v10, v16
	s_cbranch_scc0 .LBB104_12
; %bb.7:
	v_mov_b32_e32 v6, 0
	v_mov_b32_e32 v8, 0
	;; [unrolled: 1-line block ×4, first 2 shown]
	s_and_saveexec_b32 s3, s0
	s_cbranch_execz .LBB104_11
; %bb.8:
	v_mad_u64_u32 v[11:12], null, v10, 14, 12
	v_mov_b32_e32 v6, 0
	v_mov_b32_e32 v8, 0
	;; [unrolled: 1-line block ×6, first 2 shown]
	s_mov_b32 s6, 0
.LBB104_9:                              ; =>This Inner Loop Header: Depth=1
	v_ashrrev_i32_e32 v15, 31, v14
	v_add_nc_u32_e32 v12, -12, v11
	v_mov_b32_e32 v42, v13
	v_lshlrev_b64 v[17:18], 2, v[14:15]
	v_add_nc_u32_e32 v14, 32, v14
	v_add_co_u32 v17, vcc_lo, s10, v17
	v_add_co_ci_u32_e64 v18, null, s11, v18, vcc_lo
	global_load_dword v15, v[17:18], off
	v_lshlrev_b64 v[17:18], 3, v[12:13]
	v_add_nc_u32_e32 v12, -10, v11
	v_lshlrev_b64 v[19:20], 3, v[12:13]
	v_add_co_u32 v17, vcc_lo, s12, v17
	v_add_co_ci_u32_e64 v18, null, s13, v18, vcc_lo
	v_add_co_u32 v21, vcc_lo, s12, v19
	s_waitcnt vmcnt(0)
	v_subrev_nc_u32_e32 v12, s2, v15
	v_mul_lo_u32 v41, v12, 7
	v_lshlrev_b64 v[22:23], 3, v[41:42]
	v_add_nc_u32_e32 v12, 1, v41
	v_add_co_u32 v25, s1, s14, v22
	v_add_co_ci_u32_e64 v22, null, s13, v20, vcc_lo
	v_add_co_ci_u32_e64 v26, null, s15, v23, s1
	s_clause 0x1
	global_load_dwordx4 v[17:20], v[17:18], off
	global_load_dwordx4 v[21:24], v[21:22], off
	global_load_dwordx2 v[45:46], v[25:26], off
	v_lshlrev_b64 v[25:26], 3, v[12:13]
	v_add_nc_u32_e32 v12, -8, v11
	v_lshlrev_b64 v[27:28], 3, v[12:13]
	v_add_co_u32 v25, vcc_lo, s14, v25
	v_add_co_ci_u32_e64 v26, null, s15, v26, vcc_lo
	v_add_nc_u32_e32 v12, 2, v41
	v_add_co_u32 v27, vcc_lo, s12, v27
	global_load_dwordx2 v[47:48], v[25:26], off
	v_add_co_ci_u32_e64 v28, null, s13, v28, vcc_lo
	v_lshlrev_b64 v[25:26], 3, v[12:13]
	v_add_nc_u32_e32 v12, -6, v11
	v_add_co_u32 v29, vcc_lo, s14, v25
	v_add_co_ci_u32_e64 v30, null, s15, v26, vcc_lo
	global_load_dwordx4 v[25:28], v[27:28], off
	global_load_dwordx2 v[49:50], v[29:30], off
	v_lshlrev_b64 v[31:32], 3, v[12:13]
	v_add_nc_u32_e32 v12, 3, v41
	v_lshlrev_b64 v[29:30], 3, v[12:13]
	v_add_co_u32 v31, vcc_lo, s12, v31
	v_add_co_ci_u32_e64 v32, null, s13, v32, vcc_lo
	v_add_nc_u32_e32 v12, -4, v11
	v_add_co_u32 v33, vcc_lo, s14, v29
	v_add_co_ci_u32_e64 v34, null, s15, v30, vcc_lo
	global_load_dwordx4 v[29:32], v[31:32], off
	global_load_dwordx2 v[51:52], v[33:34], off
	v_lshlrev_b64 v[35:36], 3, v[12:13]
	v_add_nc_u32_e32 v12, 4, v41
	v_lshlrev_b64 v[33:34], 3, v[12:13]
	v_add_co_u32 v35, vcc_lo, s12, v35
	v_add_co_ci_u32_e64 v36, null, s13, v36, vcc_lo
	;; [unrolled: 10-line block ×3, first 2 shown]
	v_mov_b32_e32 v12, v13
	v_add_co_u32 v42, vcc_lo, s14, v39
	v_add_co_ci_u32_e64 v43, null, s15, v40, vcc_lo
	global_load_dwordx4 v[37:40], v[37:38], off
	global_load_dwordx2 v[55:56], v[42:43], off
	v_lshlrev_b64 v[42:43], 3, v[11:12]
	v_add_nc_u32_e32 v12, 6, v41
	v_add_nc_u32_e32 v11, 0x1c0, v11
	v_lshlrev_b64 v[57:58], 3, v[12:13]
	v_add_co_u32 v41, vcc_lo, s12, v42
	v_add_co_ci_u32_e64 v42, null, s13, v43, vcc_lo
	v_add_co_u32 v57, vcc_lo, s14, v57
	v_add_co_ci_u32_e64 v58, null, s15, v58, vcc_lo
	global_load_dwordx4 v[41:44], v[41:42], off
	global_load_dwordx2 v[57:58], v[57:58], off
	v_cmp_ge_i32_e32 vcc_lo, v14, v16
	s_or_b32 s6, vcc_lo, s6
	s_waitcnt vmcnt(11)
	v_fma_f64 v[6:7], v[17:18], v[45:46], v[6:7]
	v_fma_f64 v[8:9], v[19:20], v[45:46], v[8:9]
	s_waitcnt vmcnt(10)
	v_fma_f64 v[6:7], v[21:22], v[47:48], v[6:7]
	v_fma_f64 v[8:9], v[23:24], v[47:48], v[8:9]
	;; [unrolled: 3-line block ×7, first 2 shown]
	s_andn2_b32 exec_lo, exec_lo, s6
	s_cbranch_execnz .LBB104_9
; %bb.10:
	s_or_b32 exec_lo, exec_lo, s6
.LBB104_11:
	s_or_b32 exec_lo, exec_lo, s3
	s_cbranch_execz .LBB104_13
	s_branch .LBB104_18
.LBB104_12:
                                        ; implicit-def: $vgpr6_vgpr7
                                        ; implicit-def: $vgpr8_vgpr9
.LBB104_13:
	v_mov_b32_e32 v6, 0
	v_mov_b32_e32 v8, 0
	;; [unrolled: 1-line block ×4, first 2 shown]
	s_and_saveexec_b32 s1, s0
	s_cbranch_execz .LBB104_17
; %bb.14:
	v_mad_u64_u32 v[12:13], null, v10, 14, 13
	v_mov_b32_e32 v6, 0
	v_mov_b32_e32 v8, 0
	;; [unrolled: 1-line block ×5, first 2 shown]
	s_mov_b32 s3, 0
.LBB104_15:                             ; =>This Inner Loop Header: Depth=1
	v_ashrrev_i32_e32 v11, 31, v10
	v_add_nc_u32_e32 v17, -6, v12
	v_mov_b32_e32 v22, v15
	v_mov_b32_e32 v18, v15
	v_lshlrev_b64 v[13:14], 2, v[10:11]
	v_add_nc_u32_e32 v10, 32, v10
	v_lshlrev_b64 v[17:18], 3, v[17:18]
	v_add_co_u32 v13, vcc_lo, s10, v13
	v_add_co_ci_u32_e64 v14, null, s11, v14, vcc_lo
	global_load_dword v11, v[13:14], off
	v_add_nc_u32_e32 v14, -13, v12
	v_mov_b32_e32 v13, v15
	v_lshlrev_b64 v[19:20], 3, v[14:15]
	v_lshlrev_b64 v[23:24], 3, v[12:13]
	v_add_co_u32 v13, vcc_lo, s12, v19
	v_add_co_ci_u32_e64 v14, null, s13, v20, vcc_lo
	v_add_co_u32 v25, vcc_lo, s12, v17
	v_add_co_ci_u32_e64 v26, null, s13, v18, vcc_lo
	s_clause 0x1
	global_load_dwordx4 v[17:20], v[13:14], off
	global_load_dwordx2 v[25:26], v[25:26], off
	v_add_co_u32 v23, vcc_lo, s12, v23
	v_add_co_ci_u32_e64 v24, null, s13, v24, vcc_lo
	s_waitcnt vmcnt(2)
	v_subrev_nc_u32_e32 v11, s2, v11
	v_mul_lo_u32 v21, v11, 7
	v_lshlrev_b64 v[27:28], 3, v[21:22]
	v_add_nc_u32_e32 v14, 1, v21
	v_lshlrev_b64 v[29:30], 3, v[14:15]
	v_add_co_u32 v27, s0, s14, v27
	v_add_co_ci_u32_e64 v28, null, s15, v28, s0
	v_add_nc_u32_e32 v14, -5, v12
	v_add_co_u32 v29, s0, s14, v29
	global_load_dwordx2 v[27:28], v[27:28], off
	v_add_co_ci_u32_e64 v30, null, s15, v30, s0
	v_lshlrev_b64 v[31:32], 3, v[14:15]
	v_add_nc_u32_e32 v14, -11, v12
	global_load_dwordx2 v[29:30], v[29:30], off
	v_add_co_u32 v31, s0, s12, v31
	v_add_co_ci_u32_e64 v32, null, s13, v32, s0
	v_lshlrev_b64 v[33:34], 3, v[14:15]
	v_add_nc_u32_e32 v14, 2, v21
	global_load_dwordx2 v[31:32], v[31:32], off
	v_lshlrev_b64 v[35:36], 3, v[14:15]
	v_add_nc_u32_e32 v14, -4, v12
	v_add_co_u32 v33, s0, s12, v33
	v_add_co_ci_u32_e64 v34, null, s13, v34, s0
	v_lshlrev_b64 v[37:38], 3, v[14:15]
	v_add_co_u32 v35, s0, s14, v35
	v_add_co_ci_u32_e64 v36, null, s15, v36, s0
	v_add_nc_u32_e32 v14, -10, v12
	v_add_co_u32 v37, s0, s12, v37
	v_add_co_ci_u32_e64 v38, null, s13, v38, s0
	v_lshlrev_b64 v[39:40], 3, v[14:15]
	v_add_nc_u32_e32 v14, 3, v21
	global_load_dwordx2 v[33:34], v[33:34], off
	global_load_dwordx2 v[35:36], v[35:36], off
	;; [unrolled: 1-line block ×3, first 2 shown]
	v_lshlrev_b64 v[41:42], 3, v[14:15]
	v_add_nc_u32_e32 v14, -3, v12
	v_add_co_u32 v39, s0, s12, v39
	v_add_co_ci_u32_e64 v40, null, s13, v40, s0
	v_lshlrev_b64 v[43:44], 3, v[14:15]
	v_add_co_u32 v41, s0, s14, v41
	v_add_co_ci_u32_e64 v42, null, s15, v42, s0
	v_add_nc_u32_e32 v14, -9, v12
	v_add_co_u32 v43, s0, s12, v43
	v_add_co_ci_u32_e64 v44, null, s13, v44, s0
	v_lshlrev_b64 v[45:46], 3, v[14:15]
	v_add_nc_u32_e32 v14, 4, v21
	global_load_dwordx2 v[39:40], v[39:40], off
	global_load_dwordx2 v[41:42], v[41:42], off
	;; [unrolled: 1-line block ×3, first 2 shown]
	v_lshlrev_b64 v[47:48], 3, v[14:15]
	v_add_nc_u32_e32 v14, -2, v12
	v_add_co_u32 v45, s0, s12, v45
	v_add_co_ci_u32_e64 v46, null, s13, v46, s0
	v_lshlrev_b64 v[49:50], 3, v[14:15]
	v_add_co_u32 v47, s0, s14, v47
	v_add_co_ci_u32_e64 v48, null, s15, v48, s0
	v_add_nc_u32_e32 v14, -8, v12
	v_add_co_u32 v49, s0, s12, v49
	v_add_co_ci_u32_e64 v50, null, s13, v50, s0
	global_load_dwordx2 v[45:46], v[45:46], off
	v_lshlrev_b64 v[51:52], 3, v[14:15]
	v_add_nc_u32_e32 v14, 5, v21
	global_load_dwordx2 v[47:48], v[47:48], off
	global_load_dwordx2 v[49:50], v[49:50], off
	v_lshlrev_b64 v[53:54], 3, v[14:15]
	v_add_nc_u32_e32 v14, -1, v12
	v_add_co_u32 v51, s0, s12, v51
	v_add_co_ci_u32_e64 v52, null, s13, v52, s0
	v_lshlrev_b64 v[13:14], 3, v[14:15]
	v_add_co_u32 v53, s0, s14, v53
	v_add_co_ci_u32_e64 v54, null, s15, v54, s0
	global_load_dwordx2 v[51:52], v[51:52], off
	v_add_co_u32 v13, s0, s12, v13
	v_add_co_ci_u32_e64 v14, null, s13, v14, s0
	global_load_dwordx2 v[53:54], v[53:54], off
	global_load_dwordx2 v[55:56], v[13:14], off
	v_add_nc_u32_e32 v14, -7, v12
	v_add_nc_u32_e32 v12, 0x1c0, v12
	v_lshlrev_b64 v[57:58], 3, v[14:15]
	v_add_nc_u32_e32 v14, 6, v21
	v_lshlrev_b64 v[13:14], 3, v[14:15]
	v_add_co_u32 v21, vcc_lo, s12, v57
	v_add_co_ci_u32_e64 v22, null, s13, v58, vcc_lo
	v_add_co_u32 v13, vcc_lo, s14, v13
	v_add_co_ci_u32_e64 v14, null, s15, v14, vcc_lo
	s_clause 0x1
	global_load_dwordx2 v[23:24], v[23:24], off
	global_load_dwordx2 v[21:22], v[21:22], off
	;; [unrolled: 1-line block ×3, first 2 shown]
	v_cmp_ge_i32_e32 vcc_lo, v10, v16
	s_or_b32 s3, vcc_lo, s3
	s_waitcnt vmcnt(17)
	v_fma_f64 v[6:7], v[17:18], v[27:28], v[6:7]
	v_fma_f64 v[8:9], v[25:26], v[27:28], v[8:9]
	s_waitcnt vmcnt(16)
	v_fma_f64 v[6:7], v[19:20], v[29:30], v[6:7]
	s_waitcnt vmcnt(15)
	;; [unrolled: 2-line block ×11, first 2 shown]
	v_fma_f64 v[6:7], v[21:22], v[13:14], v[6:7]
	v_fma_f64 v[8:9], v[23:24], v[13:14], v[8:9]
	s_andn2_b32 exec_lo, exec_lo, s3
	s_cbranch_execnz .LBB104_15
; %bb.16:
	s_or_b32 exec_lo, exec_lo, s3
.LBB104_17:
	s_or_b32 exec_lo, exec_lo, s1
.LBB104_18:
	v_mbcnt_lo_u32_b32 v14, -1, 0
	v_xor_b32_e32 v10, 16, v14
	v_cmp_gt_i32_e32 vcc_lo, 32, v10
	v_cndmask_b32_e32 v10, v14, v10, vcc_lo
	v_lshlrev_b32_e32 v13, 2, v10
	ds_bpermute_b32 v10, v13, v6
	ds_bpermute_b32 v11, v13, v7
	ds_bpermute_b32 v12, v13, v8
	ds_bpermute_b32 v13, v13, v9
	s_waitcnt lgkmcnt(2)
	v_add_f64 v[6:7], v[6:7], v[10:11]
	v_xor_b32_e32 v10, 8, v14
	s_waitcnt lgkmcnt(0)
	v_add_f64 v[8:9], v[8:9], v[12:13]
	v_cmp_gt_i32_e32 vcc_lo, 32, v10
	v_cndmask_b32_e32 v10, v14, v10, vcc_lo
	v_lshlrev_b32_e32 v13, 2, v10
	ds_bpermute_b32 v10, v13, v6
	ds_bpermute_b32 v11, v13, v7
	ds_bpermute_b32 v12, v13, v8
	ds_bpermute_b32 v13, v13, v9
	s_waitcnt lgkmcnt(2)
	v_add_f64 v[6:7], v[6:7], v[10:11]
	v_xor_b32_e32 v10, 4, v14
	s_waitcnt lgkmcnt(0)
	v_add_f64 v[8:9], v[8:9], v[12:13]
	;; [unrolled: 12-line block ×3, first 2 shown]
	v_cmp_gt_i32_e32 vcc_lo, 32, v10
	v_cndmask_b32_e32 v10, v14, v10, vcc_lo
	v_lshlrev_b32_e32 v13, 2, v10
	ds_bpermute_b32 v10, v13, v6
	ds_bpermute_b32 v11, v13, v7
	;; [unrolled: 1-line block ×4, first 2 shown]
	s_waitcnt lgkmcnt(2)
	v_add_f64 v[6:7], v[6:7], v[10:11]
	s_waitcnt lgkmcnt(0)
	v_add_f64 v[10:11], v[8:9], v[12:13]
	v_xor_b32_e32 v8, 1, v14
	v_cmp_gt_i32_e32 vcc_lo, 32, v8
	v_cndmask_b32_e32 v8, v14, v8, vcc_lo
	v_cmp_eq_u32_e32 vcc_lo, 31, v0
	v_lshlrev_b32_e32 v13, 2, v8
	ds_bpermute_b32 v8, v13, v6
	ds_bpermute_b32 v9, v13, v7
	;; [unrolled: 1-line block ×4, first 2 shown]
	s_and_b32 exec_lo, exec_lo, vcc_lo
	s_cbranch_execz .LBB104_23
; %bb.19:
	s_waitcnt lgkmcnt(2)
	v_add_f64 v[8:9], v[6:7], v[8:9]
	s_waitcnt lgkmcnt(0)
	v_add_f64 v[6:7], v[10:11], v[12:13]
	s_load_dwordx2 s[0:1], s[4:5], 0x38
	s_mov_b32 s2, exec_lo
	v_cmpx_eq_f64_e32 0, v[3:4]
	s_xor_b32 s2, exec_lo, s2
	s_cbranch_execz .LBB104_21
; %bb.20:
	v_lshlrev_b32_e32 v0, 1, v5
	v_mul_f64 v[3:4], v[1:2], v[8:9]
	v_mul_f64 v[5:6], v[1:2], v[6:7]
                                        ; implicit-def: $vgpr8_vgpr9
	v_ashrrev_i32_e32 v1, 31, v0
	v_lshlrev_b64 v[0:1], 3, v[0:1]
	s_waitcnt lgkmcnt(0)
	v_add_co_u32 v0, vcc_lo, s0, v0
	v_add_co_ci_u32_e64 v1, null, s1, v1, vcc_lo
	global_store_dwordx4 v[0:1], v[3:6], off
                                        ; implicit-def: $vgpr5
                                        ; implicit-def: $vgpr1_vgpr2
                                        ; implicit-def: $vgpr3_vgpr4
                                        ; implicit-def: $vgpr6_vgpr7
.LBB104_21:
	s_andn2_saveexec_b32 s2, s2
	s_cbranch_execz .LBB104_23
; %bb.22:
	v_lshlrev_b32_e32 v10, 1, v5
	v_mul_f64 v[8:9], v[1:2], v[8:9]
	v_mul_f64 v[5:6], v[1:2], v[6:7]
	v_ashrrev_i32_e32 v11, 31, v10
	v_lshlrev_b64 v[10:11], 3, v[10:11]
	s_waitcnt lgkmcnt(0)
	v_add_co_u32 v14, vcc_lo, s0, v10
	v_add_co_ci_u32_e64 v15, null, s1, v11, vcc_lo
	global_load_dwordx4 v[10:13], v[14:15], off
	s_waitcnt vmcnt(0)
	v_fma_f64 v[0:1], v[3:4], v[10:11], v[8:9]
	v_fma_f64 v[2:3], v[3:4], v[12:13], v[5:6]
	global_store_dwordx4 v[14:15], v[0:3], off
.LBB104_23:
	s_endpgm
	.section	.rodata,"a",@progbits
	.p2align	6, 0x0
	.amdhsa_kernel _ZN9rocsparseL19gebsrmvn_2xn_kernelILj128ELj7ELj32EdEEvi20rocsparse_direction_NS_24const_host_device_scalarIT2_EEPKiS6_PKS3_S8_S4_PS3_21rocsparse_index_base_b
		.amdhsa_group_segment_fixed_size 0
		.amdhsa_private_segment_fixed_size 0
		.amdhsa_kernarg_size 72
		.amdhsa_user_sgpr_count 6
		.amdhsa_user_sgpr_private_segment_buffer 1
		.amdhsa_user_sgpr_dispatch_ptr 0
		.amdhsa_user_sgpr_queue_ptr 0
		.amdhsa_user_sgpr_kernarg_segment_ptr 1
		.amdhsa_user_sgpr_dispatch_id 0
		.amdhsa_user_sgpr_flat_scratch_init 0
		.amdhsa_user_sgpr_private_segment_size 0
		.amdhsa_wavefront_size32 1
		.amdhsa_uses_dynamic_stack 0
		.amdhsa_system_sgpr_private_segment_wavefront_offset 0
		.amdhsa_system_sgpr_workgroup_id_x 1
		.amdhsa_system_sgpr_workgroup_id_y 0
		.amdhsa_system_sgpr_workgroup_id_z 0
		.amdhsa_system_sgpr_workgroup_info 0
		.amdhsa_system_vgpr_workitem_id 0
		.amdhsa_next_free_vgpr 59
		.amdhsa_next_free_sgpr 16
		.amdhsa_reserve_vcc 1
		.amdhsa_reserve_flat_scratch 0
		.amdhsa_float_round_mode_32 0
		.amdhsa_float_round_mode_16_64 0
		.amdhsa_float_denorm_mode_32 3
		.amdhsa_float_denorm_mode_16_64 3
		.amdhsa_dx10_clamp 1
		.amdhsa_ieee_mode 1
		.amdhsa_fp16_overflow 0
		.amdhsa_workgroup_processor_mode 1
		.amdhsa_memory_ordered 1
		.amdhsa_forward_progress 1
		.amdhsa_shared_vgpr_count 0
		.amdhsa_exception_fp_ieee_invalid_op 0
		.amdhsa_exception_fp_denorm_src 0
		.amdhsa_exception_fp_ieee_div_zero 0
		.amdhsa_exception_fp_ieee_overflow 0
		.amdhsa_exception_fp_ieee_underflow 0
		.amdhsa_exception_fp_ieee_inexact 0
		.amdhsa_exception_int_div_zero 0
	.end_amdhsa_kernel
	.section	.text._ZN9rocsparseL19gebsrmvn_2xn_kernelILj128ELj7ELj32EdEEvi20rocsparse_direction_NS_24const_host_device_scalarIT2_EEPKiS6_PKS3_S8_S4_PS3_21rocsparse_index_base_b,"axG",@progbits,_ZN9rocsparseL19gebsrmvn_2xn_kernelILj128ELj7ELj32EdEEvi20rocsparse_direction_NS_24const_host_device_scalarIT2_EEPKiS6_PKS3_S8_S4_PS3_21rocsparse_index_base_b,comdat
.Lfunc_end104:
	.size	_ZN9rocsparseL19gebsrmvn_2xn_kernelILj128ELj7ELj32EdEEvi20rocsparse_direction_NS_24const_host_device_scalarIT2_EEPKiS6_PKS3_S8_S4_PS3_21rocsparse_index_base_b, .Lfunc_end104-_ZN9rocsparseL19gebsrmvn_2xn_kernelILj128ELj7ELj32EdEEvi20rocsparse_direction_NS_24const_host_device_scalarIT2_EEPKiS6_PKS3_S8_S4_PS3_21rocsparse_index_base_b
                                        ; -- End function
	.set _ZN9rocsparseL19gebsrmvn_2xn_kernelILj128ELj7ELj32EdEEvi20rocsparse_direction_NS_24const_host_device_scalarIT2_EEPKiS6_PKS3_S8_S4_PS3_21rocsparse_index_base_b.num_vgpr, 59
	.set _ZN9rocsparseL19gebsrmvn_2xn_kernelILj128ELj7ELj32EdEEvi20rocsparse_direction_NS_24const_host_device_scalarIT2_EEPKiS6_PKS3_S8_S4_PS3_21rocsparse_index_base_b.num_agpr, 0
	.set _ZN9rocsparseL19gebsrmvn_2xn_kernelILj128ELj7ELj32EdEEvi20rocsparse_direction_NS_24const_host_device_scalarIT2_EEPKiS6_PKS3_S8_S4_PS3_21rocsparse_index_base_b.numbered_sgpr, 16
	.set _ZN9rocsparseL19gebsrmvn_2xn_kernelILj128ELj7ELj32EdEEvi20rocsparse_direction_NS_24const_host_device_scalarIT2_EEPKiS6_PKS3_S8_S4_PS3_21rocsparse_index_base_b.num_named_barrier, 0
	.set _ZN9rocsparseL19gebsrmvn_2xn_kernelILj128ELj7ELj32EdEEvi20rocsparse_direction_NS_24const_host_device_scalarIT2_EEPKiS6_PKS3_S8_S4_PS3_21rocsparse_index_base_b.private_seg_size, 0
	.set _ZN9rocsparseL19gebsrmvn_2xn_kernelILj128ELj7ELj32EdEEvi20rocsparse_direction_NS_24const_host_device_scalarIT2_EEPKiS6_PKS3_S8_S4_PS3_21rocsparse_index_base_b.uses_vcc, 1
	.set _ZN9rocsparseL19gebsrmvn_2xn_kernelILj128ELj7ELj32EdEEvi20rocsparse_direction_NS_24const_host_device_scalarIT2_EEPKiS6_PKS3_S8_S4_PS3_21rocsparse_index_base_b.uses_flat_scratch, 0
	.set _ZN9rocsparseL19gebsrmvn_2xn_kernelILj128ELj7ELj32EdEEvi20rocsparse_direction_NS_24const_host_device_scalarIT2_EEPKiS6_PKS3_S8_S4_PS3_21rocsparse_index_base_b.has_dyn_sized_stack, 0
	.set _ZN9rocsparseL19gebsrmvn_2xn_kernelILj128ELj7ELj32EdEEvi20rocsparse_direction_NS_24const_host_device_scalarIT2_EEPKiS6_PKS3_S8_S4_PS3_21rocsparse_index_base_b.has_recursion, 0
	.set _ZN9rocsparseL19gebsrmvn_2xn_kernelILj128ELj7ELj32EdEEvi20rocsparse_direction_NS_24const_host_device_scalarIT2_EEPKiS6_PKS3_S8_S4_PS3_21rocsparse_index_base_b.has_indirect_call, 0
	.section	.AMDGPU.csdata,"",@progbits
; Kernel info:
; codeLenInByte = 2660
; TotalNumSgprs: 18
; NumVgprs: 59
; ScratchSize: 0
; MemoryBound: 0
; FloatMode: 240
; IeeeMode: 1
; LDSByteSize: 0 bytes/workgroup (compile time only)
; SGPRBlocks: 0
; VGPRBlocks: 7
; NumSGPRsForWavesPerEU: 18
; NumVGPRsForWavesPerEU: 59
; Occupancy: 16
; WaveLimiterHint : 1
; COMPUTE_PGM_RSRC2:SCRATCH_EN: 0
; COMPUTE_PGM_RSRC2:USER_SGPR: 6
; COMPUTE_PGM_RSRC2:TRAP_HANDLER: 0
; COMPUTE_PGM_RSRC2:TGID_X_EN: 1
; COMPUTE_PGM_RSRC2:TGID_Y_EN: 0
; COMPUTE_PGM_RSRC2:TGID_Z_EN: 0
; COMPUTE_PGM_RSRC2:TIDIG_COMP_CNT: 0
	.section	.text._ZN9rocsparseL19gebsrmvn_2xn_kernelILj128ELj7ELj64EdEEvi20rocsparse_direction_NS_24const_host_device_scalarIT2_EEPKiS6_PKS3_S8_S4_PS3_21rocsparse_index_base_b,"axG",@progbits,_ZN9rocsparseL19gebsrmvn_2xn_kernelILj128ELj7ELj64EdEEvi20rocsparse_direction_NS_24const_host_device_scalarIT2_EEPKiS6_PKS3_S8_S4_PS3_21rocsparse_index_base_b,comdat
	.globl	_ZN9rocsparseL19gebsrmvn_2xn_kernelILj128ELj7ELj64EdEEvi20rocsparse_direction_NS_24const_host_device_scalarIT2_EEPKiS6_PKS3_S8_S4_PS3_21rocsparse_index_base_b ; -- Begin function _ZN9rocsparseL19gebsrmvn_2xn_kernelILj128ELj7ELj64EdEEvi20rocsparse_direction_NS_24const_host_device_scalarIT2_EEPKiS6_PKS3_S8_S4_PS3_21rocsparse_index_base_b
	.p2align	8
	.type	_ZN9rocsparseL19gebsrmvn_2xn_kernelILj128ELj7ELj64EdEEvi20rocsparse_direction_NS_24const_host_device_scalarIT2_EEPKiS6_PKS3_S8_S4_PS3_21rocsparse_index_base_b,@function
_ZN9rocsparseL19gebsrmvn_2xn_kernelILj128ELj7ELj64EdEEvi20rocsparse_direction_NS_24const_host_device_scalarIT2_EEPKiS6_PKS3_S8_S4_PS3_21rocsparse_index_base_b: ; @_ZN9rocsparseL19gebsrmvn_2xn_kernelILj128ELj7ELj64EdEEvi20rocsparse_direction_NS_24const_host_device_scalarIT2_EEPKiS6_PKS3_S8_S4_PS3_21rocsparse_index_base_b
; %bb.0:
	s_clause 0x2
	s_load_dwordx2 s[2:3], s[4:5], 0x40
	s_load_dwordx2 s[8:9], s[4:5], 0x8
	;; [unrolled: 1-line block ×3, first 2 shown]
	s_waitcnt lgkmcnt(0)
	s_bitcmp1_b32 s3, 0
	v_mov_b32_e32 v1, s8
	v_mov_b32_e32 v2, s9
	s_cselect_b32 s3, -1, 0
	s_and_b32 vcc_lo, exec_lo, s3
	s_xor_b32 s3, s3, -1
	s_cbranch_vccnz .LBB105_2
; %bb.1:
	v_mov_b32_e32 v1, s8
	v_mov_b32_e32 v2, s9
	flat_load_dwordx2 v[1:2], v[1:2]
.LBB105_2:
	v_mov_b32_e32 v4, s1
	v_mov_b32_e32 v3, s0
	s_andn2_b32 vcc_lo, exec_lo, s3
	s_cbranch_vccnz .LBB105_4
; %bb.3:
	v_mov_b32_e32 v4, s1
	v_mov_b32_e32 v3, s0
	flat_load_dwordx2 v[3:4], v[3:4]
.LBB105_4:
	s_waitcnt vmcnt(0) lgkmcnt(0)
	v_cmp_neq_f64_e32 vcc_lo, 0, v[1:2]
	v_cmp_neq_f64_e64 s0, 1.0, v[3:4]
	s_or_b32 s0, vcc_lo, s0
	s_and_saveexec_b32 s1, s0
	s_cbranch_execz .LBB105_23
; %bb.5:
	s_load_dwordx2 s[0:1], s[4:5], 0x0
	v_lshrrev_b32_e32 v5, 6, v0
	v_lshl_or_b32 v5, s6, 1, v5
	s_waitcnt lgkmcnt(0)
	v_cmp_gt_i32_e32 vcc_lo, s0, v5
	s_and_b32 exec_lo, exec_lo, vcc_lo
	s_cbranch_execz .LBB105_23
; %bb.6:
	s_load_dwordx8 s[8:15], s[4:5], 0x10
	v_ashrrev_i32_e32 v6, 31, v5
	v_and_b32_e32 v0, 63, v0
	s_cmp_lg_u32 s1, 0
	v_lshlrev_b64 v[6:7], 2, v[5:6]
	s_waitcnt lgkmcnt(0)
	v_add_co_u32 v6, vcc_lo, s8, v6
	v_add_co_ci_u32_e64 v7, null, s9, v7, vcc_lo
	global_load_dwordx2 v[6:7], v[6:7], off
	s_waitcnt vmcnt(0)
	v_subrev_nc_u32_e32 v6, s2, v6
	v_subrev_nc_u32_e32 v16, s2, v7
	v_add_nc_u32_e32 v10, v6, v0
	v_cmp_lt_i32_e64 s0, v10, v16
	s_cbranch_scc0 .LBB105_12
; %bb.7:
	v_mov_b32_e32 v6, 0
	v_mov_b32_e32 v8, 0
	;; [unrolled: 1-line block ×4, first 2 shown]
	s_and_saveexec_b32 s3, s0
	s_cbranch_execz .LBB105_11
; %bb.8:
	v_mad_u64_u32 v[11:12], null, v10, 14, 12
	v_mov_b32_e32 v6, 0
	v_mov_b32_e32 v8, 0
	;; [unrolled: 1-line block ×6, first 2 shown]
	s_mov_b32 s6, 0
.LBB105_9:                              ; =>This Inner Loop Header: Depth=1
	v_ashrrev_i32_e32 v15, 31, v14
	v_add_nc_u32_e32 v12, -12, v11
	v_mov_b32_e32 v42, v13
	v_lshlrev_b64 v[17:18], 2, v[14:15]
	v_add_nc_u32_e32 v14, 64, v14
	v_add_co_u32 v17, vcc_lo, s10, v17
	v_add_co_ci_u32_e64 v18, null, s11, v18, vcc_lo
	global_load_dword v15, v[17:18], off
	v_lshlrev_b64 v[17:18], 3, v[12:13]
	v_add_nc_u32_e32 v12, -10, v11
	v_lshlrev_b64 v[19:20], 3, v[12:13]
	v_add_co_u32 v17, vcc_lo, s12, v17
	v_add_co_ci_u32_e64 v18, null, s13, v18, vcc_lo
	v_add_co_u32 v21, vcc_lo, s12, v19
	s_waitcnt vmcnt(0)
	v_subrev_nc_u32_e32 v12, s2, v15
	v_mul_lo_u32 v41, v12, 7
	v_lshlrev_b64 v[22:23], 3, v[41:42]
	v_add_nc_u32_e32 v12, 1, v41
	v_add_co_u32 v25, s1, s14, v22
	v_add_co_ci_u32_e64 v22, null, s13, v20, vcc_lo
	v_add_co_ci_u32_e64 v26, null, s15, v23, s1
	s_clause 0x1
	global_load_dwordx4 v[17:20], v[17:18], off
	global_load_dwordx4 v[21:24], v[21:22], off
	global_load_dwordx2 v[45:46], v[25:26], off
	v_lshlrev_b64 v[25:26], 3, v[12:13]
	v_add_nc_u32_e32 v12, -8, v11
	v_lshlrev_b64 v[27:28], 3, v[12:13]
	v_add_co_u32 v25, vcc_lo, s14, v25
	v_add_co_ci_u32_e64 v26, null, s15, v26, vcc_lo
	v_add_nc_u32_e32 v12, 2, v41
	v_add_co_u32 v27, vcc_lo, s12, v27
	global_load_dwordx2 v[47:48], v[25:26], off
	v_add_co_ci_u32_e64 v28, null, s13, v28, vcc_lo
	v_lshlrev_b64 v[25:26], 3, v[12:13]
	v_add_nc_u32_e32 v12, -6, v11
	v_add_co_u32 v29, vcc_lo, s14, v25
	v_add_co_ci_u32_e64 v30, null, s15, v26, vcc_lo
	global_load_dwordx4 v[25:28], v[27:28], off
	global_load_dwordx2 v[49:50], v[29:30], off
	v_lshlrev_b64 v[31:32], 3, v[12:13]
	v_add_nc_u32_e32 v12, 3, v41
	v_lshlrev_b64 v[29:30], 3, v[12:13]
	v_add_co_u32 v31, vcc_lo, s12, v31
	v_add_co_ci_u32_e64 v32, null, s13, v32, vcc_lo
	v_add_nc_u32_e32 v12, -4, v11
	v_add_co_u32 v33, vcc_lo, s14, v29
	v_add_co_ci_u32_e64 v34, null, s15, v30, vcc_lo
	global_load_dwordx4 v[29:32], v[31:32], off
	global_load_dwordx2 v[51:52], v[33:34], off
	v_lshlrev_b64 v[35:36], 3, v[12:13]
	v_add_nc_u32_e32 v12, 4, v41
	v_lshlrev_b64 v[33:34], 3, v[12:13]
	v_add_co_u32 v35, vcc_lo, s12, v35
	v_add_co_ci_u32_e64 v36, null, s13, v36, vcc_lo
	;; [unrolled: 10-line block ×3, first 2 shown]
	v_mov_b32_e32 v12, v13
	v_add_co_u32 v42, vcc_lo, s14, v39
	v_add_co_ci_u32_e64 v43, null, s15, v40, vcc_lo
	global_load_dwordx4 v[37:40], v[37:38], off
	global_load_dwordx2 v[55:56], v[42:43], off
	v_lshlrev_b64 v[42:43], 3, v[11:12]
	v_add_nc_u32_e32 v12, 6, v41
	v_add_nc_u32_e32 v11, 0x380, v11
	v_lshlrev_b64 v[57:58], 3, v[12:13]
	v_add_co_u32 v41, vcc_lo, s12, v42
	v_add_co_ci_u32_e64 v42, null, s13, v43, vcc_lo
	v_add_co_u32 v57, vcc_lo, s14, v57
	v_add_co_ci_u32_e64 v58, null, s15, v58, vcc_lo
	global_load_dwordx4 v[41:44], v[41:42], off
	global_load_dwordx2 v[57:58], v[57:58], off
	v_cmp_ge_i32_e32 vcc_lo, v14, v16
	s_or_b32 s6, vcc_lo, s6
	s_waitcnt vmcnt(11)
	v_fma_f64 v[6:7], v[17:18], v[45:46], v[6:7]
	v_fma_f64 v[8:9], v[19:20], v[45:46], v[8:9]
	s_waitcnt vmcnt(10)
	v_fma_f64 v[6:7], v[21:22], v[47:48], v[6:7]
	v_fma_f64 v[8:9], v[23:24], v[47:48], v[8:9]
	;; [unrolled: 3-line block ×7, first 2 shown]
	s_andn2_b32 exec_lo, exec_lo, s6
	s_cbranch_execnz .LBB105_9
; %bb.10:
	s_or_b32 exec_lo, exec_lo, s6
.LBB105_11:
	s_or_b32 exec_lo, exec_lo, s3
	s_cbranch_execz .LBB105_13
	s_branch .LBB105_18
.LBB105_12:
                                        ; implicit-def: $vgpr6_vgpr7
                                        ; implicit-def: $vgpr8_vgpr9
.LBB105_13:
	v_mov_b32_e32 v6, 0
	v_mov_b32_e32 v8, 0
	;; [unrolled: 1-line block ×4, first 2 shown]
	s_and_saveexec_b32 s1, s0
	s_cbranch_execz .LBB105_17
; %bb.14:
	v_mad_u64_u32 v[12:13], null, v10, 14, 13
	v_mov_b32_e32 v6, 0
	v_mov_b32_e32 v8, 0
	;; [unrolled: 1-line block ×5, first 2 shown]
	s_mov_b32 s3, 0
.LBB105_15:                             ; =>This Inner Loop Header: Depth=1
	v_ashrrev_i32_e32 v11, 31, v10
	v_add_nc_u32_e32 v17, -6, v12
	v_mov_b32_e32 v22, v15
	v_mov_b32_e32 v18, v15
	v_lshlrev_b64 v[13:14], 2, v[10:11]
	v_add_nc_u32_e32 v10, 64, v10
	v_lshlrev_b64 v[17:18], 3, v[17:18]
	v_add_co_u32 v13, vcc_lo, s10, v13
	v_add_co_ci_u32_e64 v14, null, s11, v14, vcc_lo
	global_load_dword v11, v[13:14], off
	v_add_nc_u32_e32 v14, -13, v12
	v_mov_b32_e32 v13, v15
	v_lshlrev_b64 v[19:20], 3, v[14:15]
	v_lshlrev_b64 v[23:24], 3, v[12:13]
	v_add_co_u32 v13, vcc_lo, s12, v19
	v_add_co_ci_u32_e64 v14, null, s13, v20, vcc_lo
	v_add_co_u32 v25, vcc_lo, s12, v17
	v_add_co_ci_u32_e64 v26, null, s13, v18, vcc_lo
	s_clause 0x1
	global_load_dwordx4 v[17:20], v[13:14], off
	global_load_dwordx2 v[25:26], v[25:26], off
	v_add_co_u32 v23, vcc_lo, s12, v23
	v_add_co_ci_u32_e64 v24, null, s13, v24, vcc_lo
	s_waitcnt vmcnt(2)
	v_subrev_nc_u32_e32 v11, s2, v11
	v_mul_lo_u32 v21, v11, 7
	v_lshlrev_b64 v[27:28], 3, v[21:22]
	v_add_nc_u32_e32 v14, 1, v21
	v_lshlrev_b64 v[29:30], 3, v[14:15]
	v_add_co_u32 v27, s0, s14, v27
	v_add_co_ci_u32_e64 v28, null, s15, v28, s0
	v_add_nc_u32_e32 v14, -5, v12
	v_add_co_u32 v29, s0, s14, v29
	global_load_dwordx2 v[27:28], v[27:28], off
	v_add_co_ci_u32_e64 v30, null, s15, v30, s0
	v_lshlrev_b64 v[31:32], 3, v[14:15]
	v_add_nc_u32_e32 v14, -11, v12
	global_load_dwordx2 v[29:30], v[29:30], off
	v_add_co_u32 v31, s0, s12, v31
	v_add_co_ci_u32_e64 v32, null, s13, v32, s0
	v_lshlrev_b64 v[33:34], 3, v[14:15]
	v_add_nc_u32_e32 v14, 2, v21
	global_load_dwordx2 v[31:32], v[31:32], off
	v_lshlrev_b64 v[35:36], 3, v[14:15]
	v_add_nc_u32_e32 v14, -4, v12
	v_add_co_u32 v33, s0, s12, v33
	v_add_co_ci_u32_e64 v34, null, s13, v34, s0
	v_lshlrev_b64 v[37:38], 3, v[14:15]
	v_add_co_u32 v35, s0, s14, v35
	v_add_co_ci_u32_e64 v36, null, s15, v36, s0
	v_add_nc_u32_e32 v14, -10, v12
	v_add_co_u32 v37, s0, s12, v37
	v_add_co_ci_u32_e64 v38, null, s13, v38, s0
	v_lshlrev_b64 v[39:40], 3, v[14:15]
	v_add_nc_u32_e32 v14, 3, v21
	global_load_dwordx2 v[33:34], v[33:34], off
	global_load_dwordx2 v[35:36], v[35:36], off
	;; [unrolled: 1-line block ×3, first 2 shown]
	v_lshlrev_b64 v[41:42], 3, v[14:15]
	v_add_nc_u32_e32 v14, -3, v12
	v_add_co_u32 v39, s0, s12, v39
	v_add_co_ci_u32_e64 v40, null, s13, v40, s0
	v_lshlrev_b64 v[43:44], 3, v[14:15]
	v_add_co_u32 v41, s0, s14, v41
	v_add_co_ci_u32_e64 v42, null, s15, v42, s0
	v_add_nc_u32_e32 v14, -9, v12
	v_add_co_u32 v43, s0, s12, v43
	v_add_co_ci_u32_e64 v44, null, s13, v44, s0
	v_lshlrev_b64 v[45:46], 3, v[14:15]
	v_add_nc_u32_e32 v14, 4, v21
	global_load_dwordx2 v[39:40], v[39:40], off
	global_load_dwordx2 v[41:42], v[41:42], off
	;; [unrolled: 1-line block ×3, first 2 shown]
	v_lshlrev_b64 v[47:48], 3, v[14:15]
	v_add_nc_u32_e32 v14, -2, v12
	v_add_co_u32 v45, s0, s12, v45
	v_add_co_ci_u32_e64 v46, null, s13, v46, s0
	v_lshlrev_b64 v[49:50], 3, v[14:15]
	v_add_co_u32 v47, s0, s14, v47
	v_add_co_ci_u32_e64 v48, null, s15, v48, s0
	v_add_nc_u32_e32 v14, -8, v12
	v_add_co_u32 v49, s0, s12, v49
	v_add_co_ci_u32_e64 v50, null, s13, v50, s0
	global_load_dwordx2 v[45:46], v[45:46], off
	v_lshlrev_b64 v[51:52], 3, v[14:15]
	v_add_nc_u32_e32 v14, 5, v21
	global_load_dwordx2 v[47:48], v[47:48], off
	global_load_dwordx2 v[49:50], v[49:50], off
	v_lshlrev_b64 v[53:54], 3, v[14:15]
	v_add_nc_u32_e32 v14, -1, v12
	v_add_co_u32 v51, s0, s12, v51
	v_add_co_ci_u32_e64 v52, null, s13, v52, s0
	v_lshlrev_b64 v[13:14], 3, v[14:15]
	v_add_co_u32 v53, s0, s14, v53
	v_add_co_ci_u32_e64 v54, null, s15, v54, s0
	global_load_dwordx2 v[51:52], v[51:52], off
	v_add_co_u32 v13, s0, s12, v13
	v_add_co_ci_u32_e64 v14, null, s13, v14, s0
	global_load_dwordx2 v[53:54], v[53:54], off
	global_load_dwordx2 v[55:56], v[13:14], off
	v_add_nc_u32_e32 v14, -7, v12
	v_add_nc_u32_e32 v12, 0x380, v12
	v_lshlrev_b64 v[57:58], 3, v[14:15]
	v_add_nc_u32_e32 v14, 6, v21
	v_lshlrev_b64 v[13:14], 3, v[14:15]
	v_add_co_u32 v21, vcc_lo, s12, v57
	v_add_co_ci_u32_e64 v22, null, s13, v58, vcc_lo
	v_add_co_u32 v13, vcc_lo, s14, v13
	v_add_co_ci_u32_e64 v14, null, s15, v14, vcc_lo
	s_clause 0x1
	global_load_dwordx2 v[23:24], v[23:24], off
	global_load_dwordx2 v[21:22], v[21:22], off
	;; [unrolled: 1-line block ×3, first 2 shown]
	v_cmp_ge_i32_e32 vcc_lo, v10, v16
	s_or_b32 s3, vcc_lo, s3
	s_waitcnt vmcnt(17)
	v_fma_f64 v[6:7], v[17:18], v[27:28], v[6:7]
	v_fma_f64 v[8:9], v[25:26], v[27:28], v[8:9]
	s_waitcnt vmcnt(16)
	v_fma_f64 v[6:7], v[19:20], v[29:30], v[6:7]
	s_waitcnt vmcnt(15)
	v_fma_f64 v[8:9], v[31:32], v[29:30], v[8:9]
	s_waitcnt vmcnt(13)
	v_fma_f64 v[6:7], v[33:34], v[35:36], v[6:7]
	s_waitcnt vmcnt(12)
	v_fma_f64 v[8:9], v[37:38], v[35:36], v[8:9]
	s_waitcnt vmcnt(10)
	v_fma_f64 v[6:7], v[39:40], v[41:42], v[6:7]
	s_waitcnt vmcnt(9)
	v_fma_f64 v[8:9], v[43:44], v[41:42], v[8:9]
	s_waitcnt vmcnt(7)
	v_fma_f64 v[6:7], v[45:46], v[47:48], v[6:7]
	s_waitcnt vmcnt(6)
	v_fma_f64 v[8:9], v[49:50], v[47:48], v[8:9]
	s_waitcnt vmcnt(4)
	v_fma_f64 v[6:7], v[51:52], v[53:54], v[6:7]
	s_waitcnt vmcnt(3)
	v_fma_f64 v[8:9], v[55:56], v[53:54], v[8:9]
	s_waitcnt vmcnt(0)
	v_fma_f64 v[6:7], v[21:22], v[13:14], v[6:7]
	v_fma_f64 v[8:9], v[23:24], v[13:14], v[8:9]
	s_andn2_b32 exec_lo, exec_lo, s3
	s_cbranch_execnz .LBB105_15
; %bb.16:
	s_or_b32 exec_lo, exec_lo, s3
.LBB105_17:
	s_or_b32 exec_lo, exec_lo, s1
.LBB105_18:
	v_mbcnt_lo_u32_b32 v14, -1, 0
	v_or_b32_e32 v10, 32, v14
	v_cmp_gt_i32_e32 vcc_lo, 32, v10
	v_cndmask_b32_e32 v10, v14, v10, vcc_lo
	v_lshlrev_b32_e32 v13, 2, v10
	ds_bpermute_b32 v10, v13, v6
	ds_bpermute_b32 v11, v13, v7
	ds_bpermute_b32 v12, v13, v8
	ds_bpermute_b32 v13, v13, v9
	s_waitcnt lgkmcnt(2)
	v_add_f64 v[6:7], v[6:7], v[10:11]
	v_xor_b32_e32 v10, 16, v14
	s_waitcnt lgkmcnt(0)
	v_add_f64 v[8:9], v[8:9], v[12:13]
	v_cmp_gt_i32_e32 vcc_lo, 32, v10
	v_cndmask_b32_e32 v10, v14, v10, vcc_lo
	v_lshlrev_b32_e32 v13, 2, v10
	ds_bpermute_b32 v10, v13, v6
	ds_bpermute_b32 v11, v13, v7
	ds_bpermute_b32 v12, v13, v8
	ds_bpermute_b32 v13, v13, v9
	s_waitcnt lgkmcnt(2)
	v_add_f64 v[6:7], v[6:7], v[10:11]
	v_xor_b32_e32 v10, 8, v14
	s_waitcnt lgkmcnt(0)
	v_add_f64 v[8:9], v[8:9], v[12:13]
	;; [unrolled: 12-line block ×4, first 2 shown]
	v_cmp_gt_i32_e32 vcc_lo, 32, v10
	v_cndmask_b32_e32 v10, v14, v10, vcc_lo
	v_lshlrev_b32_e32 v13, 2, v10
	ds_bpermute_b32 v10, v13, v6
	ds_bpermute_b32 v11, v13, v7
	;; [unrolled: 1-line block ×4, first 2 shown]
	s_waitcnt lgkmcnt(2)
	v_add_f64 v[6:7], v[6:7], v[10:11]
	s_waitcnt lgkmcnt(0)
	v_add_f64 v[10:11], v[8:9], v[12:13]
	v_xor_b32_e32 v8, 1, v14
	v_cmp_gt_i32_e32 vcc_lo, 32, v8
	v_cndmask_b32_e32 v8, v14, v8, vcc_lo
	v_cmp_eq_u32_e32 vcc_lo, 63, v0
	v_lshlrev_b32_e32 v13, 2, v8
	ds_bpermute_b32 v8, v13, v6
	ds_bpermute_b32 v9, v13, v7
	;; [unrolled: 1-line block ×4, first 2 shown]
	s_and_b32 exec_lo, exec_lo, vcc_lo
	s_cbranch_execz .LBB105_23
; %bb.19:
	s_waitcnt lgkmcnt(2)
	v_add_f64 v[8:9], v[6:7], v[8:9]
	s_waitcnt lgkmcnt(0)
	v_add_f64 v[6:7], v[10:11], v[12:13]
	s_load_dwordx2 s[0:1], s[4:5], 0x38
	s_mov_b32 s2, exec_lo
	v_cmpx_eq_f64_e32 0, v[3:4]
	s_xor_b32 s2, exec_lo, s2
	s_cbranch_execz .LBB105_21
; %bb.20:
	v_lshlrev_b32_e32 v0, 1, v5
	v_mul_f64 v[3:4], v[1:2], v[8:9]
	v_mul_f64 v[5:6], v[1:2], v[6:7]
                                        ; implicit-def: $vgpr8_vgpr9
	v_ashrrev_i32_e32 v1, 31, v0
	v_lshlrev_b64 v[0:1], 3, v[0:1]
	s_waitcnt lgkmcnt(0)
	v_add_co_u32 v0, vcc_lo, s0, v0
	v_add_co_ci_u32_e64 v1, null, s1, v1, vcc_lo
	global_store_dwordx4 v[0:1], v[3:6], off
                                        ; implicit-def: $vgpr5
                                        ; implicit-def: $vgpr1_vgpr2
                                        ; implicit-def: $vgpr3_vgpr4
                                        ; implicit-def: $vgpr6_vgpr7
.LBB105_21:
	s_andn2_saveexec_b32 s2, s2
	s_cbranch_execz .LBB105_23
; %bb.22:
	v_lshlrev_b32_e32 v10, 1, v5
	v_mul_f64 v[8:9], v[1:2], v[8:9]
	v_mul_f64 v[5:6], v[1:2], v[6:7]
	v_ashrrev_i32_e32 v11, 31, v10
	v_lshlrev_b64 v[10:11], 3, v[10:11]
	s_waitcnt lgkmcnt(0)
	v_add_co_u32 v14, vcc_lo, s0, v10
	v_add_co_ci_u32_e64 v15, null, s1, v11, vcc_lo
	global_load_dwordx4 v[10:13], v[14:15], off
	s_waitcnt vmcnt(0)
	v_fma_f64 v[0:1], v[3:4], v[10:11], v[8:9]
	v_fma_f64 v[2:3], v[3:4], v[12:13], v[5:6]
	global_store_dwordx4 v[14:15], v[0:3], off
.LBB105_23:
	s_endpgm
	.section	.rodata,"a",@progbits
	.p2align	6, 0x0
	.amdhsa_kernel _ZN9rocsparseL19gebsrmvn_2xn_kernelILj128ELj7ELj64EdEEvi20rocsparse_direction_NS_24const_host_device_scalarIT2_EEPKiS6_PKS3_S8_S4_PS3_21rocsparse_index_base_b
		.amdhsa_group_segment_fixed_size 0
		.amdhsa_private_segment_fixed_size 0
		.amdhsa_kernarg_size 72
		.amdhsa_user_sgpr_count 6
		.amdhsa_user_sgpr_private_segment_buffer 1
		.amdhsa_user_sgpr_dispatch_ptr 0
		.amdhsa_user_sgpr_queue_ptr 0
		.amdhsa_user_sgpr_kernarg_segment_ptr 1
		.amdhsa_user_sgpr_dispatch_id 0
		.amdhsa_user_sgpr_flat_scratch_init 0
		.amdhsa_user_sgpr_private_segment_size 0
		.amdhsa_wavefront_size32 1
		.amdhsa_uses_dynamic_stack 0
		.amdhsa_system_sgpr_private_segment_wavefront_offset 0
		.amdhsa_system_sgpr_workgroup_id_x 1
		.amdhsa_system_sgpr_workgroup_id_y 0
		.amdhsa_system_sgpr_workgroup_id_z 0
		.amdhsa_system_sgpr_workgroup_info 0
		.amdhsa_system_vgpr_workitem_id 0
		.amdhsa_next_free_vgpr 59
		.amdhsa_next_free_sgpr 16
		.amdhsa_reserve_vcc 1
		.amdhsa_reserve_flat_scratch 0
		.amdhsa_float_round_mode_32 0
		.amdhsa_float_round_mode_16_64 0
		.amdhsa_float_denorm_mode_32 3
		.amdhsa_float_denorm_mode_16_64 3
		.amdhsa_dx10_clamp 1
		.amdhsa_ieee_mode 1
		.amdhsa_fp16_overflow 0
		.amdhsa_workgroup_processor_mode 1
		.amdhsa_memory_ordered 1
		.amdhsa_forward_progress 1
		.amdhsa_shared_vgpr_count 0
		.amdhsa_exception_fp_ieee_invalid_op 0
		.amdhsa_exception_fp_denorm_src 0
		.amdhsa_exception_fp_ieee_div_zero 0
		.amdhsa_exception_fp_ieee_overflow 0
		.amdhsa_exception_fp_ieee_underflow 0
		.amdhsa_exception_fp_ieee_inexact 0
		.amdhsa_exception_int_div_zero 0
	.end_amdhsa_kernel
	.section	.text._ZN9rocsparseL19gebsrmvn_2xn_kernelILj128ELj7ELj64EdEEvi20rocsparse_direction_NS_24const_host_device_scalarIT2_EEPKiS6_PKS3_S8_S4_PS3_21rocsparse_index_base_b,"axG",@progbits,_ZN9rocsparseL19gebsrmvn_2xn_kernelILj128ELj7ELj64EdEEvi20rocsparse_direction_NS_24const_host_device_scalarIT2_EEPKiS6_PKS3_S8_S4_PS3_21rocsparse_index_base_b,comdat
.Lfunc_end105:
	.size	_ZN9rocsparseL19gebsrmvn_2xn_kernelILj128ELj7ELj64EdEEvi20rocsparse_direction_NS_24const_host_device_scalarIT2_EEPKiS6_PKS3_S8_S4_PS3_21rocsparse_index_base_b, .Lfunc_end105-_ZN9rocsparseL19gebsrmvn_2xn_kernelILj128ELj7ELj64EdEEvi20rocsparse_direction_NS_24const_host_device_scalarIT2_EEPKiS6_PKS3_S8_S4_PS3_21rocsparse_index_base_b
                                        ; -- End function
	.set _ZN9rocsparseL19gebsrmvn_2xn_kernelILj128ELj7ELj64EdEEvi20rocsparse_direction_NS_24const_host_device_scalarIT2_EEPKiS6_PKS3_S8_S4_PS3_21rocsparse_index_base_b.num_vgpr, 59
	.set _ZN9rocsparseL19gebsrmvn_2xn_kernelILj128ELj7ELj64EdEEvi20rocsparse_direction_NS_24const_host_device_scalarIT2_EEPKiS6_PKS3_S8_S4_PS3_21rocsparse_index_base_b.num_agpr, 0
	.set _ZN9rocsparseL19gebsrmvn_2xn_kernelILj128ELj7ELj64EdEEvi20rocsparse_direction_NS_24const_host_device_scalarIT2_EEPKiS6_PKS3_S8_S4_PS3_21rocsparse_index_base_b.numbered_sgpr, 16
	.set _ZN9rocsparseL19gebsrmvn_2xn_kernelILj128ELj7ELj64EdEEvi20rocsparse_direction_NS_24const_host_device_scalarIT2_EEPKiS6_PKS3_S8_S4_PS3_21rocsparse_index_base_b.num_named_barrier, 0
	.set _ZN9rocsparseL19gebsrmvn_2xn_kernelILj128ELj7ELj64EdEEvi20rocsparse_direction_NS_24const_host_device_scalarIT2_EEPKiS6_PKS3_S8_S4_PS3_21rocsparse_index_base_b.private_seg_size, 0
	.set _ZN9rocsparseL19gebsrmvn_2xn_kernelILj128ELj7ELj64EdEEvi20rocsparse_direction_NS_24const_host_device_scalarIT2_EEPKiS6_PKS3_S8_S4_PS3_21rocsparse_index_base_b.uses_vcc, 1
	.set _ZN9rocsparseL19gebsrmvn_2xn_kernelILj128ELj7ELj64EdEEvi20rocsparse_direction_NS_24const_host_device_scalarIT2_EEPKiS6_PKS3_S8_S4_PS3_21rocsparse_index_base_b.uses_flat_scratch, 0
	.set _ZN9rocsparseL19gebsrmvn_2xn_kernelILj128ELj7ELj64EdEEvi20rocsparse_direction_NS_24const_host_device_scalarIT2_EEPKiS6_PKS3_S8_S4_PS3_21rocsparse_index_base_b.has_dyn_sized_stack, 0
	.set _ZN9rocsparseL19gebsrmvn_2xn_kernelILj128ELj7ELj64EdEEvi20rocsparse_direction_NS_24const_host_device_scalarIT2_EEPKiS6_PKS3_S8_S4_PS3_21rocsparse_index_base_b.has_recursion, 0
	.set _ZN9rocsparseL19gebsrmvn_2xn_kernelILj128ELj7ELj64EdEEvi20rocsparse_direction_NS_24const_host_device_scalarIT2_EEPKiS6_PKS3_S8_S4_PS3_21rocsparse_index_base_b.has_indirect_call, 0
	.section	.AMDGPU.csdata,"",@progbits
; Kernel info:
; codeLenInByte = 2732
; TotalNumSgprs: 18
; NumVgprs: 59
; ScratchSize: 0
; MemoryBound: 0
; FloatMode: 240
; IeeeMode: 1
; LDSByteSize: 0 bytes/workgroup (compile time only)
; SGPRBlocks: 0
; VGPRBlocks: 7
; NumSGPRsForWavesPerEU: 18
; NumVGPRsForWavesPerEU: 59
; Occupancy: 16
; WaveLimiterHint : 1
; COMPUTE_PGM_RSRC2:SCRATCH_EN: 0
; COMPUTE_PGM_RSRC2:USER_SGPR: 6
; COMPUTE_PGM_RSRC2:TRAP_HANDLER: 0
; COMPUTE_PGM_RSRC2:TGID_X_EN: 1
; COMPUTE_PGM_RSRC2:TGID_Y_EN: 0
; COMPUTE_PGM_RSRC2:TGID_Z_EN: 0
; COMPUTE_PGM_RSRC2:TIDIG_COMP_CNT: 0
	.section	.text._ZN9rocsparseL19gebsrmvn_2xn_kernelILj128ELj8ELj4EdEEvi20rocsparse_direction_NS_24const_host_device_scalarIT2_EEPKiS6_PKS3_S8_S4_PS3_21rocsparse_index_base_b,"axG",@progbits,_ZN9rocsparseL19gebsrmvn_2xn_kernelILj128ELj8ELj4EdEEvi20rocsparse_direction_NS_24const_host_device_scalarIT2_EEPKiS6_PKS3_S8_S4_PS3_21rocsparse_index_base_b,comdat
	.globl	_ZN9rocsparseL19gebsrmvn_2xn_kernelILj128ELj8ELj4EdEEvi20rocsparse_direction_NS_24const_host_device_scalarIT2_EEPKiS6_PKS3_S8_S4_PS3_21rocsparse_index_base_b ; -- Begin function _ZN9rocsparseL19gebsrmvn_2xn_kernelILj128ELj8ELj4EdEEvi20rocsparse_direction_NS_24const_host_device_scalarIT2_EEPKiS6_PKS3_S8_S4_PS3_21rocsparse_index_base_b
	.p2align	8
	.type	_ZN9rocsparseL19gebsrmvn_2xn_kernelILj128ELj8ELj4EdEEvi20rocsparse_direction_NS_24const_host_device_scalarIT2_EEPKiS6_PKS3_S8_S4_PS3_21rocsparse_index_base_b,@function
_ZN9rocsparseL19gebsrmvn_2xn_kernelILj128ELj8ELj4EdEEvi20rocsparse_direction_NS_24const_host_device_scalarIT2_EEPKiS6_PKS3_S8_S4_PS3_21rocsparse_index_base_b: ; @_ZN9rocsparseL19gebsrmvn_2xn_kernelILj128ELj8ELj4EdEEvi20rocsparse_direction_NS_24const_host_device_scalarIT2_EEPKiS6_PKS3_S8_S4_PS3_21rocsparse_index_base_b
; %bb.0:
	s_clause 0x2
	s_load_dwordx2 s[2:3], s[4:5], 0x40
	s_load_dwordx2 s[8:9], s[4:5], 0x8
	;; [unrolled: 1-line block ×3, first 2 shown]
	s_waitcnt lgkmcnt(0)
	s_bitcmp1_b32 s3, 0
	v_mov_b32_e32 v1, s8
	v_mov_b32_e32 v2, s9
	s_cselect_b32 s3, -1, 0
	s_and_b32 vcc_lo, exec_lo, s3
	s_xor_b32 s3, s3, -1
	s_cbranch_vccnz .LBB106_2
; %bb.1:
	v_mov_b32_e32 v1, s8
	v_mov_b32_e32 v2, s9
	flat_load_dwordx2 v[1:2], v[1:2]
.LBB106_2:
	v_mov_b32_e32 v4, s1
	v_mov_b32_e32 v3, s0
	s_andn2_b32 vcc_lo, exec_lo, s3
	s_cbranch_vccnz .LBB106_4
; %bb.3:
	v_mov_b32_e32 v4, s1
	v_mov_b32_e32 v3, s0
	flat_load_dwordx2 v[3:4], v[3:4]
.LBB106_4:
	s_waitcnt vmcnt(0) lgkmcnt(0)
	v_cmp_neq_f64_e32 vcc_lo, 0, v[1:2]
	v_cmp_neq_f64_e64 s0, 1.0, v[3:4]
	s_or_b32 s0, vcc_lo, s0
	s_and_saveexec_b32 s1, s0
	s_cbranch_execz .LBB106_23
; %bb.5:
	s_load_dwordx2 s[0:1], s[4:5], 0x0
	v_lshrrev_b32_e32 v5, 2, v0
	v_lshl_or_b32 v5, s6, 5, v5
	s_waitcnt lgkmcnt(0)
	v_cmp_gt_i32_e32 vcc_lo, s0, v5
	s_and_b32 exec_lo, exec_lo, vcc_lo
	s_cbranch_execz .LBB106_23
; %bb.6:
	s_load_dwordx8 s[8:15], s[4:5], 0x10
	v_ashrrev_i32_e32 v6, 31, v5
	v_and_b32_e32 v0, 3, v0
	s_cmp_lg_u32 s1, 0
	v_lshlrev_b64 v[6:7], 2, v[5:6]
	s_waitcnt lgkmcnt(0)
	v_add_co_u32 v6, vcc_lo, s8, v6
	v_add_co_ci_u32_e64 v7, null, s9, v7, vcc_lo
	global_load_dwordx2 v[6:7], v[6:7], off
	s_waitcnt vmcnt(0)
	v_subrev_nc_u32_e32 v6, s2, v6
	v_subrev_nc_u32_e32 v16, s2, v7
	v_add_nc_u32_e32 v6, v6, v0
	v_cmp_lt_i32_e64 s0, v6, v16
	s_cbranch_scc0 .LBB106_12
; %bb.7:
	v_mov_b32_e32 v10, 0
	v_mov_b32_e32 v8, 0
	;; [unrolled: 1-line block ×4, first 2 shown]
	s_and_saveexec_b32 s1, s0
	s_cbranch_execz .LBB106_11
; %bb.8:
	v_mov_b32_e32 v10, 0
	v_mov_b32_e32 v8, 0
	v_lshlrev_b32_e32 v12, 4, v6
	v_mov_b32_e32 v11, 0
	v_mov_b32_e32 v13, 0
	;; [unrolled: 1-line block ×4, first 2 shown]
	s_mov_b32 s3, 0
.LBB106_9:                              ; =>This Inner Loop Header: Depth=1
	v_ashrrev_i32_e32 v15, 31, v14
	v_mov_b32_e32 v20, v13
	v_lshlrev_b64 v[17:18], 2, v[14:15]
	v_add_nc_u32_e32 v14, 4, v14
	v_add_co_u32 v17, vcc_lo, s10, v17
	v_add_co_ci_u32_e64 v18, null, s11, v18, vcc_lo
	global_load_dword v7, v[17:18], off
	v_lshlrev_b64 v[17:18], 3, v[12:13]
	v_add_nc_u32_e32 v12, 64, v12
	v_add_co_u32 v61, vcc_lo, s12, v17
	v_add_co_ci_u32_e64 v62, null, s13, v18, vcc_lo
	s_waitcnt vmcnt(0)
	v_subrev_nc_u32_e32 v7, s2, v7
	v_lshlrev_b32_e32 v19, 3, v7
	v_lshlrev_b64 v[19:20], 3, v[19:20]
	v_add_co_u32 v53, vcc_lo, s14, v19
	v_add_co_ci_u32_e64 v54, null, s15, v20, vcc_lo
	v_cmp_ge_i32_e32 vcc_lo, v14, v16
	s_clause 0x1
	global_load_dwordx4 v[17:20], v[61:62], off offset:16
	global_load_dwordx4 v[21:24], v[61:62], off
	s_clause 0x1
	global_load_dwordx4 v[25:28], v[53:54], off
	global_load_dwordx4 v[29:32], v[53:54], off offset:16
	s_clause 0x3
	global_load_dwordx4 v[33:36], v[61:62], off offset:32
	global_load_dwordx4 v[37:40], v[61:62], off offset:48
	;; [unrolled: 1-line block ×4, first 2 shown]
	s_clause 0x1
	global_load_dwordx4 v[49:52], v[53:54], off offset:32
	global_load_dwordx4 v[53:56], v[53:54], off offset:48
	s_clause 0x1
	global_load_dwordx4 v[57:60], v[61:62], off offset:96
	global_load_dwordx4 v[61:64], v[61:62], off offset:112
	s_or_b32 s3, vcc_lo, s3
	s_waitcnt vmcnt(9)
	v_fma_f64 v[10:11], v[21:22], v[25:26], v[10:11]
	v_fma_f64 v[7:8], v[23:24], v[25:26], v[8:9]
	;; [unrolled: 1-line block ×4, first 2 shown]
	s_waitcnt vmcnt(7)
	v_fma_f64 v[9:10], v[33:34], v[29:30], v[9:10]
	v_fma_f64 v[7:8], v[35:36], v[29:30], v[7:8]
	s_waitcnt vmcnt(6)
	v_fma_f64 v[9:10], v[37:38], v[31:32], v[9:10]
	v_fma_f64 v[7:8], v[39:40], v[31:32], v[7:8]
	;; [unrolled: 3-line block ×3, first 2 shown]
	v_fma_f64 v[9:10], v[41:42], v[51:52], v[9:10]
	v_fma_f64 v[7:8], v[43:44], v[51:52], v[7:8]
	s_waitcnt vmcnt(1)
	v_fma_f64 v[9:10], v[57:58], v[53:54], v[9:10]
	v_fma_f64 v[7:8], v[59:60], v[53:54], v[7:8]
	s_waitcnt vmcnt(0)
	v_fma_f64 v[10:11], v[61:62], v[55:56], v[9:10]
	v_fma_f64 v[8:9], v[63:64], v[55:56], v[7:8]
	s_andn2_b32 exec_lo, exec_lo, s3
	s_cbranch_execnz .LBB106_9
; %bb.10:
	s_or_b32 exec_lo, exec_lo, s3
.LBB106_11:
	s_or_b32 exec_lo, exec_lo, s1
	s_cbranch_execz .LBB106_13
	s_branch .LBB106_18
.LBB106_12:
                                        ; implicit-def: $vgpr10_vgpr11
                                        ; implicit-def: $vgpr8_vgpr9
.LBB106_13:
	v_mov_b32_e32 v10, 0
	v_mov_b32_e32 v8, 0
	;; [unrolled: 1-line block ×4, first 2 shown]
	s_and_saveexec_b32 s1, s0
	s_cbranch_execz .LBB106_17
; %bb.14:
	v_mov_b32_e32 v10, 0
	v_mov_b32_e32 v8, 0
	v_lshlrev_b32_e32 v12, 4, v6
	v_mov_b32_e32 v11, 0
	v_mov_b32_e32 v9, 0
	v_mov_b32_e32 v13, 0
	s_mov_b32 s0, 0
.LBB106_15:                             ; =>This Inner Loop Header: Depth=1
	v_ashrrev_i32_e32 v7, 31, v6
	v_mov_b32_e32 v18, v13
	v_lshlrev_b64 v[14:15], 2, v[6:7]
	v_add_nc_u32_e32 v6, 4, v6
	v_add_co_u32 v14, vcc_lo, s10, v14
	v_add_co_ci_u32_e64 v15, null, s11, v15, vcc_lo
	global_load_dword v7, v[14:15], off
	v_lshlrev_b64 v[14:15], 3, v[12:13]
	v_add_nc_u32_e32 v12, 64, v12
	v_add_co_u32 v14, vcc_lo, s12, v14
	v_add_co_ci_u32_e64 v15, null, s13, v15, vcc_lo
	s_waitcnt vmcnt(0)
	v_subrev_nc_u32_e32 v7, s2, v7
	v_lshlrev_b32_e32 v17, 3, v7
	v_lshlrev_b64 v[21:22], 3, v[17:18]
	global_load_dwordx4 v[17:20], v[14:15], off offset:16
	v_add_co_u32 v61, vcc_lo, s14, v21
	v_add_co_ci_u32_e64 v62, null, s15, v22, vcc_lo
	s_clause 0x2
	global_load_dwordx4 v[21:24], v[14:15], off
	global_load_dwordx4 v[25:28], v[14:15], off offset:80
	global_load_dwordx4 v[29:32], v[14:15], off offset:64
	s_clause 0x1
	global_load_dwordx4 v[33:36], v[61:62], off
	global_load_dwordx4 v[37:40], v[61:62], off offset:16
	s_clause 0x3
	global_load_dwordx4 v[41:44], v[14:15], off offset:48
	global_load_dwordx4 v[45:48], v[14:15], off offset:32
	;; [unrolled: 1-line block ×4, first 2 shown]
	s_clause 0x1
	global_load_dwordx4 v[57:60], v[61:62], off offset:32
	global_load_dwordx4 v[61:64], v[61:62], off offset:48
	v_cmp_ge_i32_e32 vcc_lo, v6, v16
	s_or_b32 s0, vcc_lo, s0
	s_waitcnt vmcnt(7)
	v_fma_f64 v[10:11], v[21:22], v[33:34], v[10:11]
	v_fma_f64 v[7:8], v[29:30], v[33:34], v[8:9]
	v_fma_f64 v[9:10], v[23:24], v[35:36], v[10:11]
	v_fma_f64 v[7:8], v[31:32], v[35:36], v[7:8]
	s_waitcnt vmcnt(6)
	v_fma_f64 v[9:10], v[17:18], v[37:38], v[9:10]
	v_fma_f64 v[7:8], v[25:26], v[37:38], v[7:8]
	v_fma_f64 v[9:10], v[19:20], v[39:40], v[9:10]
	v_fma_f64 v[7:8], v[27:28], v[39:40], v[7:8]
	;; [unrolled: 5-line block ×4, first 2 shown]
	s_andn2_b32 exec_lo, exec_lo, s0
	s_cbranch_execnz .LBB106_15
; %bb.16:
	s_or_b32 exec_lo, exec_lo, s0
.LBB106_17:
	s_or_b32 exec_lo, exec_lo, s1
.LBB106_18:
	v_mbcnt_lo_u32_b32 v14, -1, 0
	v_xor_b32_e32 v6, 2, v14
	v_cmp_gt_i32_e32 vcc_lo, 32, v6
	v_cndmask_b32_e32 v6, v14, v6, vcc_lo
	v_lshlrev_b32_e32 v13, 2, v6
	ds_bpermute_b32 v6, v13, v10
	ds_bpermute_b32 v7, v13, v11
	;; [unrolled: 1-line block ×4, first 2 shown]
	s_waitcnt lgkmcnt(2)
	v_add_f64 v[6:7], v[10:11], v[6:7]
	s_waitcnt lgkmcnt(0)
	v_add_f64 v[10:11], v[8:9], v[12:13]
	v_xor_b32_e32 v8, 1, v14
	v_cmp_gt_i32_e32 vcc_lo, 32, v8
	v_cndmask_b32_e32 v8, v14, v8, vcc_lo
	v_cmp_eq_u32_e32 vcc_lo, 3, v0
	v_lshlrev_b32_e32 v13, 2, v8
	ds_bpermute_b32 v8, v13, v6
	ds_bpermute_b32 v9, v13, v7
	;; [unrolled: 1-line block ×4, first 2 shown]
	s_and_b32 exec_lo, exec_lo, vcc_lo
	s_cbranch_execz .LBB106_23
; %bb.19:
	s_waitcnt lgkmcnt(2)
	v_add_f64 v[8:9], v[6:7], v[8:9]
	s_waitcnt lgkmcnt(0)
	v_add_f64 v[6:7], v[10:11], v[12:13]
	s_load_dwordx2 s[0:1], s[4:5], 0x38
	s_mov_b32 s2, exec_lo
	v_cmpx_eq_f64_e32 0, v[3:4]
	s_xor_b32 s2, exec_lo, s2
	s_cbranch_execz .LBB106_21
; %bb.20:
	v_lshlrev_b32_e32 v0, 1, v5
	v_mul_f64 v[3:4], v[1:2], v[8:9]
	v_mul_f64 v[5:6], v[1:2], v[6:7]
                                        ; implicit-def: $vgpr8_vgpr9
	v_ashrrev_i32_e32 v1, 31, v0
	v_lshlrev_b64 v[0:1], 3, v[0:1]
	s_waitcnt lgkmcnt(0)
	v_add_co_u32 v0, vcc_lo, s0, v0
	v_add_co_ci_u32_e64 v1, null, s1, v1, vcc_lo
	global_store_dwordx4 v[0:1], v[3:6], off
                                        ; implicit-def: $vgpr5
                                        ; implicit-def: $vgpr1_vgpr2
                                        ; implicit-def: $vgpr3_vgpr4
                                        ; implicit-def: $vgpr6_vgpr7
.LBB106_21:
	s_andn2_saveexec_b32 s2, s2
	s_cbranch_execz .LBB106_23
; %bb.22:
	v_lshlrev_b32_e32 v10, 1, v5
	v_mul_f64 v[8:9], v[1:2], v[8:9]
	v_mul_f64 v[5:6], v[1:2], v[6:7]
	v_ashrrev_i32_e32 v11, 31, v10
	v_lshlrev_b64 v[10:11], 3, v[10:11]
	s_waitcnt lgkmcnt(0)
	v_add_co_u32 v14, vcc_lo, s0, v10
	v_add_co_ci_u32_e64 v15, null, s1, v11, vcc_lo
	global_load_dwordx4 v[10:13], v[14:15], off
	s_waitcnt vmcnt(0)
	v_fma_f64 v[0:1], v[3:4], v[10:11], v[8:9]
	v_fma_f64 v[2:3], v[3:4], v[12:13], v[5:6]
	global_store_dwordx4 v[14:15], v[0:3], off
.LBB106_23:
	s_endpgm
	.section	.rodata,"a",@progbits
	.p2align	6, 0x0
	.amdhsa_kernel _ZN9rocsparseL19gebsrmvn_2xn_kernelILj128ELj8ELj4EdEEvi20rocsparse_direction_NS_24const_host_device_scalarIT2_EEPKiS6_PKS3_S8_S4_PS3_21rocsparse_index_base_b
		.amdhsa_group_segment_fixed_size 0
		.amdhsa_private_segment_fixed_size 0
		.amdhsa_kernarg_size 72
		.amdhsa_user_sgpr_count 6
		.amdhsa_user_sgpr_private_segment_buffer 1
		.amdhsa_user_sgpr_dispatch_ptr 0
		.amdhsa_user_sgpr_queue_ptr 0
		.amdhsa_user_sgpr_kernarg_segment_ptr 1
		.amdhsa_user_sgpr_dispatch_id 0
		.amdhsa_user_sgpr_flat_scratch_init 0
		.amdhsa_user_sgpr_private_segment_size 0
		.amdhsa_wavefront_size32 1
		.amdhsa_uses_dynamic_stack 0
		.amdhsa_system_sgpr_private_segment_wavefront_offset 0
		.amdhsa_system_sgpr_workgroup_id_x 1
		.amdhsa_system_sgpr_workgroup_id_y 0
		.amdhsa_system_sgpr_workgroup_id_z 0
		.amdhsa_system_sgpr_workgroup_info 0
		.amdhsa_system_vgpr_workitem_id 0
		.amdhsa_next_free_vgpr 65
		.amdhsa_next_free_sgpr 16
		.amdhsa_reserve_vcc 1
		.amdhsa_reserve_flat_scratch 0
		.amdhsa_float_round_mode_32 0
		.amdhsa_float_round_mode_16_64 0
		.amdhsa_float_denorm_mode_32 3
		.amdhsa_float_denorm_mode_16_64 3
		.amdhsa_dx10_clamp 1
		.amdhsa_ieee_mode 1
		.amdhsa_fp16_overflow 0
		.amdhsa_workgroup_processor_mode 1
		.amdhsa_memory_ordered 1
		.amdhsa_forward_progress 1
		.amdhsa_shared_vgpr_count 0
		.amdhsa_exception_fp_ieee_invalid_op 0
		.amdhsa_exception_fp_denorm_src 0
		.amdhsa_exception_fp_ieee_div_zero 0
		.amdhsa_exception_fp_ieee_overflow 0
		.amdhsa_exception_fp_ieee_underflow 0
		.amdhsa_exception_fp_ieee_inexact 0
		.amdhsa_exception_int_div_zero 0
	.end_amdhsa_kernel
	.section	.text._ZN9rocsparseL19gebsrmvn_2xn_kernelILj128ELj8ELj4EdEEvi20rocsparse_direction_NS_24const_host_device_scalarIT2_EEPKiS6_PKS3_S8_S4_PS3_21rocsparse_index_base_b,"axG",@progbits,_ZN9rocsparseL19gebsrmvn_2xn_kernelILj128ELj8ELj4EdEEvi20rocsparse_direction_NS_24const_host_device_scalarIT2_EEPKiS6_PKS3_S8_S4_PS3_21rocsparse_index_base_b,comdat
.Lfunc_end106:
	.size	_ZN9rocsparseL19gebsrmvn_2xn_kernelILj128ELj8ELj4EdEEvi20rocsparse_direction_NS_24const_host_device_scalarIT2_EEPKiS6_PKS3_S8_S4_PS3_21rocsparse_index_base_b, .Lfunc_end106-_ZN9rocsparseL19gebsrmvn_2xn_kernelILj128ELj8ELj4EdEEvi20rocsparse_direction_NS_24const_host_device_scalarIT2_EEPKiS6_PKS3_S8_S4_PS3_21rocsparse_index_base_b
                                        ; -- End function
	.set _ZN9rocsparseL19gebsrmvn_2xn_kernelILj128ELj8ELj4EdEEvi20rocsparse_direction_NS_24const_host_device_scalarIT2_EEPKiS6_PKS3_S8_S4_PS3_21rocsparse_index_base_b.num_vgpr, 65
	.set _ZN9rocsparseL19gebsrmvn_2xn_kernelILj128ELj8ELj4EdEEvi20rocsparse_direction_NS_24const_host_device_scalarIT2_EEPKiS6_PKS3_S8_S4_PS3_21rocsparse_index_base_b.num_agpr, 0
	.set _ZN9rocsparseL19gebsrmvn_2xn_kernelILj128ELj8ELj4EdEEvi20rocsparse_direction_NS_24const_host_device_scalarIT2_EEPKiS6_PKS3_S8_S4_PS3_21rocsparse_index_base_b.numbered_sgpr, 16
	.set _ZN9rocsparseL19gebsrmvn_2xn_kernelILj128ELj8ELj4EdEEvi20rocsparse_direction_NS_24const_host_device_scalarIT2_EEPKiS6_PKS3_S8_S4_PS3_21rocsparse_index_base_b.num_named_barrier, 0
	.set _ZN9rocsparseL19gebsrmvn_2xn_kernelILj128ELj8ELj4EdEEvi20rocsparse_direction_NS_24const_host_device_scalarIT2_EEPKiS6_PKS3_S8_S4_PS3_21rocsparse_index_base_b.private_seg_size, 0
	.set _ZN9rocsparseL19gebsrmvn_2xn_kernelILj128ELj8ELj4EdEEvi20rocsparse_direction_NS_24const_host_device_scalarIT2_EEPKiS6_PKS3_S8_S4_PS3_21rocsparse_index_base_b.uses_vcc, 1
	.set _ZN9rocsparseL19gebsrmvn_2xn_kernelILj128ELj8ELj4EdEEvi20rocsparse_direction_NS_24const_host_device_scalarIT2_EEPKiS6_PKS3_S8_S4_PS3_21rocsparse_index_base_b.uses_flat_scratch, 0
	.set _ZN9rocsparseL19gebsrmvn_2xn_kernelILj128ELj8ELj4EdEEvi20rocsparse_direction_NS_24const_host_device_scalarIT2_EEPKiS6_PKS3_S8_S4_PS3_21rocsparse_index_base_b.has_dyn_sized_stack, 0
	.set _ZN9rocsparseL19gebsrmvn_2xn_kernelILj128ELj8ELj4EdEEvi20rocsparse_direction_NS_24const_host_device_scalarIT2_EEPKiS6_PKS3_S8_S4_PS3_21rocsparse_index_base_b.has_recursion, 0
	.set _ZN9rocsparseL19gebsrmvn_2xn_kernelILj128ELj8ELj4EdEEvi20rocsparse_direction_NS_24const_host_device_scalarIT2_EEPKiS6_PKS3_S8_S4_PS3_21rocsparse_index_base_b.has_indirect_call, 0
	.section	.AMDGPU.csdata,"",@progbits
; Kernel info:
; codeLenInByte = 1508
; TotalNumSgprs: 18
; NumVgprs: 65
; ScratchSize: 0
; MemoryBound: 1
; FloatMode: 240
; IeeeMode: 1
; LDSByteSize: 0 bytes/workgroup (compile time only)
; SGPRBlocks: 0
; VGPRBlocks: 8
; NumSGPRsForWavesPerEU: 18
; NumVGPRsForWavesPerEU: 65
; Occupancy: 12
; WaveLimiterHint : 1
; COMPUTE_PGM_RSRC2:SCRATCH_EN: 0
; COMPUTE_PGM_RSRC2:USER_SGPR: 6
; COMPUTE_PGM_RSRC2:TRAP_HANDLER: 0
; COMPUTE_PGM_RSRC2:TGID_X_EN: 1
; COMPUTE_PGM_RSRC2:TGID_Y_EN: 0
; COMPUTE_PGM_RSRC2:TGID_Z_EN: 0
; COMPUTE_PGM_RSRC2:TIDIG_COMP_CNT: 0
	.section	.text._ZN9rocsparseL19gebsrmvn_2xn_kernelILj128ELj8ELj8EdEEvi20rocsparse_direction_NS_24const_host_device_scalarIT2_EEPKiS6_PKS3_S8_S4_PS3_21rocsparse_index_base_b,"axG",@progbits,_ZN9rocsparseL19gebsrmvn_2xn_kernelILj128ELj8ELj8EdEEvi20rocsparse_direction_NS_24const_host_device_scalarIT2_EEPKiS6_PKS3_S8_S4_PS3_21rocsparse_index_base_b,comdat
	.globl	_ZN9rocsparseL19gebsrmvn_2xn_kernelILj128ELj8ELj8EdEEvi20rocsparse_direction_NS_24const_host_device_scalarIT2_EEPKiS6_PKS3_S8_S4_PS3_21rocsparse_index_base_b ; -- Begin function _ZN9rocsparseL19gebsrmvn_2xn_kernelILj128ELj8ELj8EdEEvi20rocsparse_direction_NS_24const_host_device_scalarIT2_EEPKiS6_PKS3_S8_S4_PS3_21rocsparse_index_base_b
	.p2align	8
	.type	_ZN9rocsparseL19gebsrmvn_2xn_kernelILj128ELj8ELj8EdEEvi20rocsparse_direction_NS_24const_host_device_scalarIT2_EEPKiS6_PKS3_S8_S4_PS3_21rocsparse_index_base_b,@function
_ZN9rocsparseL19gebsrmvn_2xn_kernelILj128ELj8ELj8EdEEvi20rocsparse_direction_NS_24const_host_device_scalarIT2_EEPKiS6_PKS3_S8_S4_PS3_21rocsparse_index_base_b: ; @_ZN9rocsparseL19gebsrmvn_2xn_kernelILj128ELj8ELj8EdEEvi20rocsparse_direction_NS_24const_host_device_scalarIT2_EEPKiS6_PKS3_S8_S4_PS3_21rocsparse_index_base_b
; %bb.0:
	s_clause 0x2
	s_load_dwordx2 s[2:3], s[4:5], 0x40
	s_load_dwordx2 s[8:9], s[4:5], 0x8
	;; [unrolled: 1-line block ×3, first 2 shown]
	s_waitcnt lgkmcnt(0)
	s_bitcmp1_b32 s3, 0
	v_mov_b32_e32 v1, s8
	v_mov_b32_e32 v2, s9
	s_cselect_b32 s3, -1, 0
	s_and_b32 vcc_lo, exec_lo, s3
	s_xor_b32 s3, s3, -1
	s_cbranch_vccnz .LBB107_2
; %bb.1:
	v_mov_b32_e32 v1, s8
	v_mov_b32_e32 v2, s9
	flat_load_dwordx2 v[1:2], v[1:2]
.LBB107_2:
	v_mov_b32_e32 v4, s1
	v_mov_b32_e32 v3, s0
	s_andn2_b32 vcc_lo, exec_lo, s3
	s_cbranch_vccnz .LBB107_4
; %bb.3:
	v_mov_b32_e32 v4, s1
	v_mov_b32_e32 v3, s0
	flat_load_dwordx2 v[3:4], v[3:4]
.LBB107_4:
	s_waitcnt vmcnt(0) lgkmcnt(0)
	v_cmp_neq_f64_e32 vcc_lo, 0, v[1:2]
	v_cmp_neq_f64_e64 s0, 1.0, v[3:4]
	s_or_b32 s0, vcc_lo, s0
	s_and_saveexec_b32 s1, s0
	s_cbranch_execz .LBB107_23
; %bb.5:
	s_load_dwordx2 s[0:1], s[4:5], 0x0
	v_lshrrev_b32_e32 v5, 3, v0
	v_lshl_or_b32 v5, s6, 4, v5
	s_waitcnt lgkmcnt(0)
	v_cmp_gt_i32_e32 vcc_lo, s0, v5
	s_and_b32 exec_lo, exec_lo, vcc_lo
	s_cbranch_execz .LBB107_23
; %bb.6:
	s_load_dwordx8 s[8:15], s[4:5], 0x10
	v_ashrrev_i32_e32 v6, 31, v5
	v_and_b32_e32 v0, 7, v0
	s_cmp_lg_u32 s1, 0
	v_lshlrev_b64 v[6:7], 2, v[5:6]
	s_waitcnt lgkmcnt(0)
	v_add_co_u32 v6, vcc_lo, s8, v6
	v_add_co_ci_u32_e64 v7, null, s9, v7, vcc_lo
	global_load_dwordx2 v[6:7], v[6:7], off
	s_waitcnt vmcnt(0)
	v_subrev_nc_u32_e32 v6, s2, v6
	v_subrev_nc_u32_e32 v16, s2, v7
	v_add_nc_u32_e32 v6, v6, v0
	v_cmp_lt_i32_e64 s0, v6, v16
	s_cbranch_scc0 .LBB107_12
; %bb.7:
	v_mov_b32_e32 v10, 0
	v_mov_b32_e32 v8, 0
	;; [unrolled: 1-line block ×4, first 2 shown]
	s_and_saveexec_b32 s1, s0
	s_cbranch_execz .LBB107_11
; %bb.8:
	v_mov_b32_e32 v10, 0
	v_mov_b32_e32 v8, 0
	v_lshlrev_b32_e32 v12, 4, v6
	v_mov_b32_e32 v11, 0
	v_mov_b32_e32 v13, 0
	;; [unrolled: 1-line block ×4, first 2 shown]
	s_mov_b32 s3, 0
.LBB107_9:                              ; =>This Inner Loop Header: Depth=1
	v_ashrrev_i32_e32 v15, 31, v14
	v_mov_b32_e32 v20, v13
	v_lshlrev_b64 v[17:18], 2, v[14:15]
	v_add_nc_u32_e32 v14, 8, v14
	v_add_co_u32 v17, vcc_lo, s10, v17
	v_add_co_ci_u32_e64 v18, null, s11, v18, vcc_lo
	global_load_dword v7, v[17:18], off
	v_lshlrev_b64 v[17:18], 3, v[12:13]
	v_add_nc_u32_e32 v12, 0x80, v12
	v_add_co_u32 v61, vcc_lo, s12, v17
	v_add_co_ci_u32_e64 v62, null, s13, v18, vcc_lo
	s_waitcnt vmcnt(0)
	v_subrev_nc_u32_e32 v7, s2, v7
	v_lshlrev_b32_e32 v19, 3, v7
	v_lshlrev_b64 v[19:20], 3, v[19:20]
	v_add_co_u32 v53, vcc_lo, s14, v19
	v_add_co_ci_u32_e64 v54, null, s15, v20, vcc_lo
	v_cmp_ge_i32_e32 vcc_lo, v14, v16
	s_clause 0x1
	global_load_dwordx4 v[17:20], v[61:62], off offset:16
	global_load_dwordx4 v[21:24], v[61:62], off
	s_clause 0x1
	global_load_dwordx4 v[25:28], v[53:54], off
	global_load_dwordx4 v[29:32], v[53:54], off offset:16
	s_clause 0x3
	global_load_dwordx4 v[33:36], v[61:62], off offset:32
	global_load_dwordx4 v[37:40], v[61:62], off offset:48
	;; [unrolled: 1-line block ×4, first 2 shown]
	s_clause 0x1
	global_load_dwordx4 v[49:52], v[53:54], off offset:32
	global_load_dwordx4 v[53:56], v[53:54], off offset:48
	s_clause 0x1
	global_load_dwordx4 v[57:60], v[61:62], off offset:96
	global_load_dwordx4 v[61:64], v[61:62], off offset:112
	s_or_b32 s3, vcc_lo, s3
	s_waitcnt vmcnt(9)
	v_fma_f64 v[10:11], v[21:22], v[25:26], v[10:11]
	v_fma_f64 v[7:8], v[23:24], v[25:26], v[8:9]
	;; [unrolled: 1-line block ×4, first 2 shown]
	s_waitcnt vmcnt(7)
	v_fma_f64 v[9:10], v[33:34], v[29:30], v[9:10]
	v_fma_f64 v[7:8], v[35:36], v[29:30], v[7:8]
	s_waitcnt vmcnt(6)
	v_fma_f64 v[9:10], v[37:38], v[31:32], v[9:10]
	v_fma_f64 v[7:8], v[39:40], v[31:32], v[7:8]
	;; [unrolled: 3-line block ×3, first 2 shown]
	v_fma_f64 v[9:10], v[41:42], v[51:52], v[9:10]
	v_fma_f64 v[7:8], v[43:44], v[51:52], v[7:8]
	s_waitcnt vmcnt(1)
	v_fma_f64 v[9:10], v[57:58], v[53:54], v[9:10]
	v_fma_f64 v[7:8], v[59:60], v[53:54], v[7:8]
	s_waitcnt vmcnt(0)
	v_fma_f64 v[10:11], v[61:62], v[55:56], v[9:10]
	v_fma_f64 v[8:9], v[63:64], v[55:56], v[7:8]
	s_andn2_b32 exec_lo, exec_lo, s3
	s_cbranch_execnz .LBB107_9
; %bb.10:
	s_or_b32 exec_lo, exec_lo, s3
.LBB107_11:
	s_or_b32 exec_lo, exec_lo, s1
	s_cbranch_execz .LBB107_13
	s_branch .LBB107_18
.LBB107_12:
                                        ; implicit-def: $vgpr10_vgpr11
                                        ; implicit-def: $vgpr8_vgpr9
.LBB107_13:
	v_mov_b32_e32 v10, 0
	v_mov_b32_e32 v8, 0
	;; [unrolled: 1-line block ×4, first 2 shown]
	s_and_saveexec_b32 s1, s0
	s_cbranch_execz .LBB107_17
; %bb.14:
	v_mov_b32_e32 v10, 0
	v_mov_b32_e32 v8, 0
	v_lshlrev_b32_e32 v12, 4, v6
	v_mov_b32_e32 v11, 0
	v_mov_b32_e32 v9, 0
	;; [unrolled: 1-line block ×3, first 2 shown]
	s_mov_b32 s0, 0
.LBB107_15:                             ; =>This Inner Loop Header: Depth=1
	v_ashrrev_i32_e32 v7, 31, v6
	v_mov_b32_e32 v18, v13
	v_lshlrev_b64 v[14:15], 2, v[6:7]
	v_add_nc_u32_e32 v6, 8, v6
	v_add_co_u32 v14, vcc_lo, s10, v14
	v_add_co_ci_u32_e64 v15, null, s11, v15, vcc_lo
	global_load_dword v7, v[14:15], off
	v_lshlrev_b64 v[14:15], 3, v[12:13]
	v_add_nc_u32_e32 v12, 0x80, v12
	v_add_co_u32 v14, vcc_lo, s12, v14
	v_add_co_ci_u32_e64 v15, null, s13, v15, vcc_lo
	s_waitcnt vmcnt(0)
	v_subrev_nc_u32_e32 v7, s2, v7
	v_lshlrev_b32_e32 v17, 3, v7
	v_lshlrev_b64 v[21:22], 3, v[17:18]
	global_load_dwordx4 v[17:20], v[14:15], off offset:16
	v_add_co_u32 v61, vcc_lo, s14, v21
	v_add_co_ci_u32_e64 v62, null, s15, v22, vcc_lo
	s_clause 0x2
	global_load_dwordx4 v[21:24], v[14:15], off
	global_load_dwordx4 v[25:28], v[14:15], off offset:80
	global_load_dwordx4 v[29:32], v[14:15], off offset:64
	s_clause 0x1
	global_load_dwordx4 v[33:36], v[61:62], off
	global_load_dwordx4 v[37:40], v[61:62], off offset:16
	s_clause 0x3
	global_load_dwordx4 v[41:44], v[14:15], off offset:48
	global_load_dwordx4 v[45:48], v[14:15], off offset:32
	;; [unrolled: 1-line block ×4, first 2 shown]
	s_clause 0x1
	global_load_dwordx4 v[57:60], v[61:62], off offset:32
	global_load_dwordx4 v[61:64], v[61:62], off offset:48
	v_cmp_ge_i32_e32 vcc_lo, v6, v16
	s_or_b32 s0, vcc_lo, s0
	s_waitcnt vmcnt(7)
	v_fma_f64 v[10:11], v[21:22], v[33:34], v[10:11]
	v_fma_f64 v[7:8], v[29:30], v[33:34], v[8:9]
	v_fma_f64 v[9:10], v[23:24], v[35:36], v[10:11]
	v_fma_f64 v[7:8], v[31:32], v[35:36], v[7:8]
	s_waitcnt vmcnt(6)
	v_fma_f64 v[9:10], v[17:18], v[37:38], v[9:10]
	v_fma_f64 v[7:8], v[25:26], v[37:38], v[7:8]
	v_fma_f64 v[9:10], v[19:20], v[39:40], v[9:10]
	v_fma_f64 v[7:8], v[27:28], v[39:40], v[7:8]
	;; [unrolled: 5-line block ×4, first 2 shown]
	s_andn2_b32 exec_lo, exec_lo, s0
	s_cbranch_execnz .LBB107_15
; %bb.16:
	s_or_b32 exec_lo, exec_lo, s0
.LBB107_17:
	s_or_b32 exec_lo, exec_lo, s1
.LBB107_18:
	v_mbcnt_lo_u32_b32 v14, -1, 0
	v_xor_b32_e32 v6, 4, v14
	v_cmp_gt_i32_e32 vcc_lo, 32, v6
	v_cndmask_b32_e32 v6, v14, v6, vcc_lo
	v_lshlrev_b32_e32 v13, 2, v6
	ds_bpermute_b32 v6, v13, v10
	ds_bpermute_b32 v7, v13, v11
	;; [unrolled: 1-line block ×4, first 2 shown]
	s_waitcnt lgkmcnt(2)
	v_add_f64 v[6:7], v[10:11], v[6:7]
	v_xor_b32_e32 v10, 2, v14
	s_waitcnt lgkmcnt(0)
	v_add_f64 v[8:9], v[8:9], v[12:13]
	v_cmp_gt_i32_e32 vcc_lo, 32, v10
	v_cndmask_b32_e32 v10, v14, v10, vcc_lo
	v_lshlrev_b32_e32 v13, 2, v10
	ds_bpermute_b32 v10, v13, v6
	ds_bpermute_b32 v11, v13, v7
	;; [unrolled: 1-line block ×4, first 2 shown]
	s_waitcnt lgkmcnt(2)
	v_add_f64 v[6:7], v[6:7], v[10:11]
	s_waitcnt lgkmcnt(0)
	v_add_f64 v[10:11], v[8:9], v[12:13]
	v_xor_b32_e32 v8, 1, v14
	v_cmp_gt_i32_e32 vcc_lo, 32, v8
	v_cndmask_b32_e32 v8, v14, v8, vcc_lo
	v_cmp_eq_u32_e32 vcc_lo, 7, v0
	v_lshlrev_b32_e32 v13, 2, v8
	ds_bpermute_b32 v8, v13, v6
	ds_bpermute_b32 v9, v13, v7
	;; [unrolled: 1-line block ×4, first 2 shown]
	s_and_b32 exec_lo, exec_lo, vcc_lo
	s_cbranch_execz .LBB107_23
; %bb.19:
	s_waitcnt lgkmcnt(2)
	v_add_f64 v[8:9], v[6:7], v[8:9]
	s_waitcnt lgkmcnt(0)
	v_add_f64 v[6:7], v[10:11], v[12:13]
	s_load_dwordx2 s[0:1], s[4:5], 0x38
	s_mov_b32 s2, exec_lo
	v_cmpx_eq_f64_e32 0, v[3:4]
	s_xor_b32 s2, exec_lo, s2
	s_cbranch_execz .LBB107_21
; %bb.20:
	v_lshlrev_b32_e32 v0, 1, v5
	v_mul_f64 v[3:4], v[1:2], v[8:9]
	v_mul_f64 v[5:6], v[1:2], v[6:7]
                                        ; implicit-def: $vgpr8_vgpr9
	v_ashrrev_i32_e32 v1, 31, v0
	v_lshlrev_b64 v[0:1], 3, v[0:1]
	s_waitcnt lgkmcnt(0)
	v_add_co_u32 v0, vcc_lo, s0, v0
	v_add_co_ci_u32_e64 v1, null, s1, v1, vcc_lo
	global_store_dwordx4 v[0:1], v[3:6], off
                                        ; implicit-def: $vgpr5
                                        ; implicit-def: $vgpr1_vgpr2
                                        ; implicit-def: $vgpr3_vgpr4
                                        ; implicit-def: $vgpr6_vgpr7
.LBB107_21:
	s_andn2_saveexec_b32 s2, s2
	s_cbranch_execz .LBB107_23
; %bb.22:
	v_lshlrev_b32_e32 v10, 1, v5
	v_mul_f64 v[8:9], v[1:2], v[8:9]
	v_mul_f64 v[5:6], v[1:2], v[6:7]
	v_ashrrev_i32_e32 v11, 31, v10
	v_lshlrev_b64 v[10:11], 3, v[10:11]
	s_waitcnt lgkmcnt(0)
	v_add_co_u32 v14, vcc_lo, s0, v10
	v_add_co_ci_u32_e64 v15, null, s1, v11, vcc_lo
	global_load_dwordx4 v[10:13], v[14:15], off
	s_waitcnt vmcnt(0)
	v_fma_f64 v[0:1], v[3:4], v[10:11], v[8:9]
	v_fma_f64 v[2:3], v[3:4], v[12:13], v[5:6]
	global_store_dwordx4 v[14:15], v[0:3], off
.LBB107_23:
	s_endpgm
	.section	.rodata,"a",@progbits
	.p2align	6, 0x0
	.amdhsa_kernel _ZN9rocsparseL19gebsrmvn_2xn_kernelILj128ELj8ELj8EdEEvi20rocsparse_direction_NS_24const_host_device_scalarIT2_EEPKiS6_PKS3_S8_S4_PS3_21rocsparse_index_base_b
		.amdhsa_group_segment_fixed_size 0
		.amdhsa_private_segment_fixed_size 0
		.amdhsa_kernarg_size 72
		.amdhsa_user_sgpr_count 6
		.amdhsa_user_sgpr_private_segment_buffer 1
		.amdhsa_user_sgpr_dispatch_ptr 0
		.amdhsa_user_sgpr_queue_ptr 0
		.amdhsa_user_sgpr_kernarg_segment_ptr 1
		.amdhsa_user_sgpr_dispatch_id 0
		.amdhsa_user_sgpr_flat_scratch_init 0
		.amdhsa_user_sgpr_private_segment_size 0
		.amdhsa_wavefront_size32 1
		.amdhsa_uses_dynamic_stack 0
		.amdhsa_system_sgpr_private_segment_wavefront_offset 0
		.amdhsa_system_sgpr_workgroup_id_x 1
		.amdhsa_system_sgpr_workgroup_id_y 0
		.amdhsa_system_sgpr_workgroup_id_z 0
		.amdhsa_system_sgpr_workgroup_info 0
		.amdhsa_system_vgpr_workitem_id 0
		.amdhsa_next_free_vgpr 65
		.amdhsa_next_free_sgpr 16
		.amdhsa_reserve_vcc 1
		.amdhsa_reserve_flat_scratch 0
		.amdhsa_float_round_mode_32 0
		.amdhsa_float_round_mode_16_64 0
		.amdhsa_float_denorm_mode_32 3
		.amdhsa_float_denorm_mode_16_64 3
		.amdhsa_dx10_clamp 1
		.amdhsa_ieee_mode 1
		.amdhsa_fp16_overflow 0
		.amdhsa_workgroup_processor_mode 1
		.amdhsa_memory_ordered 1
		.amdhsa_forward_progress 1
		.amdhsa_shared_vgpr_count 0
		.amdhsa_exception_fp_ieee_invalid_op 0
		.amdhsa_exception_fp_denorm_src 0
		.amdhsa_exception_fp_ieee_div_zero 0
		.amdhsa_exception_fp_ieee_overflow 0
		.amdhsa_exception_fp_ieee_underflow 0
		.amdhsa_exception_fp_ieee_inexact 0
		.amdhsa_exception_int_div_zero 0
	.end_amdhsa_kernel
	.section	.text._ZN9rocsparseL19gebsrmvn_2xn_kernelILj128ELj8ELj8EdEEvi20rocsparse_direction_NS_24const_host_device_scalarIT2_EEPKiS6_PKS3_S8_S4_PS3_21rocsparse_index_base_b,"axG",@progbits,_ZN9rocsparseL19gebsrmvn_2xn_kernelILj128ELj8ELj8EdEEvi20rocsparse_direction_NS_24const_host_device_scalarIT2_EEPKiS6_PKS3_S8_S4_PS3_21rocsparse_index_base_b,comdat
.Lfunc_end107:
	.size	_ZN9rocsparseL19gebsrmvn_2xn_kernelILj128ELj8ELj8EdEEvi20rocsparse_direction_NS_24const_host_device_scalarIT2_EEPKiS6_PKS3_S8_S4_PS3_21rocsparse_index_base_b, .Lfunc_end107-_ZN9rocsparseL19gebsrmvn_2xn_kernelILj128ELj8ELj8EdEEvi20rocsparse_direction_NS_24const_host_device_scalarIT2_EEPKiS6_PKS3_S8_S4_PS3_21rocsparse_index_base_b
                                        ; -- End function
	.set _ZN9rocsparseL19gebsrmvn_2xn_kernelILj128ELj8ELj8EdEEvi20rocsparse_direction_NS_24const_host_device_scalarIT2_EEPKiS6_PKS3_S8_S4_PS3_21rocsparse_index_base_b.num_vgpr, 65
	.set _ZN9rocsparseL19gebsrmvn_2xn_kernelILj128ELj8ELj8EdEEvi20rocsparse_direction_NS_24const_host_device_scalarIT2_EEPKiS6_PKS3_S8_S4_PS3_21rocsparse_index_base_b.num_agpr, 0
	.set _ZN9rocsparseL19gebsrmvn_2xn_kernelILj128ELj8ELj8EdEEvi20rocsparse_direction_NS_24const_host_device_scalarIT2_EEPKiS6_PKS3_S8_S4_PS3_21rocsparse_index_base_b.numbered_sgpr, 16
	.set _ZN9rocsparseL19gebsrmvn_2xn_kernelILj128ELj8ELj8EdEEvi20rocsparse_direction_NS_24const_host_device_scalarIT2_EEPKiS6_PKS3_S8_S4_PS3_21rocsparse_index_base_b.num_named_barrier, 0
	.set _ZN9rocsparseL19gebsrmvn_2xn_kernelILj128ELj8ELj8EdEEvi20rocsparse_direction_NS_24const_host_device_scalarIT2_EEPKiS6_PKS3_S8_S4_PS3_21rocsparse_index_base_b.private_seg_size, 0
	.set _ZN9rocsparseL19gebsrmvn_2xn_kernelILj128ELj8ELj8EdEEvi20rocsparse_direction_NS_24const_host_device_scalarIT2_EEPKiS6_PKS3_S8_S4_PS3_21rocsparse_index_base_b.uses_vcc, 1
	.set _ZN9rocsparseL19gebsrmvn_2xn_kernelILj128ELj8ELj8EdEEvi20rocsparse_direction_NS_24const_host_device_scalarIT2_EEPKiS6_PKS3_S8_S4_PS3_21rocsparse_index_base_b.uses_flat_scratch, 0
	.set _ZN9rocsparseL19gebsrmvn_2xn_kernelILj128ELj8ELj8EdEEvi20rocsparse_direction_NS_24const_host_device_scalarIT2_EEPKiS6_PKS3_S8_S4_PS3_21rocsparse_index_base_b.has_dyn_sized_stack, 0
	.set _ZN9rocsparseL19gebsrmvn_2xn_kernelILj128ELj8ELj8EdEEvi20rocsparse_direction_NS_24const_host_device_scalarIT2_EEPKiS6_PKS3_S8_S4_PS3_21rocsparse_index_base_b.has_recursion, 0
	.set _ZN9rocsparseL19gebsrmvn_2xn_kernelILj128ELj8ELj8EdEEvi20rocsparse_direction_NS_24const_host_device_scalarIT2_EEPKiS6_PKS3_S8_S4_PS3_21rocsparse_index_base_b.has_indirect_call, 0
	.section	.AMDGPU.csdata,"",@progbits
; Kernel info:
; codeLenInByte = 1588
; TotalNumSgprs: 18
; NumVgprs: 65
; ScratchSize: 0
; MemoryBound: 1
; FloatMode: 240
; IeeeMode: 1
; LDSByteSize: 0 bytes/workgroup (compile time only)
; SGPRBlocks: 0
; VGPRBlocks: 8
; NumSGPRsForWavesPerEU: 18
; NumVGPRsForWavesPerEU: 65
; Occupancy: 12
; WaveLimiterHint : 1
; COMPUTE_PGM_RSRC2:SCRATCH_EN: 0
; COMPUTE_PGM_RSRC2:USER_SGPR: 6
; COMPUTE_PGM_RSRC2:TRAP_HANDLER: 0
; COMPUTE_PGM_RSRC2:TGID_X_EN: 1
; COMPUTE_PGM_RSRC2:TGID_Y_EN: 0
; COMPUTE_PGM_RSRC2:TGID_Z_EN: 0
; COMPUTE_PGM_RSRC2:TIDIG_COMP_CNT: 0
	.section	.text._ZN9rocsparseL19gebsrmvn_2xn_kernelILj128ELj8ELj16EdEEvi20rocsparse_direction_NS_24const_host_device_scalarIT2_EEPKiS6_PKS3_S8_S4_PS3_21rocsparse_index_base_b,"axG",@progbits,_ZN9rocsparseL19gebsrmvn_2xn_kernelILj128ELj8ELj16EdEEvi20rocsparse_direction_NS_24const_host_device_scalarIT2_EEPKiS6_PKS3_S8_S4_PS3_21rocsparse_index_base_b,comdat
	.globl	_ZN9rocsparseL19gebsrmvn_2xn_kernelILj128ELj8ELj16EdEEvi20rocsparse_direction_NS_24const_host_device_scalarIT2_EEPKiS6_PKS3_S8_S4_PS3_21rocsparse_index_base_b ; -- Begin function _ZN9rocsparseL19gebsrmvn_2xn_kernelILj128ELj8ELj16EdEEvi20rocsparse_direction_NS_24const_host_device_scalarIT2_EEPKiS6_PKS3_S8_S4_PS3_21rocsparse_index_base_b
	.p2align	8
	.type	_ZN9rocsparseL19gebsrmvn_2xn_kernelILj128ELj8ELj16EdEEvi20rocsparse_direction_NS_24const_host_device_scalarIT2_EEPKiS6_PKS3_S8_S4_PS3_21rocsparse_index_base_b,@function
_ZN9rocsparseL19gebsrmvn_2xn_kernelILj128ELj8ELj16EdEEvi20rocsparse_direction_NS_24const_host_device_scalarIT2_EEPKiS6_PKS3_S8_S4_PS3_21rocsparse_index_base_b: ; @_ZN9rocsparseL19gebsrmvn_2xn_kernelILj128ELj8ELj16EdEEvi20rocsparse_direction_NS_24const_host_device_scalarIT2_EEPKiS6_PKS3_S8_S4_PS3_21rocsparse_index_base_b
; %bb.0:
	s_clause 0x2
	s_load_dwordx2 s[2:3], s[4:5], 0x40
	s_load_dwordx2 s[8:9], s[4:5], 0x8
	;; [unrolled: 1-line block ×3, first 2 shown]
	s_waitcnt lgkmcnt(0)
	s_bitcmp1_b32 s3, 0
	v_mov_b32_e32 v1, s8
	v_mov_b32_e32 v2, s9
	s_cselect_b32 s3, -1, 0
	s_and_b32 vcc_lo, exec_lo, s3
	s_xor_b32 s3, s3, -1
	s_cbranch_vccnz .LBB108_2
; %bb.1:
	v_mov_b32_e32 v1, s8
	v_mov_b32_e32 v2, s9
	flat_load_dwordx2 v[1:2], v[1:2]
.LBB108_2:
	v_mov_b32_e32 v4, s1
	v_mov_b32_e32 v3, s0
	s_andn2_b32 vcc_lo, exec_lo, s3
	s_cbranch_vccnz .LBB108_4
; %bb.3:
	v_mov_b32_e32 v4, s1
	v_mov_b32_e32 v3, s0
	flat_load_dwordx2 v[3:4], v[3:4]
.LBB108_4:
	s_waitcnt vmcnt(0) lgkmcnt(0)
	v_cmp_neq_f64_e32 vcc_lo, 0, v[1:2]
	v_cmp_neq_f64_e64 s0, 1.0, v[3:4]
	s_or_b32 s0, vcc_lo, s0
	s_and_saveexec_b32 s1, s0
	s_cbranch_execz .LBB108_23
; %bb.5:
	s_load_dwordx2 s[0:1], s[4:5], 0x0
	v_lshrrev_b32_e32 v5, 4, v0
	v_lshl_or_b32 v5, s6, 3, v5
	s_waitcnt lgkmcnt(0)
	v_cmp_gt_i32_e32 vcc_lo, s0, v5
	s_and_b32 exec_lo, exec_lo, vcc_lo
	s_cbranch_execz .LBB108_23
; %bb.6:
	s_load_dwordx8 s[8:15], s[4:5], 0x10
	v_ashrrev_i32_e32 v6, 31, v5
	v_and_b32_e32 v0, 15, v0
	s_cmp_lg_u32 s1, 0
	v_lshlrev_b64 v[6:7], 2, v[5:6]
	s_waitcnt lgkmcnt(0)
	v_add_co_u32 v6, vcc_lo, s8, v6
	v_add_co_ci_u32_e64 v7, null, s9, v7, vcc_lo
	global_load_dwordx2 v[6:7], v[6:7], off
	s_waitcnt vmcnt(0)
	v_subrev_nc_u32_e32 v6, s2, v6
	v_subrev_nc_u32_e32 v16, s2, v7
	v_add_nc_u32_e32 v6, v6, v0
	v_cmp_lt_i32_e64 s0, v6, v16
	s_cbranch_scc0 .LBB108_12
; %bb.7:
	v_mov_b32_e32 v10, 0
	v_mov_b32_e32 v8, 0
	;; [unrolled: 1-line block ×4, first 2 shown]
	s_and_saveexec_b32 s1, s0
	s_cbranch_execz .LBB108_11
; %bb.8:
	v_mov_b32_e32 v10, 0
	v_mov_b32_e32 v8, 0
	v_lshlrev_b32_e32 v12, 4, v6
	v_mov_b32_e32 v11, 0
	v_mov_b32_e32 v13, 0
	;; [unrolled: 1-line block ×4, first 2 shown]
	s_mov_b32 s3, 0
.LBB108_9:                              ; =>This Inner Loop Header: Depth=1
	v_ashrrev_i32_e32 v15, 31, v14
	v_mov_b32_e32 v20, v13
	v_lshlrev_b64 v[17:18], 2, v[14:15]
	v_add_nc_u32_e32 v14, 16, v14
	v_add_co_u32 v17, vcc_lo, s10, v17
	v_add_co_ci_u32_e64 v18, null, s11, v18, vcc_lo
	global_load_dword v7, v[17:18], off
	v_lshlrev_b64 v[17:18], 3, v[12:13]
	v_add_nc_u32_e32 v12, 0x100, v12
	v_add_co_u32 v61, vcc_lo, s12, v17
	v_add_co_ci_u32_e64 v62, null, s13, v18, vcc_lo
	s_waitcnt vmcnt(0)
	v_subrev_nc_u32_e32 v7, s2, v7
	v_lshlrev_b32_e32 v19, 3, v7
	v_lshlrev_b64 v[19:20], 3, v[19:20]
	v_add_co_u32 v53, vcc_lo, s14, v19
	v_add_co_ci_u32_e64 v54, null, s15, v20, vcc_lo
	v_cmp_ge_i32_e32 vcc_lo, v14, v16
	s_clause 0x1
	global_load_dwordx4 v[17:20], v[61:62], off offset:16
	global_load_dwordx4 v[21:24], v[61:62], off
	s_clause 0x1
	global_load_dwordx4 v[25:28], v[53:54], off
	global_load_dwordx4 v[29:32], v[53:54], off offset:16
	s_clause 0x3
	global_load_dwordx4 v[33:36], v[61:62], off offset:32
	global_load_dwordx4 v[37:40], v[61:62], off offset:48
	;; [unrolled: 1-line block ×4, first 2 shown]
	s_clause 0x1
	global_load_dwordx4 v[49:52], v[53:54], off offset:32
	global_load_dwordx4 v[53:56], v[53:54], off offset:48
	s_clause 0x1
	global_load_dwordx4 v[57:60], v[61:62], off offset:96
	global_load_dwordx4 v[61:64], v[61:62], off offset:112
	s_or_b32 s3, vcc_lo, s3
	s_waitcnt vmcnt(9)
	v_fma_f64 v[10:11], v[21:22], v[25:26], v[10:11]
	v_fma_f64 v[7:8], v[23:24], v[25:26], v[8:9]
	;; [unrolled: 1-line block ×4, first 2 shown]
	s_waitcnt vmcnt(7)
	v_fma_f64 v[9:10], v[33:34], v[29:30], v[9:10]
	v_fma_f64 v[7:8], v[35:36], v[29:30], v[7:8]
	s_waitcnt vmcnt(6)
	v_fma_f64 v[9:10], v[37:38], v[31:32], v[9:10]
	v_fma_f64 v[7:8], v[39:40], v[31:32], v[7:8]
	;; [unrolled: 3-line block ×3, first 2 shown]
	v_fma_f64 v[9:10], v[41:42], v[51:52], v[9:10]
	v_fma_f64 v[7:8], v[43:44], v[51:52], v[7:8]
	s_waitcnt vmcnt(1)
	v_fma_f64 v[9:10], v[57:58], v[53:54], v[9:10]
	v_fma_f64 v[7:8], v[59:60], v[53:54], v[7:8]
	s_waitcnt vmcnt(0)
	v_fma_f64 v[10:11], v[61:62], v[55:56], v[9:10]
	v_fma_f64 v[8:9], v[63:64], v[55:56], v[7:8]
	s_andn2_b32 exec_lo, exec_lo, s3
	s_cbranch_execnz .LBB108_9
; %bb.10:
	s_or_b32 exec_lo, exec_lo, s3
.LBB108_11:
	s_or_b32 exec_lo, exec_lo, s1
	s_cbranch_execz .LBB108_13
	s_branch .LBB108_18
.LBB108_12:
                                        ; implicit-def: $vgpr10_vgpr11
                                        ; implicit-def: $vgpr8_vgpr9
.LBB108_13:
	v_mov_b32_e32 v10, 0
	v_mov_b32_e32 v8, 0
	;; [unrolled: 1-line block ×4, first 2 shown]
	s_and_saveexec_b32 s1, s0
	s_cbranch_execz .LBB108_17
; %bb.14:
	v_mov_b32_e32 v10, 0
	v_mov_b32_e32 v8, 0
	v_lshlrev_b32_e32 v12, 4, v6
	v_mov_b32_e32 v11, 0
	v_mov_b32_e32 v9, 0
	;; [unrolled: 1-line block ×3, first 2 shown]
	s_mov_b32 s0, 0
.LBB108_15:                             ; =>This Inner Loop Header: Depth=1
	v_ashrrev_i32_e32 v7, 31, v6
	v_mov_b32_e32 v18, v13
	v_lshlrev_b64 v[14:15], 2, v[6:7]
	v_add_nc_u32_e32 v6, 16, v6
	v_add_co_u32 v14, vcc_lo, s10, v14
	v_add_co_ci_u32_e64 v15, null, s11, v15, vcc_lo
	global_load_dword v7, v[14:15], off
	v_lshlrev_b64 v[14:15], 3, v[12:13]
	v_add_nc_u32_e32 v12, 0x100, v12
	v_add_co_u32 v14, vcc_lo, s12, v14
	v_add_co_ci_u32_e64 v15, null, s13, v15, vcc_lo
	s_waitcnt vmcnt(0)
	v_subrev_nc_u32_e32 v7, s2, v7
	v_lshlrev_b32_e32 v17, 3, v7
	v_lshlrev_b64 v[21:22], 3, v[17:18]
	global_load_dwordx4 v[17:20], v[14:15], off offset:16
	v_add_co_u32 v61, vcc_lo, s14, v21
	v_add_co_ci_u32_e64 v62, null, s15, v22, vcc_lo
	s_clause 0x2
	global_load_dwordx4 v[21:24], v[14:15], off
	global_load_dwordx4 v[25:28], v[14:15], off offset:80
	global_load_dwordx4 v[29:32], v[14:15], off offset:64
	s_clause 0x1
	global_load_dwordx4 v[33:36], v[61:62], off
	global_load_dwordx4 v[37:40], v[61:62], off offset:16
	s_clause 0x3
	global_load_dwordx4 v[41:44], v[14:15], off offset:48
	global_load_dwordx4 v[45:48], v[14:15], off offset:32
	;; [unrolled: 1-line block ×4, first 2 shown]
	s_clause 0x1
	global_load_dwordx4 v[57:60], v[61:62], off offset:32
	global_load_dwordx4 v[61:64], v[61:62], off offset:48
	v_cmp_ge_i32_e32 vcc_lo, v6, v16
	s_or_b32 s0, vcc_lo, s0
	s_waitcnt vmcnt(7)
	v_fma_f64 v[10:11], v[21:22], v[33:34], v[10:11]
	v_fma_f64 v[7:8], v[29:30], v[33:34], v[8:9]
	v_fma_f64 v[9:10], v[23:24], v[35:36], v[10:11]
	v_fma_f64 v[7:8], v[31:32], v[35:36], v[7:8]
	s_waitcnt vmcnt(6)
	v_fma_f64 v[9:10], v[17:18], v[37:38], v[9:10]
	v_fma_f64 v[7:8], v[25:26], v[37:38], v[7:8]
	v_fma_f64 v[9:10], v[19:20], v[39:40], v[9:10]
	v_fma_f64 v[7:8], v[27:28], v[39:40], v[7:8]
	;; [unrolled: 5-line block ×4, first 2 shown]
	s_andn2_b32 exec_lo, exec_lo, s0
	s_cbranch_execnz .LBB108_15
; %bb.16:
	s_or_b32 exec_lo, exec_lo, s0
.LBB108_17:
	s_or_b32 exec_lo, exec_lo, s1
.LBB108_18:
	v_mbcnt_lo_u32_b32 v14, -1, 0
	v_xor_b32_e32 v6, 8, v14
	v_cmp_gt_i32_e32 vcc_lo, 32, v6
	v_cndmask_b32_e32 v6, v14, v6, vcc_lo
	v_lshlrev_b32_e32 v13, 2, v6
	ds_bpermute_b32 v6, v13, v10
	ds_bpermute_b32 v7, v13, v11
	;; [unrolled: 1-line block ×4, first 2 shown]
	s_waitcnt lgkmcnt(2)
	v_add_f64 v[6:7], v[10:11], v[6:7]
	v_xor_b32_e32 v10, 4, v14
	s_waitcnt lgkmcnt(0)
	v_add_f64 v[8:9], v[8:9], v[12:13]
	v_cmp_gt_i32_e32 vcc_lo, 32, v10
	v_cndmask_b32_e32 v10, v14, v10, vcc_lo
	v_lshlrev_b32_e32 v13, 2, v10
	ds_bpermute_b32 v10, v13, v6
	ds_bpermute_b32 v11, v13, v7
	;; [unrolled: 1-line block ×4, first 2 shown]
	s_waitcnt lgkmcnt(2)
	v_add_f64 v[6:7], v[6:7], v[10:11]
	v_xor_b32_e32 v10, 2, v14
	s_waitcnt lgkmcnt(0)
	v_add_f64 v[8:9], v[8:9], v[12:13]
	v_cmp_gt_i32_e32 vcc_lo, 32, v10
	v_cndmask_b32_e32 v10, v14, v10, vcc_lo
	v_lshlrev_b32_e32 v13, 2, v10
	ds_bpermute_b32 v10, v13, v6
	ds_bpermute_b32 v11, v13, v7
	;; [unrolled: 1-line block ×4, first 2 shown]
	s_waitcnt lgkmcnt(2)
	v_add_f64 v[6:7], v[6:7], v[10:11]
	s_waitcnt lgkmcnt(0)
	v_add_f64 v[10:11], v[8:9], v[12:13]
	v_xor_b32_e32 v8, 1, v14
	v_cmp_gt_i32_e32 vcc_lo, 32, v8
	v_cndmask_b32_e32 v8, v14, v8, vcc_lo
	v_cmp_eq_u32_e32 vcc_lo, 15, v0
	v_lshlrev_b32_e32 v13, 2, v8
	ds_bpermute_b32 v8, v13, v6
	ds_bpermute_b32 v9, v13, v7
	;; [unrolled: 1-line block ×4, first 2 shown]
	s_and_b32 exec_lo, exec_lo, vcc_lo
	s_cbranch_execz .LBB108_23
; %bb.19:
	s_waitcnt lgkmcnt(2)
	v_add_f64 v[8:9], v[6:7], v[8:9]
	s_waitcnt lgkmcnt(0)
	v_add_f64 v[6:7], v[10:11], v[12:13]
	s_load_dwordx2 s[0:1], s[4:5], 0x38
	s_mov_b32 s2, exec_lo
	v_cmpx_eq_f64_e32 0, v[3:4]
	s_xor_b32 s2, exec_lo, s2
	s_cbranch_execz .LBB108_21
; %bb.20:
	v_lshlrev_b32_e32 v0, 1, v5
	v_mul_f64 v[3:4], v[1:2], v[8:9]
	v_mul_f64 v[5:6], v[1:2], v[6:7]
                                        ; implicit-def: $vgpr8_vgpr9
	v_ashrrev_i32_e32 v1, 31, v0
	v_lshlrev_b64 v[0:1], 3, v[0:1]
	s_waitcnt lgkmcnt(0)
	v_add_co_u32 v0, vcc_lo, s0, v0
	v_add_co_ci_u32_e64 v1, null, s1, v1, vcc_lo
	global_store_dwordx4 v[0:1], v[3:6], off
                                        ; implicit-def: $vgpr5
                                        ; implicit-def: $vgpr1_vgpr2
                                        ; implicit-def: $vgpr3_vgpr4
                                        ; implicit-def: $vgpr6_vgpr7
.LBB108_21:
	s_andn2_saveexec_b32 s2, s2
	s_cbranch_execz .LBB108_23
; %bb.22:
	v_lshlrev_b32_e32 v10, 1, v5
	v_mul_f64 v[8:9], v[1:2], v[8:9]
	v_mul_f64 v[5:6], v[1:2], v[6:7]
	v_ashrrev_i32_e32 v11, 31, v10
	v_lshlrev_b64 v[10:11], 3, v[10:11]
	s_waitcnt lgkmcnt(0)
	v_add_co_u32 v14, vcc_lo, s0, v10
	v_add_co_ci_u32_e64 v15, null, s1, v11, vcc_lo
	global_load_dwordx4 v[10:13], v[14:15], off
	s_waitcnt vmcnt(0)
	v_fma_f64 v[0:1], v[3:4], v[10:11], v[8:9]
	v_fma_f64 v[2:3], v[3:4], v[12:13], v[5:6]
	global_store_dwordx4 v[14:15], v[0:3], off
.LBB108_23:
	s_endpgm
	.section	.rodata,"a",@progbits
	.p2align	6, 0x0
	.amdhsa_kernel _ZN9rocsparseL19gebsrmvn_2xn_kernelILj128ELj8ELj16EdEEvi20rocsparse_direction_NS_24const_host_device_scalarIT2_EEPKiS6_PKS3_S8_S4_PS3_21rocsparse_index_base_b
		.amdhsa_group_segment_fixed_size 0
		.amdhsa_private_segment_fixed_size 0
		.amdhsa_kernarg_size 72
		.amdhsa_user_sgpr_count 6
		.amdhsa_user_sgpr_private_segment_buffer 1
		.amdhsa_user_sgpr_dispatch_ptr 0
		.amdhsa_user_sgpr_queue_ptr 0
		.amdhsa_user_sgpr_kernarg_segment_ptr 1
		.amdhsa_user_sgpr_dispatch_id 0
		.amdhsa_user_sgpr_flat_scratch_init 0
		.amdhsa_user_sgpr_private_segment_size 0
		.amdhsa_wavefront_size32 1
		.amdhsa_uses_dynamic_stack 0
		.amdhsa_system_sgpr_private_segment_wavefront_offset 0
		.amdhsa_system_sgpr_workgroup_id_x 1
		.amdhsa_system_sgpr_workgroup_id_y 0
		.amdhsa_system_sgpr_workgroup_id_z 0
		.amdhsa_system_sgpr_workgroup_info 0
		.amdhsa_system_vgpr_workitem_id 0
		.amdhsa_next_free_vgpr 65
		.amdhsa_next_free_sgpr 16
		.amdhsa_reserve_vcc 1
		.amdhsa_reserve_flat_scratch 0
		.amdhsa_float_round_mode_32 0
		.amdhsa_float_round_mode_16_64 0
		.amdhsa_float_denorm_mode_32 3
		.amdhsa_float_denorm_mode_16_64 3
		.amdhsa_dx10_clamp 1
		.amdhsa_ieee_mode 1
		.amdhsa_fp16_overflow 0
		.amdhsa_workgroup_processor_mode 1
		.amdhsa_memory_ordered 1
		.amdhsa_forward_progress 1
		.amdhsa_shared_vgpr_count 0
		.amdhsa_exception_fp_ieee_invalid_op 0
		.amdhsa_exception_fp_denorm_src 0
		.amdhsa_exception_fp_ieee_div_zero 0
		.amdhsa_exception_fp_ieee_overflow 0
		.amdhsa_exception_fp_ieee_underflow 0
		.amdhsa_exception_fp_ieee_inexact 0
		.amdhsa_exception_int_div_zero 0
	.end_amdhsa_kernel
	.section	.text._ZN9rocsparseL19gebsrmvn_2xn_kernelILj128ELj8ELj16EdEEvi20rocsparse_direction_NS_24const_host_device_scalarIT2_EEPKiS6_PKS3_S8_S4_PS3_21rocsparse_index_base_b,"axG",@progbits,_ZN9rocsparseL19gebsrmvn_2xn_kernelILj128ELj8ELj16EdEEvi20rocsparse_direction_NS_24const_host_device_scalarIT2_EEPKiS6_PKS3_S8_S4_PS3_21rocsparse_index_base_b,comdat
.Lfunc_end108:
	.size	_ZN9rocsparseL19gebsrmvn_2xn_kernelILj128ELj8ELj16EdEEvi20rocsparse_direction_NS_24const_host_device_scalarIT2_EEPKiS6_PKS3_S8_S4_PS3_21rocsparse_index_base_b, .Lfunc_end108-_ZN9rocsparseL19gebsrmvn_2xn_kernelILj128ELj8ELj16EdEEvi20rocsparse_direction_NS_24const_host_device_scalarIT2_EEPKiS6_PKS3_S8_S4_PS3_21rocsparse_index_base_b
                                        ; -- End function
	.set _ZN9rocsparseL19gebsrmvn_2xn_kernelILj128ELj8ELj16EdEEvi20rocsparse_direction_NS_24const_host_device_scalarIT2_EEPKiS6_PKS3_S8_S4_PS3_21rocsparse_index_base_b.num_vgpr, 65
	.set _ZN9rocsparseL19gebsrmvn_2xn_kernelILj128ELj8ELj16EdEEvi20rocsparse_direction_NS_24const_host_device_scalarIT2_EEPKiS6_PKS3_S8_S4_PS3_21rocsparse_index_base_b.num_agpr, 0
	.set _ZN9rocsparseL19gebsrmvn_2xn_kernelILj128ELj8ELj16EdEEvi20rocsparse_direction_NS_24const_host_device_scalarIT2_EEPKiS6_PKS3_S8_S4_PS3_21rocsparse_index_base_b.numbered_sgpr, 16
	.set _ZN9rocsparseL19gebsrmvn_2xn_kernelILj128ELj8ELj16EdEEvi20rocsparse_direction_NS_24const_host_device_scalarIT2_EEPKiS6_PKS3_S8_S4_PS3_21rocsparse_index_base_b.num_named_barrier, 0
	.set _ZN9rocsparseL19gebsrmvn_2xn_kernelILj128ELj8ELj16EdEEvi20rocsparse_direction_NS_24const_host_device_scalarIT2_EEPKiS6_PKS3_S8_S4_PS3_21rocsparse_index_base_b.private_seg_size, 0
	.set _ZN9rocsparseL19gebsrmvn_2xn_kernelILj128ELj8ELj16EdEEvi20rocsparse_direction_NS_24const_host_device_scalarIT2_EEPKiS6_PKS3_S8_S4_PS3_21rocsparse_index_base_b.uses_vcc, 1
	.set _ZN9rocsparseL19gebsrmvn_2xn_kernelILj128ELj8ELj16EdEEvi20rocsparse_direction_NS_24const_host_device_scalarIT2_EEPKiS6_PKS3_S8_S4_PS3_21rocsparse_index_base_b.uses_flat_scratch, 0
	.set _ZN9rocsparseL19gebsrmvn_2xn_kernelILj128ELj8ELj16EdEEvi20rocsparse_direction_NS_24const_host_device_scalarIT2_EEPKiS6_PKS3_S8_S4_PS3_21rocsparse_index_base_b.has_dyn_sized_stack, 0
	.set _ZN9rocsparseL19gebsrmvn_2xn_kernelILj128ELj8ELj16EdEEvi20rocsparse_direction_NS_24const_host_device_scalarIT2_EEPKiS6_PKS3_S8_S4_PS3_21rocsparse_index_base_b.has_recursion, 0
	.set _ZN9rocsparseL19gebsrmvn_2xn_kernelILj128ELj8ELj16EdEEvi20rocsparse_direction_NS_24const_host_device_scalarIT2_EEPKiS6_PKS3_S8_S4_PS3_21rocsparse_index_base_b.has_indirect_call, 0
	.section	.AMDGPU.csdata,"",@progbits
; Kernel info:
; codeLenInByte = 1660
; TotalNumSgprs: 18
; NumVgprs: 65
; ScratchSize: 0
; MemoryBound: 1
; FloatMode: 240
; IeeeMode: 1
; LDSByteSize: 0 bytes/workgroup (compile time only)
; SGPRBlocks: 0
; VGPRBlocks: 8
; NumSGPRsForWavesPerEU: 18
; NumVGPRsForWavesPerEU: 65
; Occupancy: 12
; WaveLimiterHint : 1
; COMPUTE_PGM_RSRC2:SCRATCH_EN: 0
; COMPUTE_PGM_RSRC2:USER_SGPR: 6
; COMPUTE_PGM_RSRC2:TRAP_HANDLER: 0
; COMPUTE_PGM_RSRC2:TGID_X_EN: 1
; COMPUTE_PGM_RSRC2:TGID_Y_EN: 0
; COMPUTE_PGM_RSRC2:TGID_Z_EN: 0
; COMPUTE_PGM_RSRC2:TIDIG_COMP_CNT: 0
	.section	.text._ZN9rocsparseL19gebsrmvn_2xn_kernelILj128ELj8ELj32EdEEvi20rocsparse_direction_NS_24const_host_device_scalarIT2_EEPKiS6_PKS3_S8_S4_PS3_21rocsparse_index_base_b,"axG",@progbits,_ZN9rocsparseL19gebsrmvn_2xn_kernelILj128ELj8ELj32EdEEvi20rocsparse_direction_NS_24const_host_device_scalarIT2_EEPKiS6_PKS3_S8_S4_PS3_21rocsparse_index_base_b,comdat
	.globl	_ZN9rocsparseL19gebsrmvn_2xn_kernelILj128ELj8ELj32EdEEvi20rocsparse_direction_NS_24const_host_device_scalarIT2_EEPKiS6_PKS3_S8_S4_PS3_21rocsparse_index_base_b ; -- Begin function _ZN9rocsparseL19gebsrmvn_2xn_kernelILj128ELj8ELj32EdEEvi20rocsparse_direction_NS_24const_host_device_scalarIT2_EEPKiS6_PKS3_S8_S4_PS3_21rocsparse_index_base_b
	.p2align	8
	.type	_ZN9rocsparseL19gebsrmvn_2xn_kernelILj128ELj8ELj32EdEEvi20rocsparse_direction_NS_24const_host_device_scalarIT2_EEPKiS6_PKS3_S8_S4_PS3_21rocsparse_index_base_b,@function
_ZN9rocsparseL19gebsrmvn_2xn_kernelILj128ELj8ELj32EdEEvi20rocsparse_direction_NS_24const_host_device_scalarIT2_EEPKiS6_PKS3_S8_S4_PS3_21rocsparse_index_base_b: ; @_ZN9rocsparseL19gebsrmvn_2xn_kernelILj128ELj8ELj32EdEEvi20rocsparse_direction_NS_24const_host_device_scalarIT2_EEPKiS6_PKS3_S8_S4_PS3_21rocsparse_index_base_b
; %bb.0:
	s_clause 0x2
	s_load_dwordx2 s[2:3], s[4:5], 0x40
	s_load_dwordx2 s[8:9], s[4:5], 0x8
	;; [unrolled: 1-line block ×3, first 2 shown]
	s_waitcnt lgkmcnt(0)
	s_bitcmp1_b32 s3, 0
	v_mov_b32_e32 v1, s8
	v_mov_b32_e32 v2, s9
	s_cselect_b32 s3, -1, 0
	s_and_b32 vcc_lo, exec_lo, s3
	s_xor_b32 s3, s3, -1
	s_cbranch_vccnz .LBB109_2
; %bb.1:
	v_mov_b32_e32 v1, s8
	v_mov_b32_e32 v2, s9
	flat_load_dwordx2 v[1:2], v[1:2]
.LBB109_2:
	v_mov_b32_e32 v4, s1
	v_mov_b32_e32 v3, s0
	s_andn2_b32 vcc_lo, exec_lo, s3
	s_cbranch_vccnz .LBB109_4
; %bb.3:
	v_mov_b32_e32 v4, s1
	v_mov_b32_e32 v3, s0
	flat_load_dwordx2 v[3:4], v[3:4]
.LBB109_4:
	s_waitcnt vmcnt(0) lgkmcnt(0)
	v_cmp_neq_f64_e32 vcc_lo, 0, v[1:2]
	v_cmp_neq_f64_e64 s0, 1.0, v[3:4]
	s_or_b32 s0, vcc_lo, s0
	s_and_saveexec_b32 s1, s0
	s_cbranch_execz .LBB109_23
; %bb.5:
	s_load_dwordx2 s[0:1], s[4:5], 0x0
	v_lshrrev_b32_e32 v5, 5, v0
	v_lshl_or_b32 v5, s6, 2, v5
	s_waitcnt lgkmcnt(0)
	v_cmp_gt_i32_e32 vcc_lo, s0, v5
	s_and_b32 exec_lo, exec_lo, vcc_lo
	s_cbranch_execz .LBB109_23
; %bb.6:
	s_load_dwordx8 s[8:15], s[4:5], 0x10
	v_ashrrev_i32_e32 v6, 31, v5
	v_and_b32_e32 v0, 31, v0
	s_cmp_lg_u32 s1, 0
	v_lshlrev_b64 v[6:7], 2, v[5:6]
	s_waitcnt lgkmcnt(0)
	v_add_co_u32 v6, vcc_lo, s8, v6
	v_add_co_ci_u32_e64 v7, null, s9, v7, vcc_lo
	global_load_dwordx2 v[6:7], v[6:7], off
	s_waitcnt vmcnt(0)
	v_subrev_nc_u32_e32 v6, s2, v6
	v_subrev_nc_u32_e32 v16, s2, v7
	v_add_nc_u32_e32 v6, v6, v0
	v_cmp_lt_i32_e64 s0, v6, v16
	s_cbranch_scc0 .LBB109_12
; %bb.7:
	v_mov_b32_e32 v10, 0
	v_mov_b32_e32 v8, 0
	;; [unrolled: 1-line block ×4, first 2 shown]
	s_and_saveexec_b32 s1, s0
	s_cbranch_execz .LBB109_11
; %bb.8:
	v_mov_b32_e32 v10, 0
	v_mov_b32_e32 v8, 0
	v_lshlrev_b32_e32 v12, 4, v6
	v_mov_b32_e32 v11, 0
	v_mov_b32_e32 v13, 0
	;; [unrolled: 1-line block ×4, first 2 shown]
	s_mov_b32 s3, 0
.LBB109_9:                              ; =>This Inner Loop Header: Depth=1
	v_ashrrev_i32_e32 v15, 31, v14
	v_mov_b32_e32 v20, v13
	v_lshlrev_b64 v[17:18], 2, v[14:15]
	v_add_nc_u32_e32 v14, 32, v14
	v_add_co_u32 v17, vcc_lo, s10, v17
	v_add_co_ci_u32_e64 v18, null, s11, v18, vcc_lo
	global_load_dword v7, v[17:18], off
	v_lshlrev_b64 v[17:18], 3, v[12:13]
	v_add_nc_u32_e32 v12, 0x200, v12
	v_add_co_u32 v61, vcc_lo, s12, v17
	v_add_co_ci_u32_e64 v62, null, s13, v18, vcc_lo
	s_waitcnt vmcnt(0)
	v_subrev_nc_u32_e32 v7, s2, v7
	v_lshlrev_b32_e32 v19, 3, v7
	v_lshlrev_b64 v[19:20], 3, v[19:20]
	v_add_co_u32 v53, vcc_lo, s14, v19
	v_add_co_ci_u32_e64 v54, null, s15, v20, vcc_lo
	v_cmp_ge_i32_e32 vcc_lo, v14, v16
	s_clause 0x1
	global_load_dwordx4 v[17:20], v[61:62], off offset:16
	global_load_dwordx4 v[21:24], v[61:62], off
	s_clause 0x1
	global_load_dwordx4 v[25:28], v[53:54], off
	global_load_dwordx4 v[29:32], v[53:54], off offset:16
	s_clause 0x3
	global_load_dwordx4 v[33:36], v[61:62], off offset:32
	global_load_dwordx4 v[37:40], v[61:62], off offset:48
	;; [unrolled: 1-line block ×4, first 2 shown]
	s_clause 0x1
	global_load_dwordx4 v[49:52], v[53:54], off offset:32
	global_load_dwordx4 v[53:56], v[53:54], off offset:48
	s_clause 0x1
	global_load_dwordx4 v[57:60], v[61:62], off offset:96
	global_load_dwordx4 v[61:64], v[61:62], off offset:112
	s_or_b32 s3, vcc_lo, s3
	s_waitcnt vmcnt(9)
	v_fma_f64 v[10:11], v[21:22], v[25:26], v[10:11]
	v_fma_f64 v[7:8], v[23:24], v[25:26], v[8:9]
	;; [unrolled: 1-line block ×4, first 2 shown]
	s_waitcnt vmcnt(7)
	v_fma_f64 v[9:10], v[33:34], v[29:30], v[9:10]
	v_fma_f64 v[7:8], v[35:36], v[29:30], v[7:8]
	s_waitcnt vmcnt(6)
	v_fma_f64 v[9:10], v[37:38], v[31:32], v[9:10]
	v_fma_f64 v[7:8], v[39:40], v[31:32], v[7:8]
	;; [unrolled: 3-line block ×3, first 2 shown]
	v_fma_f64 v[9:10], v[41:42], v[51:52], v[9:10]
	v_fma_f64 v[7:8], v[43:44], v[51:52], v[7:8]
	s_waitcnt vmcnt(1)
	v_fma_f64 v[9:10], v[57:58], v[53:54], v[9:10]
	v_fma_f64 v[7:8], v[59:60], v[53:54], v[7:8]
	s_waitcnt vmcnt(0)
	v_fma_f64 v[10:11], v[61:62], v[55:56], v[9:10]
	v_fma_f64 v[8:9], v[63:64], v[55:56], v[7:8]
	s_andn2_b32 exec_lo, exec_lo, s3
	s_cbranch_execnz .LBB109_9
; %bb.10:
	s_or_b32 exec_lo, exec_lo, s3
.LBB109_11:
	s_or_b32 exec_lo, exec_lo, s1
	s_cbranch_execz .LBB109_13
	s_branch .LBB109_18
.LBB109_12:
                                        ; implicit-def: $vgpr10_vgpr11
                                        ; implicit-def: $vgpr8_vgpr9
.LBB109_13:
	v_mov_b32_e32 v10, 0
	v_mov_b32_e32 v8, 0
	;; [unrolled: 1-line block ×4, first 2 shown]
	s_and_saveexec_b32 s1, s0
	s_cbranch_execz .LBB109_17
; %bb.14:
	v_mov_b32_e32 v10, 0
	v_mov_b32_e32 v8, 0
	v_lshlrev_b32_e32 v12, 4, v6
	v_mov_b32_e32 v11, 0
	v_mov_b32_e32 v9, 0
	v_mov_b32_e32 v13, 0
	s_mov_b32 s0, 0
.LBB109_15:                             ; =>This Inner Loop Header: Depth=1
	v_ashrrev_i32_e32 v7, 31, v6
	v_mov_b32_e32 v18, v13
	v_lshlrev_b64 v[14:15], 2, v[6:7]
	v_add_nc_u32_e32 v6, 32, v6
	v_add_co_u32 v14, vcc_lo, s10, v14
	v_add_co_ci_u32_e64 v15, null, s11, v15, vcc_lo
	global_load_dword v7, v[14:15], off
	v_lshlrev_b64 v[14:15], 3, v[12:13]
	v_add_nc_u32_e32 v12, 0x200, v12
	v_add_co_u32 v14, vcc_lo, s12, v14
	v_add_co_ci_u32_e64 v15, null, s13, v15, vcc_lo
	s_waitcnt vmcnt(0)
	v_subrev_nc_u32_e32 v7, s2, v7
	v_lshlrev_b32_e32 v17, 3, v7
	v_lshlrev_b64 v[21:22], 3, v[17:18]
	global_load_dwordx4 v[17:20], v[14:15], off offset:16
	v_add_co_u32 v61, vcc_lo, s14, v21
	v_add_co_ci_u32_e64 v62, null, s15, v22, vcc_lo
	s_clause 0x2
	global_load_dwordx4 v[21:24], v[14:15], off
	global_load_dwordx4 v[25:28], v[14:15], off offset:80
	global_load_dwordx4 v[29:32], v[14:15], off offset:64
	s_clause 0x1
	global_load_dwordx4 v[33:36], v[61:62], off
	global_load_dwordx4 v[37:40], v[61:62], off offset:16
	s_clause 0x3
	global_load_dwordx4 v[41:44], v[14:15], off offset:48
	global_load_dwordx4 v[45:48], v[14:15], off offset:32
	;; [unrolled: 1-line block ×4, first 2 shown]
	s_clause 0x1
	global_load_dwordx4 v[57:60], v[61:62], off offset:32
	global_load_dwordx4 v[61:64], v[61:62], off offset:48
	v_cmp_ge_i32_e32 vcc_lo, v6, v16
	s_or_b32 s0, vcc_lo, s0
	s_waitcnt vmcnt(7)
	v_fma_f64 v[10:11], v[21:22], v[33:34], v[10:11]
	v_fma_f64 v[7:8], v[29:30], v[33:34], v[8:9]
	v_fma_f64 v[9:10], v[23:24], v[35:36], v[10:11]
	v_fma_f64 v[7:8], v[31:32], v[35:36], v[7:8]
	s_waitcnt vmcnt(6)
	v_fma_f64 v[9:10], v[17:18], v[37:38], v[9:10]
	v_fma_f64 v[7:8], v[25:26], v[37:38], v[7:8]
	v_fma_f64 v[9:10], v[19:20], v[39:40], v[9:10]
	v_fma_f64 v[7:8], v[27:28], v[39:40], v[7:8]
	;; [unrolled: 5-line block ×4, first 2 shown]
	s_andn2_b32 exec_lo, exec_lo, s0
	s_cbranch_execnz .LBB109_15
; %bb.16:
	s_or_b32 exec_lo, exec_lo, s0
.LBB109_17:
	s_or_b32 exec_lo, exec_lo, s1
.LBB109_18:
	v_mbcnt_lo_u32_b32 v14, -1, 0
	v_xor_b32_e32 v6, 16, v14
	v_cmp_gt_i32_e32 vcc_lo, 32, v6
	v_cndmask_b32_e32 v6, v14, v6, vcc_lo
	v_lshlrev_b32_e32 v13, 2, v6
	ds_bpermute_b32 v6, v13, v10
	ds_bpermute_b32 v7, v13, v11
	ds_bpermute_b32 v12, v13, v8
	ds_bpermute_b32 v13, v13, v9
	s_waitcnt lgkmcnt(2)
	v_add_f64 v[6:7], v[10:11], v[6:7]
	v_xor_b32_e32 v10, 8, v14
	s_waitcnt lgkmcnt(0)
	v_add_f64 v[8:9], v[8:9], v[12:13]
	v_cmp_gt_i32_e32 vcc_lo, 32, v10
	v_cndmask_b32_e32 v10, v14, v10, vcc_lo
	v_lshlrev_b32_e32 v13, 2, v10
	ds_bpermute_b32 v10, v13, v6
	ds_bpermute_b32 v11, v13, v7
	ds_bpermute_b32 v12, v13, v8
	ds_bpermute_b32 v13, v13, v9
	s_waitcnt lgkmcnt(2)
	v_add_f64 v[6:7], v[6:7], v[10:11]
	v_xor_b32_e32 v10, 4, v14
	s_waitcnt lgkmcnt(0)
	v_add_f64 v[8:9], v[8:9], v[12:13]
	v_cmp_gt_i32_e32 vcc_lo, 32, v10
	v_cndmask_b32_e32 v10, v14, v10, vcc_lo
	v_lshlrev_b32_e32 v13, 2, v10
	ds_bpermute_b32 v10, v13, v6
	ds_bpermute_b32 v11, v13, v7
	ds_bpermute_b32 v12, v13, v8
	ds_bpermute_b32 v13, v13, v9
	s_waitcnt lgkmcnt(2)
	v_add_f64 v[6:7], v[6:7], v[10:11]
	v_xor_b32_e32 v10, 2, v14
	s_waitcnt lgkmcnt(0)
	v_add_f64 v[8:9], v[8:9], v[12:13]
	v_cmp_gt_i32_e32 vcc_lo, 32, v10
	v_cndmask_b32_e32 v10, v14, v10, vcc_lo
	v_lshlrev_b32_e32 v13, 2, v10
	ds_bpermute_b32 v10, v13, v6
	ds_bpermute_b32 v11, v13, v7
	;; [unrolled: 1-line block ×4, first 2 shown]
	s_waitcnt lgkmcnt(2)
	v_add_f64 v[6:7], v[6:7], v[10:11]
	s_waitcnt lgkmcnt(0)
	v_add_f64 v[10:11], v[8:9], v[12:13]
	v_xor_b32_e32 v8, 1, v14
	v_cmp_gt_i32_e32 vcc_lo, 32, v8
	v_cndmask_b32_e32 v8, v14, v8, vcc_lo
	v_cmp_eq_u32_e32 vcc_lo, 31, v0
	v_lshlrev_b32_e32 v13, 2, v8
	ds_bpermute_b32 v8, v13, v6
	ds_bpermute_b32 v9, v13, v7
	;; [unrolled: 1-line block ×4, first 2 shown]
	s_and_b32 exec_lo, exec_lo, vcc_lo
	s_cbranch_execz .LBB109_23
; %bb.19:
	s_waitcnt lgkmcnt(2)
	v_add_f64 v[8:9], v[6:7], v[8:9]
	s_waitcnt lgkmcnt(0)
	v_add_f64 v[6:7], v[10:11], v[12:13]
	s_load_dwordx2 s[0:1], s[4:5], 0x38
	s_mov_b32 s2, exec_lo
	v_cmpx_eq_f64_e32 0, v[3:4]
	s_xor_b32 s2, exec_lo, s2
	s_cbranch_execz .LBB109_21
; %bb.20:
	v_lshlrev_b32_e32 v0, 1, v5
	v_mul_f64 v[3:4], v[1:2], v[8:9]
	v_mul_f64 v[5:6], v[1:2], v[6:7]
                                        ; implicit-def: $vgpr8_vgpr9
	v_ashrrev_i32_e32 v1, 31, v0
	v_lshlrev_b64 v[0:1], 3, v[0:1]
	s_waitcnt lgkmcnt(0)
	v_add_co_u32 v0, vcc_lo, s0, v0
	v_add_co_ci_u32_e64 v1, null, s1, v1, vcc_lo
	global_store_dwordx4 v[0:1], v[3:6], off
                                        ; implicit-def: $vgpr5
                                        ; implicit-def: $vgpr1_vgpr2
                                        ; implicit-def: $vgpr3_vgpr4
                                        ; implicit-def: $vgpr6_vgpr7
.LBB109_21:
	s_andn2_saveexec_b32 s2, s2
	s_cbranch_execz .LBB109_23
; %bb.22:
	v_lshlrev_b32_e32 v10, 1, v5
	v_mul_f64 v[8:9], v[1:2], v[8:9]
	v_mul_f64 v[5:6], v[1:2], v[6:7]
	v_ashrrev_i32_e32 v11, 31, v10
	v_lshlrev_b64 v[10:11], 3, v[10:11]
	s_waitcnt lgkmcnt(0)
	v_add_co_u32 v14, vcc_lo, s0, v10
	v_add_co_ci_u32_e64 v15, null, s1, v11, vcc_lo
	global_load_dwordx4 v[10:13], v[14:15], off
	s_waitcnt vmcnt(0)
	v_fma_f64 v[0:1], v[3:4], v[10:11], v[8:9]
	v_fma_f64 v[2:3], v[3:4], v[12:13], v[5:6]
	global_store_dwordx4 v[14:15], v[0:3], off
.LBB109_23:
	s_endpgm
	.section	.rodata,"a",@progbits
	.p2align	6, 0x0
	.amdhsa_kernel _ZN9rocsparseL19gebsrmvn_2xn_kernelILj128ELj8ELj32EdEEvi20rocsparse_direction_NS_24const_host_device_scalarIT2_EEPKiS6_PKS3_S8_S4_PS3_21rocsparse_index_base_b
		.amdhsa_group_segment_fixed_size 0
		.amdhsa_private_segment_fixed_size 0
		.amdhsa_kernarg_size 72
		.amdhsa_user_sgpr_count 6
		.amdhsa_user_sgpr_private_segment_buffer 1
		.amdhsa_user_sgpr_dispatch_ptr 0
		.amdhsa_user_sgpr_queue_ptr 0
		.amdhsa_user_sgpr_kernarg_segment_ptr 1
		.amdhsa_user_sgpr_dispatch_id 0
		.amdhsa_user_sgpr_flat_scratch_init 0
		.amdhsa_user_sgpr_private_segment_size 0
		.amdhsa_wavefront_size32 1
		.amdhsa_uses_dynamic_stack 0
		.amdhsa_system_sgpr_private_segment_wavefront_offset 0
		.amdhsa_system_sgpr_workgroup_id_x 1
		.amdhsa_system_sgpr_workgroup_id_y 0
		.amdhsa_system_sgpr_workgroup_id_z 0
		.amdhsa_system_sgpr_workgroup_info 0
		.amdhsa_system_vgpr_workitem_id 0
		.amdhsa_next_free_vgpr 65
		.amdhsa_next_free_sgpr 16
		.amdhsa_reserve_vcc 1
		.amdhsa_reserve_flat_scratch 0
		.amdhsa_float_round_mode_32 0
		.amdhsa_float_round_mode_16_64 0
		.amdhsa_float_denorm_mode_32 3
		.amdhsa_float_denorm_mode_16_64 3
		.amdhsa_dx10_clamp 1
		.amdhsa_ieee_mode 1
		.amdhsa_fp16_overflow 0
		.amdhsa_workgroup_processor_mode 1
		.amdhsa_memory_ordered 1
		.amdhsa_forward_progress 1
		.amdhsa_shared_vgpr_count 0
		.amdhsa_exception_fp_ieee_invalid_op 0
		.amdhsa_exception_fp_denorm_src 0
		.amdhsa_exception_fp_ieee_div_zero 0
		.amdhsa_exception_fp_ieee_overflow 0
		.amdhsa_exception_fp_ieee_underflow 0
		.amdhsa_exception_fp_ieee_inexact 0
		.amdhsa_exception_int_div_zero 0
	.end_amdhsa_kernel
	.section	.text._ZN9rocsparseL19gebsrmvn_2xn_kernelILj128ELj8ELj32EdEEvi20rocsparse_direction_NS_24const_host_device_scalarIT2_EEPKiS6_PKS3_S8_S4_PS3_21rocsparse_index_base_b,"axG",@progbits,_ZN9rocsparseL19gebsrmvn_2xn_kernelILj128ELj8ELj32EdEEvi20rocsparse_direction_NS_24const_host_device_scalarIT2_EEPKiS6_PKS3_S8_S4_PS3_21rocsparse_index_base_b,comdat
.Lfunc_end109:
	.size	_ZN9rocsparseL19gebsrmvn_2xn_kernelILj128ELj8ELj32EdEEvi20rocsparse_direction_NS_24const_host_device_scalarIT2_EEPKiS6_PKS3_S8_S4_PS3_21rocsparse_index_base_b, .Lfunc_end109-_ZN9rocsparseL19gebsrmvn_2xn_kernelILj128ELj8ELj32EdEEvi20rocsparse_direction_NS_24const_host_device_scalarIT2_EEPKiS6_PKS3_S8_S4_PS3_21rocsparse_index_base_b
                                        ; -- End function
	.set _ZN9rocsparseL19gebsrmvn_2xn_kernelILj128ELj8ELj32EdEEvi20rocsparse_direction_NS_24const_host_device_scalarIT2_EEPKiS6_PKS3_S8_S4_PS3_21rocsparse_index_base_b.num_vgpr, 65
	.set _ZN9rocsparseL19gebsrmvn_2xn_kernelILj128ELj8ELj32EdEEvi20rocsparse_direction_NS_24const_host_device_scalarIT2_EEPKiS6_PKS3_S8_S4_PS3_21rocsparse_index_base_b.num_agpr, 0
	.set _ZN9rocsparseL19gebsrmvn_2xn_kernelILj128ELj8ELj32EdEEvi20rocsparse_direction_NS_24const_host_device_scalarIT2_EEPKiS6_PKS3_S8_S4_PS3_21rocsparse_index_base_b.numbered_sgpr, 16
	.set _ZN9rocsparseL19gebsrmvn_2xn_kernelILj128ELj8ELj32EdEEvi20rocsparse_direction_NS_24const_host_device_scalarIT2_EEPKiS6_PKS3_S8_S4_PS3_21rocsparse_index_base_b.num_named_barrier, 0
	.set _ZN9rocsparseL19gebsrmvn_2xn_kernelILj128ELj8ELj32EdEEvi20rocsparse_direction_NS_24const_host_device_scalarIT2_EEPKiS6_PKS3_S8_S4_PS3_21rocsparse_index_base_b.private_seg_size, 0
	.set _ZN9rocsparseL19gebsrmvn_2xn_kernelILj128ELj8ELj32EdEEvi20rocsparse_direction_NS_24const_host_device_scalarIT2_EEPKiS6_PKS3_S8_S4_PS3_21rocsparse_index_base_b.uses_vcc, 1
	.set _ZN9rocsparseL19gebsrmvn_2xn_kernelILj128ELj8ELj32EdEEvi20rocsparse_direction_NS_24const_host_device_scalarIT2_EEPKiS6_PKS3_S8_S4_PS3_21rocsparse_index_base_b.uses_flat_scratch, 0
	.set _ZN9rocsparseL19gebsrmvn_2xn_kernelILj128ELj8ELj32EdEEvi20rocsparse_direction_NS_24const_host_device_scalarIT2_EEPKiS6_PKS3_S8_S4_PS3_21rocsparse_index_base_b.has_dyn_sized_stack, 0
	.set _ZN9rocsparseL19gebsrmvn_2xn_kernelILj128ELj8ELj32EdEEvi20rocsparse_direction_NS_24const_host_device_scalarIT2_EEPKiS6_PKS3_S8_S4_PS3_21rocsparse_index_base_b.has_recursion, 0
	.set _ZN9rocsparseL19gebsrmvn_2xn_kernelILj128ELj8ELj32EdEEvi20rocsparse_direction_NS_24const_host_device_scalarIT2_EEPKiS6_PKS3_S8_S4_PS3_21rocsparse_index_base_b.has_indirect_call, 0
	.section	.AMDGPU.csdata,"",@progbits
; Kernel info:
; codeLenInByte = 1732
; TotalNumSgprs: 18
; NumVgprs: 65
; ScratchSize: 0
; MemoryBound: 1
; FloatMode: 240
; IeeeMode: 1
; LDSByteSize: 0 bytes/workgroup (compile time only)
; SGPRBlocks: 0
; VGPRBlocks: 8
; NumSGPRsForWavesPerEU: 18
; NumVGPRsForWavesPerEU: 65
; Occupancy: 12
; WaveLimiterHint : 1
; COMPUTE_PGM_RSRC2:SCRATCH_EN: 0
; COMPUTE_PGM_RSRC2:USER_SGPR: 6
; COMPUTE_PGM_RSRC2:TRAP_HANDLER: 0
; COMPUTE_PGM_RSRC2:TGID_X_EN: 1
; COMPUTE_PGM_RSRC2:TGID_Y_EN: 0
; COMPUTE_PGM_RSRC2:TGID_Z_EN: 0
; COMPUTE_PGM_RSRC2:TIDIG_COMP_CNT: 0
	.section	.text._ZN9rocsparseL19gebsrmvn_2xn_kernelILj128ELj8ELj64EdEEvi20rocsparse_direction_NS_24const_host_device_scalarIT2_EEPKiS6_PKS3_S8_S4_PS3_21rocsparse_index_base_b,"axG",@progbits,_ZN9rocsparseL19gebsrmvn_2xn_kernelILj128ELj8ELj64EdEEvi20rocsparse_direction_NS_24const_host_device_scalarIT2_EEPKiS6_PKS3_S8_S4_PS3_21rocsparse_index_base_b,comdat
	.globl	_ZN9rocsparseL19gebsrmvn_2xn_kernelILj128ELj8ELj64EdEEvi20rocsparse_direction_NS_24const_host_device_scalarIT2_EEPKiS6_PKS3_S8_S4_PS3_21rocsparse_index_base_b ; -- Begin function _ZN9rocsparseL19gebsrmvn_2xn_kernelILj128ELj8ELj64EdEEvi20rocsparse_direction_NS_24const_host_device_scalarIT2_EEPKiS6_PKS3_S8_S4_PS3_21rocsparse_index_base_b
	.p2align	8
	.type	_ZN9rocsparseL19gebsrmvn_2xn_kernelILj128ELj8ELj64EdEEvi20rocsparse_direction_NS_24const_host_device_scalarIT2_EEPKiS6_PKS3_S8_S4_PS3_21rocsparse_index_base_b,@function
_ZN9rocsparseL19gebsrmvn_2xn_kernelILj128ELj8ELj64EdEEvi20rocsparse_direction_NS_24const_host_device_scalarIT2_EEPKiS6_PKS3_S8_S4_PS3_21rocsparse_index_base_b: ; @_ZN9rocsparseL19gebsrmvn_2xn_kernelILj128ELj8ELj64EdEEvi20rocsparse_direction_NS_24const_host_device_scalarIT2_EEPKiS6_PKS3_S8_S4_PS3_21rocsparse_index_base_b
; %bb.0:
	s_clause 0x2
	s_load_dwordx2 s[2:3], s[4:5], 0x40
	s_load_dwordx2 s[8:9], s[4:5], 0x8
	;; [unrolled: 1-line block ×3, first 2 shown]
	s_waitcnt lgkmcnt(0)
	s_bitcmp1_b32 s3, 0
	v_mov_b32_e32 v1, s8
	v_mov_b32_e32 v2, s9
	s_cselect_b32 s3, -1, 0
	s_and_b32 vcc_lo, exec_lo, s3
	s_xor_b32 s3, s3, -1
	s_cbranch_vccnz .LBB110_2
; %bb.1:
	v_mov_b32_e32 v1, s8
	v_mov_b32_e32 v2, s9
	flat_load_dwordx2 v[1:2], v[1:2]
.LBB110_2:
	v_mov_b32_e32 v4, s1
	v_mov_b32_e32 v3, s0
	s_andn2_b32 vcc_lo, exec_lo, s3
	s_cbranch_vccnz .LBB110_4
; %bb.3:
	v_mov_b32_e32 v4, s1
	v_mov_b32_e32 v3, s0
	flat_load_dwordx2 v[3:4], v[3:4]
.LBB110_4:
	s_waitcnt vmcnt(0) lgkmcnt(0)
	v_cmp_neq_f64_e32 vcc_lo, 0, v[1:2]
	v_cmp_neq_f64_e64 s0, 1.0, v[3:4]
	s_or_b32 s0, vcc_lo, s0
	s_and_saveexec_b32 s1, s0
	s_cbranch_execz .LBB110_23
; %bb.5:
	s_load_dwordx2 s[0:1], s[4:5], 0x0
	v_lshrrev_b32_e32 v5, 6, v0
	v_lshl_or_b32 v5, s6, 1, v5
	s_waitcnt lgkmcnt(0)
	v_cmp_gt_i32_e32 vcc_lo, s0, v5
	s_and_b32 exec_lo, exec_lo, vcc_lo
	s_cbranch_execz .LBB110_23
; %bb.6:
	s_load_dwordx8 s[8:15], s[4:5], 0x10
	v_ashrrev_i32_e32 v6, 31, v5
	v_and_b32_e32 v0, 63, v0
	s_cmp_lg_u32 s1, 0
	v_lshlrev_b64 v[6:7], 2, v[5:6]
	s_waitcnt lgkmcnt(0)
	v_add_co_u32 v6, vcc_lo, s8, v6
	v_add_co_ci_u32_e64 v7, null, s9, v7, vcc_lo
	global_load_dwordx2 v[6:7], v[6:7], off
	s_waitcnt vmcnt(0)
	v_subrev_nc_u32_e32 v6, s2, v6
	v_subrev_nc_u32_e32 v16, s2, v7
	v_add_nc_u32_e32 v6, v6, v0
	v_cmp_lt_i32_e64 s0, v6, v16
	s_cbranch_scc0 .LBB110_12
; %bb.7:
	v_mov_b32_e32 v10, 0
	v_mov_b32_e32 v8, 0
	v_mov_b32_e32 v11, 0
	v_mov_b32_e32 v9, 0
	s_and_saveexec_b32 s1, s0
	s_cbranch_execz .LBB110_11
; %bb.8:
	v_mov_b32_e32 v10, 0
	v_mov_b32_e32 v8, 0
	v_lshlrev_b32_e32 v12, 4, v6
	v_mov_b32_e32 v11, 0
	v_mov_b32_e32 v13, 0
	;; [unrolled: 1-line block ×4, first 2 shown]
	s_mov_b32 s3, 0
.LBB110_9:                              ; =>This Inner Loop Header: Depth=1
	v_ashrrev_i32_e32 v15, 31, v14
	v_mov_b32_e32 v20, v13
	v_lshlrev_b64 v[17:18], 2, v[14:15]
	v_add_nc_u32_e32 v14, 64, v14
	v_add_co_u32 v17, vcc_lo, s10, v17
	v_add_co_ci_u32_e64 v18, null, s11, v18, vcc_lo
	global_load_dword v7, v[17:18], off
	v_lshlrev_b64 v[17:18], 3, v[12:13]
	v_add_nc_u32_e32 v12, 0x400, v12
	v_add_co_u32 v61, vcc_lo, s12, v17
	v_add_co_ci_u32_e64 v62, null, s13, v18, vcc_lo
	s_waitcnt vmcnt(0)
	v_subrev_nc_u32_e32 v7, s2, v7
	v_lshlrev_b32_e32 v19, 3, v7
	v_lshlrev_b64 v[19:20], 3, v[19:20]
	v_add_co_u32 v53, vcc_lo, s14, v19
	v_add_co_ci_u32_e64 v54, null, s15, v20, vcc_lo
	v_cmp_ge_i32_e32 vcc_lo, v14, v16
	s_clause 0x1
	global_load_dwordx4 v[17:20], v[61:62], off offset:16
	global_load_dwordx4 v[21:24], v[61:62], off
	s_clause 0x1
	global_load_dwordx4 v[25:28], v[53:54], off
	global_load_dwordx4 v[29:32], v[53:54], off offset:16
	s_clause 0x3
	global_load_dwordx4 v[33:36], v[61:62], off offset:32
	global_load_dwordx4 v[37:40], v[61:62], off offset:48
	;; [unrolled: 1-line block ×4, first 2 shown]
	s_clause 0x1
	global_load_dwordx4 v[49:52], v[53:54], off offset:32
	global_load_dwordx4 v[53:56], v[53:54], off offset:48
	s_clause 0x1
	global_load_dwordx4 v[57:60], v[61:62], off offset:96
	global_load_dwordx4 v[61:64], v[61:62], off offset:112
	s_or_b32 s3, vcc_lo, s3
	s_waitcnt vmcnt(9)
	v_fma_f64 v[10:11], v[21:22], v[25:26], v[10:11]
	v_fma_f64 v[7:8], v[23:24], v[25:26], v[8:9]
	v_fma_f64 v[9:10], v[17:18], v[27:28], v[10:11]
	v_fma_f64 v[7:8], v[19:20], v[27:28], v[7:8]
	s_waitcnt vmcnt(7)
	v_fma_f64 v[9:10], v[33:34], v[29:30], v[9:10]
	v_fma_f64 v[7:8], v[35:36], v[29:30], v[7:8]
	s_waitcnt vmcnt(6)
	v_fma_f64 v[9:10], v[37:38], v[31:32], v[9:10]
	v_fma_f64 v[7:8], v[39:40], v[31:32], v[7:8]
	;; [unrolled: 3-line block ×3, first 2 shown]
	v_fma_f64 v[9:10], v[41:42], v[51:52], v[9:10]
	v_fma_f64 v[7:8], v[43:44], v[51:52], v[7:8]
	s_waitcnt vmcnt(1)
	v_fma_f64 v[9:10], v[57:58], v[53:54], v[9:10]
	v_fma_f64 v[7:8], v[59:60], v[53:54], v[7:8]
	s_waitcnt vmcnt(0)
	v_fma_f64 v[10:11], v[61:62], v[55:56], v[9:10]
	v_fma_f64 v[8:9], v[63:64], v[55:56], v[7:8]
	s_andn2_b32 exec_lo, exec_lo, s3
	s_cbranch_execnz .LBB110_9
; %bb.10:
	s_or_b32 exec_lo, exec_lo, s3
.LBB110_11:
	s_or_b32 exec_lo, exec_lo, s1
	s_cbranch_execz .LBB110_13
	s_branch .LBB110_18
.LBB110_12:
                                        ; implicit-def: $vgpr10_vgpr11
                                        ; implicit-def: $vgpr8_vgpr9
.LBB110_13:
	v_mov_b32_e32 v10, 0
	v_mov_b32_e32 v8, 0
	;; [unrolled: 1-line block ×4, first 2 shown]
	s_and_saveexec_b32 s1, s0
	s_cbranch_execz .LBB110_17
; %bb.14:
	v_mov_b32_e32 v10, 0
	v_mov_b32_e32 v8, 0
	v_lshlrev_b32_e32 v12, 4, v6
	v_mov_b32_e32 v11, 0
	v_mov_b32_e32 v9, 0
	;; [unrolled: 1-line block ×3, first 2 shown]
	s_mov_b32 s0, 0
.LBB110_15:                             ; =>This Inner Loop Header: Depth=1
	v_ashrrev_i32_e32 v7, 31, v6
	v_mov_b32_e32 v18, v13
	v_lshlrev_b64 v[14:15], 2, v[6:7]
	v_add_nc_u32_e32 v6, 64, v6
	v_add_co_u32 v14, vcc_lo, s10, v14
	v_add_co_ci_u32_e64 v15, null, s11, v15, vcc_lo
	global_load_dword v7, v[14:15], off
	v_lshlrev_b64 v[14:15], 3, v[12:13]
	v_add_nc_u32_e32 v12, 0x400, v12
	v_add_co_u32 v14, vcc_lo, s12, v14
	v_add_co_ci_u32_e64 v15, null, s13, v15, vcc_lo
	s_waitcnt vmcnt(0)
	v_subrev_nc_u32_e32 v7, s2, v7
	v_lshlrev_b32_e32 v17, 3, v7
	v_lshlrev_b64 v[21:22], 3, v[17:18]
	global_load_dwordx4 v[17:20], v[14:15], off offset:16
	v_add_co_u32 v61, vcc_lo, s14, v21
	v_add_co_ci_u32_e64 v62, null, s15, v22, vcc_lo
	s_clause 0x2
	global_load_dwordx4 v[21:24], v[14:15], off
	global_load_dwordx4 v[25:28], v[14:15], off offset:80
	global_load_dwordx4 v[29:32], v[14:15], off offset:64
	s_clause 0x1
	global_load_dwordx4 v[33:36], v[61:62], off
	global_load_dwordx4 v[37:40], v[61:62], off offset:16
	s_clause 0x3
	global_load_dwordx4 v[41:44], v[14:15], off offset:48
	global_load_dwordx4 v[45:48], v[14:15], off offset:32
	;; [unrolled: 1-line block ×4, first 2 shown]
	s_clause 0x1
	global_load_dwordx4 v[57:60], v[61:62], off offset:32
	global_load_dwordx4 v[61:64], v[61:62], off offset:48
	v_cmp_ge_i32_e32 vcc_lo, v6, v16
	s_or_b32 s0, vcc_lo, s0
	s_waitcnt vmcnt(7)
	v_fma_f64 v[10:11], v[21:22], v[33:34], v[10:11]
	v_fma_f64 v[7:8], v[29:30], v[33:34], v[8:9]
	v_fma_f64 v[9:10], v[23:24], v[35:36], v[10:11]
	v_fma_f64 v[7:8], v[31:32], v[35:36], v[7:8]
	s_waitcnt vmcnt(6)
	v_fma_f64 v[9:10], v[17:18], v[37:38], v[9:10]
	v_fma_f64 v[7:8], v[25:26], v[37:38], v[7:8]
	v_fma_f64 v[9:10], v[19:20], v[39:40], v[9:10]
	v_fma_f64 v[7:8], v[27:28], v[39:40], v[7:8]
	;; [unrolled: 5-line block ×4, first 2 shown]
	s_andn2_b32 exec_lo, exec_lo, s0
	s_cbranch_execnz .LBB110_15
; %bb.16:
	s_or_b32 exec_lo, exec_lo, s0
.LBB110_17:
	s_or_b32 exec_lo, exec_lo, s1
.LBB110_18:
	v_mbcnt_lo_u32_b32 v14, -1, 0
	v_or_b32_e32 v6, 32, v14
	v_cmp_gt_i32_e32 vcc_lo, 32, v6
	v_cndmask_b32_e32 v6, v14, v6, vcc_lo
	v_lshlrev_b32_e32 v13, 2, v6
	ds_bpermute_b32 v6, v13, v10
	ds_bpermute_b32 v7, v13, v11
	ds_bpermute_b32 v12, v13, v8
	ds_bpermute_b32 v13, v13, v9
	s_waitcnt lgkmcnt(2)
	v_add_f64 v[6:7], v[10:11], v[6:7]
	v_xor_b32_e32 v10, 16, v14
	s_waitcnt lgkmcnt(0)
	v_add_f64 v[8:9], v[8:9], v[12:13]
	v_cmp_gt_i32_e32 vcc_lo, 32, v10
	v_cndmask_b32_e32 v10, v14, v10, vcc_lo
	v_lshlrev_b32_e32 v13, 2, v10
	ds_bpermute_b32 v10, v13, v6
	ds_bpermute_b32 v11, v13, v7
	ds_bpermute_b32 v12, v13, v8
	ds_bpermute_b32 v13, v13, v9
	s_waitcnt lgkmcnt(2)
	v_add_f64 v[6:7], v[6:7], v[10:11]
	v_xor_b32_e32 v10, 8, v14
	s_waitcnt lgkmcnt(0)
	v_add_f64 v[8:9], v[8:9], v[12:13]
	;; [unrolled: 12-line block ×4, first 2 shown]
	v_cmp_gt_i32_e32 vcc_lo, 32, v10
	v_cndmask_b32_e32 v10, v14, v10, vcc_lo
	v_lshlrev_b32_e32 v13, 2, v10
	ds_bpermute_b32 v10, v13, v6
	ds_bpermute_b32 v11, v13, v7
	;; [unrolled: 1-line block ×4, first 2 shown]
	s_waitcnt lgkmcnt(2)
	v_add_f64 v[6:7], v[6:7], v[10:11]
	s_waitcnt lgkmcnt(0)
	v_add_f64 v[10:11], v[8:9], v[12:13]
	v_xor_b32_e32 v8, 1, v14
	v_cmp_gt_i32_e32 vcc_lo, 32, v8
	v_cndmask_b32_e32 v8, v14, v8, vcc_lo
	v_cmp_eq_u32_e32 vcc_lo, 63, v0
	v_lshlrev_b32_e32 v13, 2, v8
	ds_bpermute_b32 v8, v13, v6
	ds_bpermute_b32 v9, v13, v7
	;; [unrolled: 1-line block ×4, first 2 shown]
	s_and_b32 exec_lo, exec_lo, vcc_lo
	s_cbranch_execz .LBB110_23
; %bb.19:
	s_waitcnt lgkmcnt(2)
	v_add_f64 v[8:9], v[6:7], v[8:9]
	s_waitcnt lgkmcnt(0)
	v_add_f64 v[6:7], v[10:11], v[12:13]
	s_load_dwordx2 s[0:1], s[4:5], 0x38
	s_mov_b32 s2, exec_lo
	v_cmpx_eq_f64_e32 0, v[3:4]
	s_xor_b32 s2, exec_lo, s2
	s_cbranch_execz .LBB110_21
; %bb.20:
	v_lshlrev_b32_e32 v0, 1, v5
	v_mul_f64 v[3:4], v[1:2], v[8:9]
	v_mul_f64 v[5:6], v[1:2], v[6:7]
                                        ; implicit-def: $vgpr8_vgpr9
	v_ashrrev_i32_e32 v1, 31, v0
	v_lshlrev_b64 v[0:1], 3, v[0:1]
	s_waitcnt lgkmcnt(0)
	v_add_co_u32 v0, vcc_lo, s0, v0
	v_add_co_ci_u32_e64 v1, null, s1, v1, vcc_lo
	global_store_dwordx4 v[0:1], v[3:6], off
                                        ; implicit-def: $vgpr5
                                        ; implicit-def: $vgpr1_vgpr2
                                        ; implicit-def: $vgpr3_vgpr4
                                        ; implicit-def: $vgpr6_vgpr7
.LBB110_21:
	s_andn2_saveexec_b32 s2, s2
	s_cbranch_execz .LBB110_23
; %bb.22:
	v_lshlrev_b32_e32 v10, 1, v5
	v_mul_f64 v[8:9], v[1:2], v[8:9]
	v_mul_f64 v[5:6], v[1:2], v[6:7]
	v_ashrrev_i32_e32 v11, 31, v10
	v_lshlrev_b64 v[10:11], 3, v[10:11]
	s_waitcnt lgkmcnt(0)
	v_add_co_u32 v14, vcc_lo, s0, v10
	v_add_co_ci_u32_e64 v15, null, s1, v11, vcc_lo
	global_load_dwordx4 v[10:13], v[14:15], off
	s_waitcnt vmcnt(0)
	v_fma_f64 v[0:1], v[3:4], v[10:11], v[8:9]
	v_fma_f64 v[2:3], v[3:4], v[12:13], v[5:6]
	global_store_dwordx4 v[14:15], v[0:3], off
.LBB110_23:
	s_endpgm
	.section	.rodata,"a",@progbits
	.p2align	6, 0x0
	.amdhsa_kernel _ZN9rocsparseL19gebsrmvn_2xn_kernelILj128ELj8ELj64EdEEvi20rocsparse_direction_NS_24const_host_device_scalarIT2_EEPKiS6_PKS3_S8_S4_PS3_21rocsparse_index_base_b
		.amdhsa_group_segment_fixed_size 0
		.amdhsa_private_segment_fixed_size 0
		.amdhsa_kernarg_size 72
		.amdhsa_user_sgpr_count 6
		.amdhsa_user_sgpr_private_segment_buffer 1
		.amdhsa_user_sgpr_dispatch_ptr 0
		.amdhsa_user_sgpr_queue_ptr 0
		.amdhsa_user_sgpr_kernarg_segment_ptr 1
		.amdhsa_user_sgpr_dispatch_id 0
		.amdhsa_user_sgpr_flat_scratch_init 0
		.amdhsa_user_sgpr_private_segment_size 0
		.amdhsa_wavefront_size32 1
		.amdhsa_uses_dynamic_stack 0
		.amdhsa_system_sgpr_private_segment_wavefront_offset 0
		.amdhsa_system_sgpr_workgroup_id_x 1
		.amdhsa_system_sgpr_workgroup_id_y 0
		.amdhsa_system_sgpr_workgroup_id_z 0
		.amdhsa_system_sgpr_workgroup_info 0
		.amdhsa_system_vgpr_workitem_id 0
		.amdhsa_next_free_vgpr 65
		.amdhsa_next_free_sgpr 16
		.amdhsa_reserve_vcc 1
		.amdhsa_reserve_flat_scratch 0
		.amdhsa_float_round_mode_32 0
		.amdhsa_float_round_mode_16_64 0
		.amdhsa_float_denorm_mode_32 3
		.amdhsa_float_denorm_mode_16_64 3
		.amdhsa_dx10_clamp 1
		.amdhsa_ieee_mode 1
		.amdhsa_fp16_overflow 0
		.amdhsa_workgroup_processor_mode 1
		.amdhsa_memory_ordered 1
		.amdhsa_forward_progress 1
		.amdhsa_shared_vgpr_count 0
		.amdhsa_exception_fp_ieee_invalid_op 0
		.amdhsa_exception_fp_denorm_src 0
		.amdhsa_exception_fp_ieee_div_zero 0
		.amdhsa_exception_fp_ieee_overflow 0
		.amdhsa_exception_fp_ieee_underflow 0
		.amdhsa_exception_fp_ieee_inexact 0
		.amdhsa_exception_int_div_zero 0
	.end_amdhsa_kernel
	.section	.text._ZN9rocsparseL19gebsrmvn_2xn_kernelILj128ELj8ELj64EdEEvi20rocsparse_direction_NS_24const_host_device_scalarIT2_EEPKiS6_PKS3_S8_S4_PS3_21rocsparse_index_base_b,"axG",@progbits,_ZN9rocsparseL19gebsrmvn_2xn_kernelILj128ELj8ELj64EdEEvi20rocsparse_direction_NS_24const_host_device_scalarIT2_EEPKiS6_PKS3_S8_S4_PS3_21rocsparse_index_base_b,comdat
.Lfunc_end110:
	.size	_ZN9rocsparseL19gebsrmvn_2xn_kernelILj128ELj8ELj64EdEEvi20rocsparse_direction_NS_24const_host_device_scalarIT2_EEPKiS6_PKS3_S8_S4_PS3_21rocsparse_index_base_b, .Lfunc_end110-_ZN9rocsparseL19gebsrmvn_2xn_kernelILj128ELj8ELj64EdEEvi20rocsparse_direction_NS_24const_host_device_scalarIT2_EEPKiS6_PKS3_S8_S4_PS3_21rocsparse_index_base_b
                                        ; -- End function
	.set _ZN9rocsparseL19gebsrmvn_2xn_kernelILj128ELj8ELj64EdEEvi20rocsparse_direction_NS_24const_host_device_scalarIT2_EEPKiS6_PKS3_S8_S4_PS3_21rocsparse_index_base_b.num_vgpr, 65
	.set _ZN9rocsparseL19gebsrmvn_2xn_kernelILj128ELj8ELj64EdEEvi20rocsparse_direction_NS_24const_host_device_scalarIT2_EEPKiS6_PKS3_S8_S4_PS3_21rocsparse_index_base_b.num_agpr, 0
	.set _ZN9rocsparseL19gebsrmvn_2xn_kernelILj128ELj8ELj64EdEEvi20rocsparse_direction_NS_24const_host_device_scalarIT2_EEPKiS6_PKS3_S8_S4_PS3_21rocsparse_index_base_b.numbered_sgpr, 16
	.set _ZN9rocsparseL19gebsrmvn_2xn_kernelILj128ELj8ELj64EdEEvi20rocsparse_direction_NS_24const_host_device_scalarIT2_EEPKiS6_PKS3_S8_S4_PS3_21rocsparse_index_base_b.num_named_barrier, 0
	.set _ZN9rocsparseL19gebsrmvn_2xn_kernelILj128ELj8ELj64EdEEvi20rocsparse_direction_NS_24const_host_device_scalarIT2_EEPKiS6_PKS3_S8_S4_PS3_21rocsparse_index_base_b.private_seg_size, 0
	.set _ZN9rocsparseL19gebsrmvn_2xn_kernelILj128ELj8ELj64EdEEvi20rocsparse_direction_NS_24const_host_device_scalarIT2_EEPKiS6_PKS3_S8_S4_PS3_21rocsparse_index_base_b.uses_vcc, 1
	.set _ZN9rocsparseL19gebsrmvn_2xn_kernelILj128ELj8ELj64EdEEvi20rocsparse_direction_NS_24const_host_device_scalarIT2_EEPKiS6_PKS3_S8_S4_PS3_21rocsparse_index_base_b.uses_flat_scratch, 0
	.set _ZN9rocsparseL19gebsrmvn_2xn_kernelILj128ELj8ELj64EdEEvi20rocsparse_direction_NS_24const_host_device_scalarIT2_EEPKiS6_PKS3_S8_S4_PS3_21rocsparse_index_base_b.has_dyn_sized_stack, 0
	.set _ZN9rocsparseL19gebsrmvn_2xn_kernelILj128ELj8ELj64EdEEvi20rocsparse_direction_NS_24const_host_device_scalarIT2_EEPKiS6_PKS3_S8_S4_PS3_21rocsparse_index_base_b.has_recursion, 0
	.set _ZN9rocsparseL19gebsrmvn_2xn_kernelILj128ELj8ELj64EdEEvi20rocsparse_direction_NS_24const_host_device_scalarIT2_EEPKiS6_PKS3_S8_S4_PS3_21rocsparse_index_base_b.has_indirect_call, 0
	.section	.AMDGPU.csdata,"",@progbits
; Kernel info:
; codeLenInByte = 1804
; TotalNumSgprs: 18
; NumVgprs: 65
; ScratchSize: 0
; MemoryBound: 1
; FloatMode: 240
; IeeeMode: 1
; LDSByteSize: 0 bytes/workgroup (compile time only)
; SGPRBlocks: 0
; VGPRBlocks: 8
; NumSGPRsForWavesPerEU: 18
; NumVGPRsForWavesPerEU: 65
; Occupancy: 12
; WaveLimiterHint : 1
; COMPUTE_PGM_RSRC2:SCRATCH_EN: 0
; COMPUTE_PGM_RSRC2:USER_SGPR: 6
; COMPUTE_PGM_RSRC2:TRAP_HANDLER: 0
; COMPUTE_PGM_RSRC2:TGID_X_EN: 1
; COMPUTE_PGM_RSRC2:TGID_Y_EN: 0
; COMPUTE_PGM_RSRC2:TGID_Z_EN: 0
; COMPUTE_PGM_RSRC2:TIDIG_COMP_CNT: 0
	.section	.text._ZN9rocsparseL19gebsrmvn_2xn_kernelILj128ELj9ELj4EdEEvi20rocsparse_direction_NS_24const_host_device_scalarIT2_EEPKiS6_PKS3_S8_S4_PS3_21rocsparse_index_base_b,"axG",@progbits,_ZN9rocsparseL19gebsrmvn_2xn_kernelILj128ELj9ELj4EdEEvi20rocsparse_direction_NS_24const_host_device_scalarIT2_EEPKiS6_PKS3_S8_S4_PS3_21rocsparse_index_base_b,comdat
	.globl	_ZN9rocsparseL19gebsrmvn_2xn_kernelILj128ELj9ELj4EdEEvi20rocsparse_direction_NS_24const_host_device_scalarIT2_EEPKiS6_PKS3_S8_S4_PS3_21rocsparse_index_base_b ; -- Begin function _ZN9rocsparseL19gebsrmvn_2xn_kernelILj128ELj9ELj4EdEEvi20rocsparse_direction_NS_24const_host_device_scalarIT2_EEPKiS6_PKS3_S8_S4_PS3_21rocsparse_index_base_b
	.p2align	8
	.type	_ZN9rocsparseL19gebsrmvn_2xn_kernelILj128ELj9ELj4EdEEvi20rocsparse_direction_NS_24const_host_device_scalarIT2_EEPKiS6_PKS3_S8_S4_PS3_21rocsparse_index_base_b,@function
_ZN9rocsparseL19gebsrmvn_2xn_kernelILj128ELj9ELj4EdEEvi20rocsparse_direction_NS_24const_host_device_scalarIT2_EEPKiS6_PKS3_S8_S4_PS3_21rocsparse_index_base_b: ; @_ZN9rocsparseL19gebsrmvn_2xn_kernelILj128ELj9ELj4EdEEvi20rocsparse_direction_NS_24const_host_device_scalarIT2_EEPKiS6_PKS3_S8_S4_PS3_21rocsparse_index_base_b
; %bb.0:
	s_clause 0x2
	s_load_dwordx2 s[2:3], s[4:5], 0x40
	s_load_dwordx2 s[8:9], s[4:5], 0x8
	;; [unrolled: 1-line block ×3, first 2 shown]
	s_waitcnt lgkmcnt(0)
	s_bitcmp1_b32 s3, 0
	v_mov_b32_e32 v1, s8
	v_mov_b32_e32 v2, s9
	s_cselect_b32 s3, -1, 0
	s_and_b32 vcc_lo, exec_lo, s3
	s_xor_b32 s3, s3, -1
	s_cbranch_vccnz .LBB111_2
; %bb.1:
	v_mov_b32_e32 v1, s8
	v_mov_b32_e32 v2, s9
	flat_load_dwordx2 v[1:2], v[1:2]
.LBB111_2:
	v_mov_b32_e32 v4, s1
	v_mov_b32_e32 v3, s0
	s_andn2_b32 vcc_lo, exec_lo, s3
	s_cbranch_vccnz .LBB111_4
; %bb.3:
	v_mov_b32_e32 v4, s1
	v_mov_b32_e32 v3, s0
	flat_load_dwordx2 v[3:4], v[3:4]
.LBB111_4:
	s_waitcnt vmcnt(0) lgkmcnt(0)
	v_cmp_neq_f64_e32 vcc_lo, 0, v[1:2]
	v_cmp_neq_f64_e64 s0, 1.0, v[3:4]
	s_or_b32 s0, vcc_lo, s0
	s_and_saveexec_b32 s1, s0
	s_cbranch_execz .LBB111_23
; %bb.5:
	s_load_dwordx2 s[0:1], s[4:5], 0x0
	v_lshrrev_b32_e32 v5, 2, v0
	v_lshl_or_b32 v5, s6, 5, v5
	s_waitcnt lgkmcnt(0)
	v_cmp_gt_i32_e32 vcc_lo, s0, v5
	s_and_b32 exec_lo, exec_lo, vcc_lo
	s_cbranch_execz .LBB111_23
; %bb.6:
	s_load_dwordx8 s[8:15], s[4:5], 0x10
	v_ashrrev_i32_e32 v6, 31, v5
	v_and_b32_e32 v0, 3, v0
	s_cmp_lg_u32 s1, 0
	v_lshlrev_b64 v[6:7], 2, v[5:6]
	s_waitcnt lgkmcnt(0)
	v_add_co_u32 v6, vcc_lo, s8, v6
	v_add_co_ci_u32_e64 v7, null, s9, v7, vcc_lo
	global_load_dwordx2 v[6:7], v[6:7], off
	s_waitcnt vmcnt(0)
	v_subrev_nc_u32_e32 v6, s2, v6
	v_subrev_nc_u32_e32 v17, s2, v7
	v_add_nc_u32_e32 v6, v6, v0
	v_cmp_lt_i32_e64 s0, v6, v17
	s_cbranch_scc0 .LBB111_12
; %bb.7:
	v_mov_b32_e32 v8, 0
	v_mov_b32_e32 v10, 0
	;; [unrolled: 1-line block ×4, first 2 shown]
	s_and_saveexec_b32 s3, s0
	s_cbranch_execz .LBB111_11
; %bb.8:
	v_mad_u64_u32 v[12:13], null, v6, 18, 16
	v_mov_b32_e32 v8, 0
	v_mov_b32_e32 v10, 0
	;; [unrolled: 1-line block ×6, first 2 shown]
	s_mov_b32 s6, 0
.LBB111_9:                              ; =>This Inner Loop Header: Depth=1
	v_ashrrev_i32_e32 v16, 31, v15
	v_add_nc_u32_e32 v13, -16, v12
	v_mov_b32_e32 v51, v14
	v_lshlrev_b64 v[18:19], 2, v[15:16]
	v_add_nc_u32_e32 v15, 4, v15
	v_add_co_u32 v18, vcc_lo, s10, v18
	v_add_co_ci_u32_e64 v19, null, s11, v19, vcc_lo
	global_load_dword v7, v[18:19], off
	v_lshlrev_b64 v[18:19], 3, v[13:14]
	v_add_nc_u32_e32 v13, -14, v12
	v_lshlrev_b64 v[20:21], 3, v[13:14]
	v_add_co_u32 v18, vcc_lo, s12, v18
	v_add_co_ci_u32_e64 v19, null, s13, v19, vcc_lo
	v_add_co_u32 v22, vcc_lo, s12, v20
	s_waitcnt vmcnt(0)
	v_subrev_nc_u32_e32 v7, s2, v7
	v_lshl_add_u32 v50, v7, 3, v7
	v_lshlrev_b64 v[23:24], 3, v[50:51]
	v_add_nc_u32_e32 v13, 1, v50
	v_add_co_u32 v26, s1, s14, v23
	v_add_co_ci_u32_e64 v23, null, s13, v21, vcc_lo
	v_add_co_ci_u32_e64 v27, null, s15, v24, s1
	s_clause 0x1
	global_load_dwordx4 v[18:21], v[18:19], off
	global_load_dwordx4 v[22:25], v[22:23], off
	global_load_dwordx2 v[54:55], v[26:27], off
	v_lshlrev_b64 v[26:27], 3, v[13:14]
	v_add_nc_u32_e32 v13, -12, v12
	v_lshlrev_b64 v[28:29], 3, v[13:14]
	v_add_co_u32 v26, vcc_lo, s14, v26
	v_add_co_ci_u32_e64 v27, null, s15, v27, vcc_lo
	v_add_nc_u32_e32 v13, 2, v50
	v_add_co_u32 v28, vcc_lo, s12, v28
	global_load_dwordx2 v[56:57], v[26:27], off
	v_add_co_ci_u32_e64 v29, null, s13, v29, vcc_lo
	v_lshlrev_b64 v[26:27], 3, v[13:14]
	v_add_nc_u32_e32 v13, -10, v12
	v_add_co_u32 v30, vcc_lo, s14, v26
	v_add_co_ci_u32_e64 v31, null, s15, v27, vcc_lo
	global_load_dwordx4 v[26:29], v[28:29], off
	global_load_dwordx2 v[58:59], v[30:31], off
	v_lshlrev_b64 v[32:33], 3, v[13:14]
	v_add_nc_u32_e32 v13, 3, v50
	v_lshlrev_b64 v[30:31], 3, v[13:14]
	v_add_co_u32 v32, vcc_lo, s12, v32
	v_add_co_ci_u32_e64 v33, null, s13, v33, vcc_lo
	v_add_nc_u32_e32 v13, -8, v12
	v_add_co_u32 v34, vcc_lo, s14, v30
	v_add_co_ci_u32_e64 v35, null, s15, v31, vcc_lo
	global_load_dwordx4 v[30:33], v[32:33], off
	global_load_dwordx2 v[60:61], v[34:35], off
	v_lshlrev_b64 v[36:37], 3, v[13:14]
	v_add_nc_u32_e32 v13, 4, v50
	v_lshlrev_b64 v[34:35], 3, v[13:14]
	v_add_co_u32 v36, vcc_lo, s12, v36
	v_add_co_ci_u32_e64 v37, null, s13, v37, vcc_lo
	;; [unrolled: 10-line block ×5, first 2 shown]
	v_mov_b32_e32 v13, v14
	v_add_co_u32 v51, vcc_lo, s14, v48
	v_add_co_ci_u32_e64 v52, null, s15, v49, vcc_lo
	global_load_dwordx4 v[46:49], v[46:47], off
	global_load_dwordx2 v[68:69], v[51:52], off
	v_lshlrev_b64 v[51:52], 3, v[12:13]
	v_add_nc_u32_e32 v13, 8, v50
	v_add_nc_u32_e32 v12, 0x48, v12
	v_lshlrev_b64 v[70:71], 3, v[13:14]
	v_add_co_u32 v50, vcc_lo, s12, v51
	v_add_co_ci_u32_e64 v51, null, s13, v52, vcc_lo
	v_add_co_u32 v70, vcc_lo, s14, v70
	v_add_co_ci_u32_e64 v71, null, s15, v71, vcc_lo
	global_load_dwordx4 v[50:53], v[50:51], off
	global_load_dwordx2 v[70:71], v[70:71], off
	v_cmp_ge_i32_e32 vcc_lo, v15, v17
	s_or_b32 s6, vcc_lo, s6
	s_waitcnt vmcnt(15)
	v_fma_f64 v[7:8], v[18:19], v[54:55], v[8:9]
	v_fma_f64 v[9:10], v[20:21], v[54:55], v[10:11]
	s_waitcnt vmcnt(14)
	v_fma_f64 v[7:8], v[22:23], v[56:57], v[7:8]
	v_fma_f64 v[9:10], v[24:25], v[56:57], v[9:10]
	;; [unrolled: 3-line block ×9, first 2 shown]
	s_andn2_b32 exec_lo, exec_lo, s6
	s_cbranch_execnz .LBB111_9
; %bb.10:
	s_or_b32 exec_lo, exec_lo, s6
.LBB111_11:
	s_or_b32 exec_lo, exec_lo, s3
	s_cbranch_execz .LBB111_13
	s_branch .LBB111_18
.LBB111_12:
                                        ; implicit-def: $vgpr8_vgpr9
                                        ; implicit-def: $vgpr10_vgpr11
.LBB111_13:
	v_mov_b32_e32 v8, 0
	v_mov_b32_e32 v10, 0
	;; [unrolled: 1-line block ×4, first 2 shown]
	s_and_saveexec_b32 s1, s0
	s_cbranch_execz .LBB111_17
; %bb.14:
	v_mad_u64_u32 v[12:13], null, v6, 18, 17
	v_mov_b32_e32 v8, 0
	v_mov_b32_e32 v10, 0
	;; [unrolled: 1-line block ×5, first 2 shown]
	s_mov_b32 s0, 0
.LBB111_15:                             ; =>This Inner Loop Header: Depth=1
	v_ashrrev_i32_e32 v7, 31, v6
	v_subrev_nc_u32_e32 v14, 17, v12
	v_add_nc_u32_e32 v18, -8, v12
	v_mov_b32_e32 v19, v15
	v_mov_b32_e32 v13, v15
	v_lshlrev_b64 v[21:22], 2, v[6:7]
	v_lshlrev_b64 v[23:24], 3, v[14:15]
	v_mov_b32_e32 v20, v15
	v_lshlrev_b64 v[18:19], 3, v[18:19]
	v_lshlrev_b64 v[13:14], 3, v[12:13]
	v_add_nc_u32_e32 v6, 4, v6
	v_add_co_u32 v21, vcc_lo, s10, v21
	v_add_co_ci_u32_e64 v22, null, s11, v22, vcc_lo
	v_add_co_u32 v23, vcc_lo, s12, v23
	v_add_co_ci_u32_e64 v24, null, s13, v24, vcc_lo
	global_load_dword v7, v[21:22], off
	v_add_co_u32 v25, vcc_lo, s12, v18
	v_add_co_ci_u32_e64 v26, null, s13, v19, vcc_lo
	v_add_co_u32 v27, vcc_lo, s12, v13
	v_add_co_ci_u32_e64 v28, null, s13, v14, vcc_lo
	s_waitcnt vmcnt(0)
	v_subrev_nc_u32_e32 v7, s2, v7
	v_lshl_add_u32 v19, v7, 3, v7
	v_add_nc_u32_e32 v14, 1, v19
	v_lshlrev_b64 v[20:21], 3, v[19:20]
	v_lshlrev_b64 v[29:30], 3, v[14:15]
	v_add_nc_u32_e32 v14, -7, v12
	v_add_co_u32 v20, vcc_lo, s14, v20
	v_add_co_ci_u32_e64 v21, null, s15, v21, vcc_lo
	v_lshlrev_b64 v[31:32], 3, v[14:15]
	v_add_nc_u32_e32 v14, -15, v12
	v_add_co_u32 v29, vcc_lo, s14, v29
	v_add_co_ci_u32_e64 v30, null, s15, v30, vcc_lo
	v_lshlrev_b64 v[33:34], 3, v[14:15]
	v_add_nc_u32_e32 v14, 2, v19
	v_add_co_u32 v31, vcc_lo, s12, v31
	v_add_co_ci_u32_e64 v32, null, s13, v32, vcc_lo
	v_lshlrev_b64 v[35:36], 3, v[14:15]
	v_add_nc_u32_e32 v14, -6, v12
	v_add_co_u32 v33, vcc_lo, s12, v33
	v_add_co_ci_u32_e64 v34, null, s13, v34, vcc_lo
	v_lshlrev_b64 v[37:38], 3, v[14:15]
	v_add_nc_u32_e32 v14, -14, v12
	v_add_co_u32 v35, vcc_lo, s14, v35
	v_add_co_ci_u32_e64 v36, null, s15, v36, vcc_lo
	v_lshlrev_b64 v[39:40], 3, v[14:15]
	v_add_nc_u32_e32 v14, 3, v19
	v_add_co_u32 v37, vcc_lo, s12, v37
	v_add_co_ci_u32_e64 v38, null, s13, v38, vcc_lo
	;; [unrolled: 12-line block ×6, first 2 shown]
	v_lshlrev_b64 v[13:14], 3, v[14:15]
	v_add_co_u32 v63, vcc_lo, s12, v63
	v_add_co_ci_u32_e64 v64, null, s13, v64, vcc_lo
	v_add_co_u32 v65, vcc_lo, s14, v13
	v_add_co_ci_u32_e64 v66, null, s15, v14, vcc_lo
	v_add_nc_u32_e32 v14, -1, v12
	v_lshlrev_b64 v[67:68], 3, v[14:15]
	v_add_nc_u32_e32 v14, -9, v12
	v_add_nc_u32_e32 v12, 0x48, v12
	v_lshlrev_b64 v[69:70], 3, v[14:15]
	v_add_nc_u32_e32 v14, 8, v19
	global_load_dwordx2 v[18:19], v[25:26], off
	global_load_dwordx2 v[25:26], v[20:21], off
	v_add_co_u32 v67, vcc_lo, s12, v67
	v_add_co_ci_u32_e64 v68, null, s13, v68, vcc_lo
	v_lshlrev_b64 v[13:14], 3, v[14:15]
	s_waitcnt vmcnt(0)
	v_fma_f64 v[10:11], v[18:19], v[25:26], v[10:11]
	global_load_dwordx4 v[18:21], v[23:24], off
	s_waitcnt vmcnt(0)
	v_fma_f64 v[7:8], v[18:19], v[25:26], v[8:9]
	global_load_dwordx2 v[18:19], v[29:30], off
	s_clause 0x1
	global_load_dwordx2 v[22:23], v[31:32], off
	global_load_dwordx2 v[24:25], v[33:34], off
	global_load_dwordx2 v[29:30], v[35:36], off
	s_clause 0x1
	global_load_dwordx2 v[31:32], v[37:38], off
	global_load_dwordx2 v[33:34], v[39:40], off
	;; [unrolled: 4-line block ×6, first 2 shown]
	global_load_dwordx2 v[59:60], v[65:66], off
	global_load_dwordx2 v[61:62], v[67:68], off
	s_waitcnt vmcnt(19)
	v_fma_f64 v[7:8], v[20:21], v[18:19], v[7:8]
	v_add_co_u32 v20, vcc_lo, s12, v69
	v_add_co_ci_u32_e64 v21, null, s13, v70, vcc_lo
	v_add_co_u32 v13, vcc_lo, s14, v13
	v_add_co_ci_u32_e64 v14, null, s15, v14, vcc_lo
	s_clause 0x1
	global_load_dwordx2 v[26:27], v[27:28], off
	global_load_dwordx2 v[20:21], v[20:21], off
	;; [unrolled: 1-line block ×3, first 2 shown]
	s_waitcnt vmcnt(21)
	v_fma_f64 v[9:10], v[22:23], v[18:19], v[10:11]
	v_cmp_ge_i32_e32 vcc_lo, v6, v17
	s_or_b32 s0, vcc_lo, s0
	s_waitcnt vmcnt(19)
	v_fma_f64 v[7:8], v[24:25], v[29:30], v[7:8]
	s_waitcnt vmcnt(18)
	v_fma_f64 v[9:10], v[31:32], v[29:30], v[9:10]
	;; [unrolled: 2-line block ×13, first 2 shown]
	v_fma_f64 v[10:11], v[26:27], v[13:14], v[10:11]
	s_andn2_b32 exec_lo, exec_lo, s0
	s_cbranch_execnz .LBB111_15
; %bb.16:
	s_or_b32 exec_lo, exec_lo, s0
.LBB111_17:
	s_or_b32 exec_lo, exec_lo, s1
.LBB111_18:
	v_mbcnt_lo_u32_b32 v14, -1, 0
	v_xor_b32_e32 v6, 2, v14
	v_cmp_gt_i32_e32 vcc_lo, 32, v6
	v_cndmask_b32_e32 v6, v14, v6, vcc_lo
	v_lshlrev_b32_e32 v13, 2, v6
	ds_bpermute_b32 v6, v13, v8
	ds_bpermute_b32 v7, v13, v9
	;; [unrolled: 1-line block ×4, first 2 shown]
	s_waitcnt lgkmcnt(2)
	v_add_f64 v[6:7], v[8:9], v[6:7]
	v_xor_b32_e32 v8, 1, v14
	s_waitcnt lgkmcnt(0)
	v_add_f64 v[10:11], v[10:11], v[12:13]
	v_cmp_gt_i32_e32 vcc_lo, 32, v8
	v_cndmask_b32_e32 v8, v14, v8, vcc_lo
	v_cmp_eq_u32_e32 vcc_lo, 3, v0
	v_lshlrev_b32_e32 v13, 2, v8
	ds_bpermute_b32 v8, v13, v6
	ds_bpermute_b32 v9, v13, v7
	;; [unrolled: 1-line block ×4, first 2 shown]
	s_and_b32 exec_lo, exec_lo, vcc_lo
	s_cbranch_execz .LBB111_23
; %bb.19:
	s_waitcnt lgkmcnt(2)
	v_add_f64 v[8:9], v[6:7], v[8:9]
	s_waitcnt lgkmcnt(0)
	v_add_f64 v[6:7], v[10:11], v[12:13]
	s_load_dwordx2 s[0:1], s[4:5], 0x38
	s_mov_b32 s2, exec_lo
	v_cmpx_eq_f64_e32 0, v[3:4]
	s_xor_b32 s2, exec_lo, s2
	s_cbranch_execz .LBB111_21
; %bb.20:
	v_lshlrev_b32_e32 v0, 1, v5
	v_mul_f64 v[3:4], v[1:2], v[8:9]
	v_mul_f64 v[5:6], v[1:2], v[6:7]
                                        ; implicit-def: $vgpr8_vgpr9
	v_ashrrev_i32_e32 v1, 31, v0
	v_lshlrev_b64 v[0:1], 3, v[0:1]
	s_waitcnt lgkmcnt(0)
	v_add_co_u32 v0, vcc_lo, s0, v0
	v_add_co_ci_u32_e64 v1, null, s1, v1, vcc_lo
	global_store_dwordx4 v[0:1], v[3:6], off
                                        ; implicit-def: $vgpr5
                                        ; implicit-def: $vgpr1_vgpr2
                                        ; implicit-def: $vgpr3_vgpr4
                                        ; implicit-def: $vgpr6_vgpr7
.LBB111_21:
	s_andn2_saveexec_b32 s2, s2
	s_cbranch_execz .LBB111_23
; %bb.22:
	v_lshlrev_b32_e32 v10, 1, v5
	v_mul_f64 v[8:9], v[1:2], v[8:9]
	v_mul_f64 v[5:6], v[1:2], v[6:7]
	v_ashrrev_i32_e32 v11, 31, v10
	v_lshlrev_b64 v[10:11], 3, v[10:11]
	s_waitcnt lgkmcnt(0)
	v_add_co_u32 v14, vcc_lo, s0, v10
	v_add_co_ci_u32_e64 v15, null, s1, v11, vcc_lo
	global_load_dwordx4 v[10:13], v[14:15], off
	s_waitcnt vmcnt(0)
	v_fma_f64 v[0:1], v[3:4], v[10:11], v[8:9]
	v_fma_f64 v[2:3], v[3:4], v[12:13], v[5:6]
	global_store_dwordx4 v[14:15], v[0:3], off
.LBB111_23:
	s_endpgm
	.section	.rodata,"a",@progbits
	.p2align	6, 0x0
	.amdhsa_kernel _ZN9rocsparseL19gebsrmvn_2xn_kernelILj128ELj9ELj4EdEEvi20rocsparse_direction_NS_24const_host_device_scalarIT2_EEPKiS6_PKS3_S8_S4_PS3_21rocsparse_index_base_b
		.amdhsa_group_segment_fixed_size 0
		.amdhsa_private_segment_fixed_size 0
		.amdhsa_kernarg_size 72
		.amdhsa_user_sgpr_count 6
		.amdhsa_user_sgpr_private_segment_buffer 1
		.amdhsa_user_sgpr_dispatch_ptr 0
		.amdhsa_user_sgpr_queue_ptr 0
		.amdhsa_user_sgpr_kernarg_segment_ptr 1
		.amdhsa_user_sgpr_dispatch_id 0
		.amdhsa_user_sgpr_flat_scratch_init 0
		.amdhsa_user_sgpr_private_segment_size 0
		.amdhsa_wavefront_size32 1
		.amdhsa_uses_dynamic_stack 0
		.amdhsa_system_sgpr_private_segment_wavefront_offset 0
		.amdhsa_system_sgpr_workgroup_id_x 1
		.amdhsa_system_sgpr_workgroup_id_y 0
		.amdhsa_system_sgpr_workgroup_id_z 0
		.amdhsa_system_sgpr_workgroup_info 0
		.amdhsa_system_vgpr_workitem_id 0
		.amdhsa_next_free_vgpr 72
		.amdhsa_next_free_sgpr 16
		.amdhsa_reserve_vcc 1
		.amdhsa_reserve_flat_scratch 0
		.amdhsa_float_round_mode_32 0
		.amdhsa_float_round_mode_16_64 0
		.amdhsa_float_denorm_mode_32 3
		.amdhsa_float_denorm_mode_16_64 3
		.amdhsa_dx10_clamp 1
		.amdhsa_ieee_mode 1
		.amdhsa_fp16_overflow 0
		.amdhsa_workgroup_processor_mode 1
		.amdhsa_memory_ordered 1
		.amdhsa_forward_progress 1
		.amdhsa_shared_vgpr_count 0
		.amdhsa_exception_fp_ieee_invalid_op 0
		.amdhsa_exception_fp_denorm_src 0
		.amdhsa_exception_fp_ieee_div_zero 0
		.amdhsa_exception_fp_ieee_overflow 0
		.amdhsa_exception_fp_ieee_underflow 0
		.amdhsa_exception_fp_ieee_inexact 0
		.amdhsa_exception_int_div_zero 0
	.end_amdhsa_kernel
	.section	.text._ZN9rocsparseL19gebsrmvn_2xn_kernelILj128ELj9ELj4EdEEvi20rocsparse_direction_NS_24const_host_device_scalarIT2_EEPKiS6_PKS3_S8_S4_PS3_21rocsparse_index_base_b,"axG",@progbits,_ZN9rocsparseL19gebsrmvn_2xn_kernelILj128ELj9ELj4EdEEvi20rocsparse_direction_NS_24const_host_device_scalarIT2_EEPKiS6_PKS3_S8_S4_PS3_21rocsparse_index_base_b,comdat
.Lfunc_end111:
	.size	_ZN9rocsparseL19gebsrmvn_2xn_kernelILj128ELj9ELj4EdEEvi20rocsparse_direction_NS_24const_host_device_scalarIT2_EEPKiS6_PKS3_S8_S4_PS3_21rocsparse_index_base_b, .Lfunc_end111-_ZN9rocsparseL19gebsrmvn_2xn_kernelILj128ELj9ELj4EdEEvi20rocsparse_direction_NS_24const_host_device_scalarIT2_EEPKiS6_PKS3_S8_S4_PS3_21rocsparse_index_base_b
                                        ; -- End function
	.set _ZN9rocsparseL19gebsrmvn_2xn_kernelILj128ELj9ELj4EdEEvi20rocsparse_direction_NS_24const_host_device_scalarIT2_EEPKiS6_PKS3_S8_S4_PS3_21rocsparse_index_base_b.num_vgpr, 72
	.set _ZN9rocsparseL19gebsrmvn_2xn_kernelILj128ELj9ELj4EdEEvi20rocsparse_direction_NS_24const_host_device_scalarIT2_EEPKiS6_PKS3_S8_S4_PS3_21rocsparse_index_base_b.num_agpr, 0
	.set _ZN9rocsparseL19gebsrmvn_2xn_kernelILj128ELj9ELj4EdEEvi20rocsparse_direction_NS_24const_host_device_scalarIT2_EEPKiS6_PKS3_S8_S4_PS3_21rocsparse_index_base_b.numbered_sgpr, 16
	.set _ZN9rocsparseL19gebsrmvn_2xn_kernelILj128ELj9ELj4EdEEvi20rocsparse_direction_NS_24const_host_device_scalarIT2_EEPKiS6_PKS3_S8_S4_PS3_21rocsparse_index_base_b.num_named_barrier, 0
	.set _ZN9rocsparseL19gebsrmvn_2xn_kernelILj128ELj9ELj4EdEEvi20rocsparse_direction_NS_24const_host_device_scalarIT2_EEPKiS6_PKS3_S8_S4_PS3_21rocsparse_index_base_b.private_seg_size, 0
	.set _ZN9rocsparseL19gebsrmvn_2xn_kernelILj128ELj9ELj4EdEEvi20rocsparse_direction_NS_24const_host_device_scalarIT2_EEPKiS6_PKS3_S8_S4_PS3_21rocsparse_index_base_b.uses_vcc, 1
	.set _ZN9rocsparseL19gebsrmvn_2xn_kernelILj128ELj9ELj4EdEEvi20rocsparse_direction_NS_24const_host_device_scalarIT2_EEPKiS6_PKS3_S8_S4_PS3_21rocsparse_index_base_b.uses_flat_scratch, 0
	.set _ZN9rocsparseL19gebsrmvn_2xn_kernelILj128ELj9ELj4EdEEvi20rocsparse_direction_NS_24const_host_device_scalarIT2_EEPKiS6_PKS3_S8_S4_PS3_21rocsparse_index_base_b.has_dyn_sized_stack, 0
	.set _ZN9rocsparseL19gebsrmvn_2xn_kernelILj128ELj9ELj4EdEEvi20rocsparse_direction_NS_24const_host_device_scalarIT2_EEPKiS6_PKS3_S8_S4_PS3_21rocsparse_index_base_b.has_recursion, 0
	.set _ZN9rocsparseL19gebsrmvn_2xn_kernelILj128ELj9ELj4EdEEvi20rocsparse_direction_NS_24const_host_device_scalarIT2_EEPKiS6_PKS3_S8_S4_PS3_21rocsparse_index_base_b.has_indirect_call, 0
	.section	.AMDGPU.csdata,"",@progbits
; Kernel info:
; codeLenInByte = 2916
; TotalNumSgprs: 18
; NumVgprs: 72
; ScratchSize: 0
; MemoryBound: 0
; FloatMode: 240
; IeeeMode: 1
; LDSByteSize: 0 bytes/workgroup (compile time only)
; SGPRBlocks: 0
; VGPRBlocks: 8
; NumSGPRsForWavesPerEU: 18
; NumVGPRsForWavesPerEU: 72
; Occupancy: 12
; WaveLimiterHint : 1
; COMPUTE_PGM_RSRC2:SCRATCH_EN: 0
; COMPUTE_PGM_RSRC2:USER_SGPR: 6
; COMPUTE_PGM_RSRC2:TRAP_HANDLER: 0
; COMPUTE_PGM_RSRC2:TGID_X_EN: 1
; COMPUTE_PGM_RSRC2:TGID_Y_EN: 0
; COMPUTE_PGM_RSRC2:TGID_Z_EN: 0
; COMPUTE_PGM_RSRC2:TIDIG_COMP_CNT: 0
	.section	.text._ZN9rocsparseL19gebsrmvn_2xn_kernelILj128ELj9ELj8EdEEvi20rocsparse_direction_NS_24const_host_device_scalarIT2_EEPKiS6_PKS3_S8_S4_PS3_21rocsparse_index_base_b,"axG",@progbits,_ZN9rocsparseL19gebsrmvn_2xn_kernelILj128ELj9ELj8EdEEvi20rocsparse_direction_NS_24const_host_device_scalarIT2_EEPKiS6_PKS3_S8_S4_PS3_21rocsparse_index_base_b,comdat
	.globl	_ZN9rocsparseL19gebsrmvn_2xn_kernelILj128ELj9ELj8EdEEvi20rocsparse_direction_NS_24const_host_device_scalarIT2_EEPKiS6_PKS3_S8_S4_PS3_21rocsparse_index_base_b ; -- Begin function _ZN9rocsparseL19gebsrmvn_2xn_kernelILj128ELj9ELj8EdEEvi20rocsparse_direction_NS_24const_host_device_scalarIT2_EEPKiS6_PKS3_S8_S4_PS3_21rocsparse_index_base_b
	.p2align	8
	.type	_ZN9rocsparseL19gebsrmvn_2xn_kernelILj128ELj9ELj8EdEEvi20rocsparse_direction_NS_24const_host_device_scalarIT2_EEPKiS6_PKS3_S8_S4_PS3_21rocsparse_index_base_b,@function
_ZN9rocsparseL19gebsrmvn_2xn_kernelILj128ELj9ELj8EdEEvi20rocsparse_direction_NS_24const_host_device_scalarIT2_EEPKiS6_PKS3_S8_S4_PS3_21rocsparse_index_base_b: ; @_ZN9rocsparseL19gebsrmvn_2xn_kernelILj128ELj9ELj8EdEEvi20rocsparse_direction_NS_24const_host_device_scalarIT2_EEPKiS6_PKS3_S8_S4_PS3_21rocsparse_index_base_b
; %bb.0:
	s_clause 0x2
	s_load_dwordx2 s[2:3], s[4:5], 0x40
	s_load_dwordx2 s[8:9], s[4:5], 0x8
	;; [unrolled: 1-line block ×3, first 2 shown]
	s_waitcnt lgkmcnt(0)
	s_bitcmp1_b32 s3, 0
	v_mov_b32_e32 v1, s8
	v_mov_b32_e32 v2, s9
	s_cselect_b32 s3, -1, 0
	s_and_b32 vcc_lo, exec_lo, s3
	s_xor_b32 s3, s3, -1
	s_cbranch_vccnz .LBB112_2
; %bb.1:
	v_mov_b32_e32 v1, s8
	v_mov_b32_e32 v2, s9
	flat_load_dwordx2 v[1:2], v[1:2]
.LBB112_2:
	v_mov_b32_e32 v4, s1
	v_mov_b32_e32 v3, s0
	s_andn2_b32 vcc_lo, exec_lo, s3
	s_cbranch_vccnz .LBB112_4
; %bb.3:
	v_mov_b32_e32 v4, s1
	v_mov_b32_e32 v3, s0
	flat_load_dwordx2 v[3:4], v[3:4]
.LBB112_4:
	s_waitcnt vmcnt(0) lgkmcnt(0)
	v_cmp_neq_f64_e32 vcc_lo, 0, v[1:2]
	v_cmp_neq_f64_e64 s0, 1.0, v[3:4]
	s_or_b32 s0, vcc_lo, s0
	s_and_saveexec_b32 s1, s0
	s_cbranch_execz .LBB112_23
; %bb.5:
	s_load_dwordx2 s[0:1], s[4:5], 0x0
	v_lshrrev_b32_e32 v5, 3, v0
	v_lshl_or_b32 v5, s6, 4, v5
	s_waitcnt lgkmcnt(0)
	v_cmp_gt_i32_e32 vcc_lo, s0, v5
	s_and_b32 exec_lo, exec_lo, vcc_lo
	s_cbranch_execz .LBB112_23
; %bb.6:
	s_load_dwordx8 s[8:15], s[4:5], 0x10
	v_ashrrev_i32_e32 v6, 31, v5
	v_and_b32_e32 v0, 7, v0
	s_cmp_lg_u32 s1, 0
	v_lshlrev_b64 v[6:7], 2, v[5:6]
	s_waitcnt lgkmcnt(0)
	v_add_co_u32 v6, vcc_lo, s8, v6
	v_add_co_ci_u32_e64 v7, null, s9, v7, vcc_lo
	global_load_dwordx2 v[6:7], v[6:7], off
	s_waitcnt vmcnt(0)
	v_subrev_nc_u32_e32 v6, s2, v6
	v_subrev_nc_u32_e32 v17, s2, v7
	v_add_nc_u32_e32 v6, v6, v0
	v_cmp_lt_i32_e64 s0, v6, v17
	s_cbranch_scc0 .LBB112_12
; %bb.7:
	v_mov_b32_e32 v8, 0
	v_mov_b32_e32 v10, 0
	;; [unrolled: 1-line block ×4, first 2 shown]
	s_and_saveexec_b32 s3, s0
	s_cbranch_execz .LBB112_11
; %bb.8:
	v_mad_u64_u32 v[12:13], null, v6, 18, 16
	v_mov_b32_e32 v8, 0
	v_mov_b32_e32 v10, 0
	;; [unrolled: 1-line block ×6, first 2 shown]
	s_mov_b32 s6, 0
.LBB112_9:                              ; =>This Inner Loop Header: Depth=1
	v_ashrrev_i32_e32 v16, 31, v15
	v_add_nc_u32_e32 v13, -16, v12
	v_mov_b32_e32 v51, v14
	v_lshlrev_b64 v[18:19], 2, v[15:16]
	v_add_nc_u32_e32 v15, 8, v15
	v_add_co_u32 v18, vcc_lo, s10, v18
	v_add_co_ci_u32_e64 v19, null, s11, v19, vcc_lo
	global_load_dword v7, v[18:19], off
	v_lshlrev_b64 v[18:19], 3, v[13:14]
	v_add_nc_u32_e32 v13, -14, v12
	v_lshlrev_b64 v[20:21], 3, v[13:14]
	v_add_co_u32 v18, vcc_lo, s12, v18
	v_add_co_ci_u32_e64 v19, null, s13, v19, vcc_lo
	v_add_co_u32 v22, vcc_lo, s12, v20
	s_waitcnt vmcnt(0)
	v_subrev_nc_u32_e32 v7, s2, v7
	v_lshl_add_u32 v50, v7, 3, v7
	v_lshlrev_b64 v[23:24], 3, v[50:51]
	v_add_nc_u32_e32 v13, 1, v50
	v_add_co_u32 v26, s1, s14, v23
	v_add_co_ci_u32_e64 v23, null, s13, v21, vcc_lo
	v_add_co_ci_u32_e64 v27, null, s15, v24, s1
	s_clause 0x1
	global_load_dwordx4 v[18:21], v[18:19], off
	global_load_dwordx4 v[22:25], v[22:23], off
	global_load_dwordx2 v[54:55], v[26:27], off
	v_lshlrev_b64 v[26:27], 3, v[13:14]
	v_add_nc_u32_e32 v13, -12, v12
	v_lshlrev_b64 v[28:29], 3, v[13:14]
	v_add_co_u32 v26, vcc_lo, s14, v26
	v_add_co_ci_u32_e64 v27, null, s15, v27, vcc_lo
	v_add_nc_u32_e32 v13, 2, v50
	v_add_co_u32 v28, vcc_lo, s12, v28
	global_load_dwordx2 v[56:57], v[26:27], off
	v_add_co_ci_u32_e64 v29, null, s13, v29, vcc_lo
	v_lshlrev_b64 v[26:27], 3, v[13:14]
	v_add_nc_u32_e32 v13, -10, v12
	v_add_co_u32 v30, vcc_lo, s14, v26
	v_add_co_ci_u32_e64 v31, null, s15, v27, vcc_lo
	global_load_dwordx4 v[26:29], v[28:29], off
	global_load_dwordx2 v[58:59], v[30:31], off
	v_lshlrev_b64 v[32:33], 3, v[13:14]
	v_add_nc_u32_e32 v13, 3, v50
	v_lshlrev_b64 v[30:31], 3, v[13:14]
	v_add_co_u32 v32, vcc_lo, s12, v32
	v_add_co_ci_u32_e64 v33, null, s13, v33, vcc_lo
	v_add_nc_u32_e32 v13, -8, v12
	v_add_co_u32 v34, vcc_lo, s14, v30
	v_add_co_ci_u32_e64 v35, null, s15, v31, vcc_lo
	global_load_dwordx4 v[30:33], v[32:33], off
	global_load_dwordx2 v[60:61], v[34:35], off
	v_lshlrev_b64 v[36:37], 3, v[13:14]
	v_add_nc_u32_e32 v13, 4, v50
	v_lshlrev_b64 v[34:35], 3, v[13:14]
	v_add_co_u32 v36, vcc_lo, s12, v36
	v_add_co_ci_u32_e64 v37, null, s13, v37, vcc_lo
	;; [unrolled: 10-line block ×5, first 2 shown]
	v_mov_b32_e32 v13, v14
	v_add_co_u32 v51, vcc_lo, s14, v48
	v_add_co_ci_u32_e64 v52, null, s15, v49, vcc_lo
	global_load_dwordx4 v[46:49], v[46:47], off
	global_load_dwordx2 v[68:69], v[51:52], off
	v_lshlrev_b64 v[51:52], 3, v[12:13]
	v_add_nc_u32_e32 v13, 8, v50
	v_add_nc_u32_e32 v12, 0x90, v12
	v_lshlrev_b64 v[70:71], 3, v[13:14]
	v_add_co_u32 v50, vcc_lo, s12, v51
	v_add_co_ci_u32_e64 v51, null, s13, v52, vcc_lo
	v_add_co_u32 v70, vcc_lo, s14, v70
	v_add_co_ci_u32_e64 v71, null, s15, v71, vcc_lo
	global_load_dwordx4 v[50:53], v[50:51], off
	global_load_dwordx2 v[70:71], v[70:71], off
	v_cmp_ge_i32_e32 vcc_lo, v15, v17
	s_or_b32 s6, vcc_lo, s6
	s_waitcnt vmcnt(15)
	v_fma_f64 v[7:8], v[18:19], v[54:55], v[8:9]
	v_fma_f64 v[9:10], v[20:21], v[54:55], v[10:11]
	s_waitcnt vmcnt(14)
	v_fma_f64 v[7:8], v[22:23], v[56:57], v[7:8]
	v_fma_f64 v[9:10], v[24:25], v[56:57], v[9:10]
	;; [unrolled: 3-line block ×9, first 2 shown]
	s_andn2_b32 exec_lo, exec_lo, s6
	s_cbranch_execnz .LBB112_9
; %bb.10:
	s_or_b32 exec_lo, exec_lo, s6
.LBB112_11:
	s_or_b32 exec_lo, exec_lo, s3
	s_cbranch_execz .LBB112_13
	s_branch .LBB112_18
.LBB112_12:
                                        ; implicit-def: $vgpr8_vgpr9
                                        ; implicit-def: $vgpr10_vgpr11
.LBB112_13:
	v_mov_b32_e32 v8, 0
	v_mov_b32_e32 v10, 0
	;; [unrolled: 1-line block ×4, first 2 shown]
	s_and_saveexec_b32 s1, s0
	s_cbranch_execz .LBB112_17
; %bb.14:
	v_mad_u64_u32 v[12:13], null, v6, 18, 17
	v_mov_b32_e32 v8, 0
	v_mov_b32_e32 v10, 0
	;; [unrolled: 1-line block ×5, first 2 shown]
	s_mov_b32 s0, 0
.LBB112_15:                             ; =>This Inner Loop Header: Depth=1
	v_ashrrev_i32_e32 v7, 31, v6
	v_subrev_nc_u32_e32 v14, 17, v12
	v_add_nc_u32_e32 v18, -8, v12
	v_mov_b32_e32 v19, v15
	v_mov_b32_e32 v13, v15
	v_lshlrev_b64 v[21:22], 2, v[6:7]
	v_lshlrev_b64 v[23:24], 3, v[14:15]
	v_mov_b32_e32 v20, v15
	v_lshlrev_b64 v[18:19], 3, v[18:19]
	v_lshlrev_b64 v[13:14], 3, v[12:13]
	v_add_nc_u32_e32 v6, 8, v6
	v_add_co_u32 v21, vcc_lo, s10, v21
	v_add_co_ci_u32_e64 v22, null, s11, v22, vcc_lo
	v_add_co_u32 v23, vcc_lo, s12, v23
	v_add_co_ci_u32_e64 v24, null, s13, v24, vcc_lo
	global_load_dword v7, v[21:22], off
	v_add_co_u32 v25, vcc_lo, s12, v18
	v_add_co_ci_u32_e64 v26, null, s13, v19, vcc_lo
	v_add_co_u32 v27, vcc_lo, s12, v13
	v_add_co_ci_u32_e64 v28, null, s13, v14, vcc_lo
	s_waitcnt vmcnt(0)
	v_subrev_nc_u32_e32 v7, s2, v7
	v_lshl_add_u32 v19, v7, 3, v7
	v_add_nc_u32_e32 v14, 1, v19
	v_lshlrev_b64 v[20:21], 3, v[19:20]
	v_lshlrev_b64 v[29:30], 3, v[14:15]
	v_add_nc_u32_e32 v14, -7, v12
	v_add_co_u32 v20, vcc_lo, s14, v20
	v_add_co_ci_u32_e64 v21, null, s15, v21, vcc_lo
	v_lshlrev_b64 v[31:32], 3, v[14:15]
	v_add_nc_u32_e32 v14, -15, v12
	v_add_co_u32 v29, vcc_lo, s14, v29
	v_add_co_ci_u32_e64 v30, null, s15, v30, vcc_lo
	v_lshlrev_b64 v[33:34], 3, v[14:15]
	v_add_nc_u32_e32 v14, 2, v19
	v_add_co_u32 v31, vcc_lo, s12, v31
	v_add_co_ci_u32_e64 v32, null, s13, v32, vcc_lo
	v_lshlrev_b64 v[35:36], 3, v[14:15]
	v_add_nc_u32_e32 v14, -6, v12
	v_add_co_u32 v33, vcc_lo, s12, v33
	v_add_co_ci_u32_e64 v34, null, s13, v34, vcc_lo
	v_lshlrev_b64 v[37:38], 3, v[14:15]
	v_add_nc_u32_e32 v14, -14, v12
	v_add_co_u32 v35, vcc_lo, s14, v35
	v_add_co_ci_u32_e64 v36, null, s15, v36, vcc_lo
	v_lshlrev_b64 v[39:40], 3, v[14:15]
	v_add_nc_u32_e32 v14, 3, v19
	v_add_co_u32 v37, vcc_lo, s12, v37
	v_add_co_ci_u32_e64 v38, null, s13, v38, vcc_lo
	;; [unrolled: 12-line block ×6, first 2 shown]
	v_lshlrev_b64 v[13:14], 3, v[14:15]
	v_add_co_u32 v63, vcc_lo, s12, v63
	v_add_co_ci_u32_e64 v64, null, s13, v64, vcc_lo
	v_add_co_u32 v65, vcc_lo, s14, v13
	v_add_co_ci_u32_e64 v66, null, s15, v14, vcc_lo
	v_add_nc_u32_e32 v14, -1, v12
	v_lshlrev_b64 v[67:68], 3, v[14:15]
	v_add_nc_u32_e32 v14, -9, v12
	v_add_nc_u32_e32 v12, 0x90, v12
	v_lshlrev_b64 v[69:70], 3, v[14:15]
	v_add_nc_u32_e32 v14, 8, v19
	global_load_dwordx2 v[18:19], v[25:26], off
	global_load_dwordx2 v[25:26], v[20:21], off
	v_add_co_u32 v67, vcc_lo, s12, v67
	v_add_co_ci_u32_e64 v68, null, s13, v68, vcc_lo
	v_lshlrev_b64 v[13:14], 3, v[14:15]
	s_waitcnt vmcnt(0)
	v_fma_f64 v[10:11], v[18:19], v[25:26], v[10:11]
	global_load_dwordx4 v[18:21], v[23:24], off
	s_waitcnt vmcnt(0)
	v_fma_f64 v[7:8], v[18:19], v[25:26], v[8:9]
	global_load_dwordx2 v[18:19], v[29:30], off
	s_clause 0x1
	global_load_dwordx2 v[22:23], v[31:32], off
	global_load_dwordx2 v[24:25], v[33:34], off
	global_load_dwordx2 v[29:30], v[35:36], off
	s_clause 0x1
	global_load_dwordx2 v[31:32], v[37:38], off
	global_load_dwordx2 v[33:34], v[39:40], off
	;; [unrolled: 4-line block ×6, first 2 shown]
	global_load_dwordx2 v[59:60], v[65:66], off
	global_load_dwordx2 v[61:62], v[67:68], off
	s_waitcnt vmcnt(19)
	v_fma_f64 v[7:8], v[20:21], v[18:19], v[7:8]
	v_add_co_u32 v20, vcc_lo, s12, v69
	v_add_co_ci_u32_e64 v21, null, s13, v70, vcc_lo
	v_add_co_u32 v13, vcc_lo, s14, v13
	v_add_co_ci_u32_e64 v14, null, s15, v14, vcc_lo
	s_clause 0x1
	global_load_dwordx2 v[26:27], v[27:28], off
	global_load_dwordx2 v[20:21], v[20:21], off
	;; [unrolled: 1-line block ×3, first 2 shown]
	s_waitcnt vmcnt(21)
	v_fma_f64 v[9:10], v[22:23], v[18:19], v[10:11]
	v_cmp_ge_i32_e32 vcc_lo, v6, v17
	s_or_b32 s0, vcc_lo, s0
	s_waitcnt vmcnt(19)
	v_fma_f64 v[7:8], v[24:25], v[29:30], v[7:8]
	s_waitcnt vmcnt(18)
	v_fma_f64 v[9:10], v[31:32], v[29:30], v[9:10]
	;; [unrolled: 2-line block ×13, first 2 shown]
	v_fma_f64 v[10:11], v[26:27], v[13:14], v[10:11]
	s_andn2_b32 exec_lo, exec_lo, s0
	s_cbranch_execnz .LBB112_15
; %bb.16:
	s_or_b32 exec_lo, exec_lo, s0
.LBB112_17:
	s_or_b32 exec_lo, exec_lo, s1
.LBB112_18:
	v_mbcnt_lo_u32_b32 v14, -1, 0
	v_xor_b32_e32 v6, 4, v14
	v_cmp_gt_i32_e32 vcc_lo, 32, v6
	v_cndmask_b32_e32 v6, v14, v6, vcc_lo
	v_lshlrev_b32_e32 v13, 2, v6
	ds_bpermute_b32 v6, v13, v8
	ds_bpermute_b32 v7, v13, v9
	;; [unrolled: 1-line block ×4, first 2 shown]
	s_waitcnt lgkmcnt(2)
	v_add_f64 v[6:7], v[8:9], v[6:7]
	s_waitcnt lgkmcnt(0)
	v_add_f64 v[8:9], v[10:11], v[12:13]
	v_xor_b32_e32 v10, 2, v14
	v_cmp_gt_i32_e32 vcc_lo, 32, v10
	v_cndmask_b32_e32 v10, v14, v10, vcc_lo
	v_lshlrev_b32_e32 v13, 2, v10
	ds_bpermute_b32 v10, v13, v6
	ds_bpermute_b32 v11, v13, v7
	;; [unrolled: 1-line block ×4, first 2 shown]
	s_waitcnt lgkmcnt(2)
	v_add_f64 v[6:7], v[6:7], v[10:11]
	s_waitcnt lgkmcnt(0)
	v_add_f64 v[10:11], v[8:9], v[12:13]
	v_xor_b32_e32 v8, 1, v14
	v_cmp_gt_i32_e32 vcc_lo, 32, v8
	v_cndmask_b32_e32 v8, v14, v8, vcc_lo
	v_cmp_eq_u32_e32 vcc_lo, 7, v0
	v_lshlrev_b32_e32 v13, 2, v8
	ds_bpermute_b32 v8, v13, v6
	ds_bpermute_b32 v9, v13, v7
	ds_bpermute_b32 v12, v13, v10
	ds_bpermute_b32 v13, v13, v11
	s_and_b32 exec_lo, exec_lo, vcc_lo
	s_cbranch_execz .LBB112_23
; %bb.19:
	s_waitcnt lgkmcnt(2)
	v_add_f64 v[8:9], v[6:7], v[8:9]
	s_waitcnt lgkmcnt(0)
	v_add_f64 v[6:7], v[10:11], v[12:13]
	s_load_dwordx2 s[0:1], s[4:5], 0x38
	s_mov_b32 s2, exec_lo
	v_cmpx_eq_f64_e32 0, v[3:4]
	s_xor_b32 s2, exec_lo, s2
	s_cbranch_execz .LBB112_21
; %bb.20:
	v_lshlrev_b32_e32 v0, 1, v5
	v_mul_f64 v[3:4], v[1:2], v[8:9]
	v_mul_f64 v[5:6], v[1:2], v[6:7]
                                        ; implicit-def: $vgpr8_vgpr9
	v_ashrrev_i32_e32 v1, 31, v0
	v_lshlrev_b64 v[0:1], 3, v[0:1]
	s_waitcnt lgkmcnt(0)
	v_add_co_u32 v0, vcc_lo, s0, v0
	v_add_co_ci_u32_e64 v1, null, s1, v1, vcc_lo
	global_store_dwordx4 v[0:1], v[3:6], off
                                        ; implicit-def: $vgpr5
                                        ; implicit-def: $vgpr1_vgpr2
                                        ; implicit-def: $vgpr3_vgpr4
                                        ; implicit-def: $vgpr6_vgpr7
.LBB112_21:
	s_andn2_saveexec_b32 s2, s2
	s_cbranch_execz .LBB112_23
; %bb.22:
	v_lshlrev_b32_e32 v10, 1, v5
	v_mul_f64 v[8:9], v[1:2], v[8:9]
	v_mul_f64 v[5:6], v[1:2], v[6:7]
	v_ashrrev_i32_e32 v11, 31, v10
	v_lshlrev_b64 v[10:11], 3, v[10:11]
	s_waitcnt lgkmcnt(0)
	v_add_co_u32 v14, vcc_lo, s0, v10
	v_add_co_ci_u32_e64 v15, null, s1, v11, vcc_lo
	global_load_dwordx4 v[10:13], v[14:15], off
	s_waitcnt vmcnt(0)
	v_fma_f64 v[0:1], v[3:4], v[10:11], v[8:9]
	v_fma_f64 v[2:3], v[3:4], v[12:13], v[5:6]
	global_store_dwordx4 v[14:15], v[0:3], off
.LBB112_23:
	s_endpgm
	.section	.rodata,"a",@progbits
	.p2align	6, 0x0
	.amdhsa_kernel _ZN9rocsparseL19gebsrmvn_2xn_kernelILj128ELj9ELj8EdEEvi20rocsparse_direction_NS_24const_host_device_scalarIT2_EEPKiS6_PKS3_S8_S4_PS3_21rocsparse_index_base_b
		.amdhsa_group_segment_fixed_size 0
		.amdhsa_private_segment_fixed_size 0
		.amdhsa_kernarg_size 72
		.amdhsa_user_sgpr_count 6
		.amdhsa_user_sgpr_private_segment_buffer 1
		.amdhsa_user_sgpr_dispatch_ptr 0
		.amdhsa_user_sgpr_queue_ptr 0
		.amdhsa_user_sgpr_kernarg_segment_ptr 1
		.amdhsa_user_sgpr_dispatch_id 0
		.amdhsa_user_sgpr_flat_scratch_init 0
		.amdhsa_user_sgpr_private_segment_size 0
		.amdhsa_wavefront_size32 1
		.amdhsa_uses_dynamic_stack 0
		.amdhsa_system_sgpr_private_segment_wavefront_offset 0
		.amdhsa_system_sgpr_workgroup_id_x 1
		.amdhsa_system_sgpr_workgroup_id_y 0
		.amdhsa_system_sgpr_workgroup_id_z 0
		.amdhsa_system_sgpr_workgroup_info 0
		.amdhsa_system_vgpr_workitem_id 0
		.amdhsa_next_free_vgpr 72
		.amdhsa_next_free_sgpr 16
		.amdhsa_reserve_vcc 1
		.amdhsa_reserve_flat_scratch 0
		.amdhsa_float_round_mode_32 0
		.amdhsa_float_round_mode_16_64 0
		.amdhsa_float_denorm_mode_32 3
		.amdhsa_float_denorm_mode_16_64 3
		.amdhsa_dx10_clamp 1
		.amdhsa_ieee_mode 1
		.amdhsa_fp16_overflow 0
		.amdhsa_workgroup_processor_mode 1
		.amdhsa_memory_ordered 1
		.amdhsa_forward_progress 1
		.amdhsa_shared_vgpr_count 0
		.amdhsa_exception_fp_ieee_invalid_op 0
		.amdhsa_exception_fp_denorm_src 0
		.amdhsa_exception_fp_ieee_div_zero 0
		.amdhsa_exception_fp_ieee_overflow 0
		.amdhsa_exception_fp_ieee_underflow 0
		.amdhsa_exception_fp_ieee_inexact 0
		.amdhsa_exception_int_div_zero 0
	.end_amdhsa_kernel
	.section	.text._ZN9rocsparseL19gebsrmvn_2xn_kernelILj128ELj9ELj8EdEEvi20rocsparse_direction_NS_24const_host_device_scalarIT2_EEPKiS6_PKS3_S8_S4_PS3_21rocsparse_index_base_b,"axG",@progbits,_ZN9rocsparseL19gebsrmvn_2xn_kernelILj128ELj9ELj8EdEEvi20rocsparse_direction_NS_24const_host_device_scalarIT2_EEPKiS6_PKS3_S8_S4_PS3_21rocsparse_index_base_b,comdat
.Lfunc_end112:
	.size	_ZN9rocsparseL19gebsrmvn_2xn_kernelILj128ELj9ELj8EdEEvi20rocsparse_direction_NS_24const_host_device_scalarIT2_EEPKiS6_PKS3_S8_S4_PS3_21rocsparse_index_base_b, .Lfunc_end112-_ZN9rocsparseL19gebsrmvn_2xn_kernelILj128ELj9ELj8EdEEvi20rocsparse_direction_NS_24const_host_device_scalarIT2_EEPKiS6_PKS3_S8_S4_PS3_21rocsparse_index_base_b
                                        ; -- End function
	.set _ZN9rocsparseL19gebsrmvn_2xn_kernelILj128ELj9ELj8EdEEvi20rocsparse_direction_NS_24const_host_device_scalarIT2_EEPKiS6_PKS3_S8_S4_PS3_21rocsparse_index_base_b.num_vgpr, 72
	.set _ZN9rocsparseL19gebsrmvn_2xn_kernelILj128ELj9ELj8EdEEvi20rocsparse_direction_NS_24const_host_device_scalarIT2_EEPKiS6_PKS3_S8_S4_PS3_21rocsparse_index_base_b.num_agpr, 0
	.set _ZN9rocsparseL19gebsrmvn_2xn_kernelILj128ELj9ELj8EdEEvi20rocsparse_direction_NS_24const_host_device_scalarIT2_EEPKiS6_PKS3_S8_S4_PS3_21rocsparse_index_base_b.numbered_sgpr, 16
	.set _ZN9rocsparseL19gebsrmvn_2xn_kernelILj128ELj9ELj8EdEEvi20rocsparse_direction_NS_24const_host_device_scalarIT2_EEPKiS6_PKS3_S8_S4_PS3_21rocsparse_index_base_b.num_named_barrier, 0
	.set _ZN9rocsparseL19gebsrmvn_2xn_kernelILj128ELj9ELj8EdEEvi20rocsparse_direction_NS_24const_host_device_scalarIT2_EEPKiS6_PKS3_S8_S4_PS3_21rocsparse_index_base_b.private_seg_size, 0
	.set _ZN9rocsparseL19gebsrmvn_2xn_kernelILj128ELj9ELj8EdEEvi20rocsparse_direction_NS_24const_host_device_scalarIT2_EEPKiS6_PKS3_S8_S4_PS3_21rocsparse_index_base_b.uses_vcc, 1
	.set _ZN9rocsparseL19gebsrmvn_2xn_kernelILj128ELj9ELj8EdEEvi20rocsparse_direction_NS_24const_host_device_scalarIT2_EEPKiS6_PKS3_S8_S4_PS3_21rocsparse_index_base_b.uses_flat_scratch, 0
	.set _ZN9rocsparseL19gebsrmvn_2xn_kernelILj128ELj9ELj8EdEEvi20rocsparse_direction_NS_24const_host_device_scalarIT2_EEPKiS6_PKS3_S8_S4_PS3_21rocsparse_index_base_b.has_dyn_sized_stack, 0
	.set _ZN9rocsparseL19gebsrmvn_2xn_kernelILj128ELj9ELj8EdEEvi20rocsparse_direction_NS_24const_host_device_scalarIT2_EEPKiS6_PKS3_S8_S4_PS3_21rocsparse_index_base_b.has_recursion, 0
	.set _ZN9rocsparseL19gebsrmvn_2xn_kernelILj128ELj9ELj8EdEEvi20rocsparse_direction_NS_24const_host_device_scalarIT2_EEPKiS6_PKS3_S8_S4_PS3_21rocsparse_index_base_b.has_indirect_call, 0
	.section	.AMDGPU.csdata,"",@progbits
; Kernel info:
; codeLenInByte = 2988
; TotalNumSgprs: 18
; NumVgprs: 72
; ScratchSize: 0
; MemoryBound: 0
; FloatMode: 240
; IeeeMode: 1
; LDSByteSize: 0 bytes/workgroup (compile time only)
; SGPRBlocks: 0
; VGPRBlocks: 8
; NumSGPRsForWavesPerEU: 18
; NumVGPRsForWavesPerEU: 72
; Occupancy: 12
; WaveLimiterHint : 1
; COMPUTE_PGM_RSRC2:SCRATCH_EN: 0
; COMPUTE_PGM_RSRC2:USER_SGPR: 6
; COMPUTE_PGM_RSRC2:TRAP_HANDLER: 0
; COMPUTE_PGM_RSRC2:TGID_X_EN: 1
; COMPUTE_PGM_RSRC2:TGID_Y_EN: 0
; COMPUTE_PGM_RSRC2:TGID_Z_EN: 0
; COMPUTE_PGM_RSRC2:TIDIG_COMP_CNT: 0
	.section	.text._ZN9rocsparseL19gebsrmvn_2xn_kernelILj128ELj9ELj16EdEEvi20rocsparse_direction_NS_24const_host_device_scalarIT2_EEPKiS6_PKS3_S8_S4_PS3_21rocsparse_index_base_b,"axG",@progbits,_ZN9rocsparseL19gebsrmvn_2xn_kernelILj128ELj9ELj16EdEEvi20rocsparse_direction_NS_24const_host_device_scalarIT2_EEPKiS6_PKS3_S8_S4_PS3_21rocsparse_index_base_b,comdat
	.globl	_ZN9rocsparseL19gebsrmvn_2xn_kernelILj128ELj9ELj16EdEEvi20rocsparse_direction_NS_24const_host_device_scalarIT2_EEPKiS6_PKS3_S8_S4_PS3_21rocsparse_index_base_b ; -- Begin function _ZN9rocsparseL19gebsrmvn_2xn_kernelILj128ELj9ELj16EdEEvi20rocsparse_direction_NS_24const_host_device_scalarIT2_EEPKiS6_PKS3_S8_S4_PS3_21rocsparse_index_base_b
	.p2align	8
	.type	_ZN9rocsparseL19gebsrmvn_2xn_kernelILj128ELj9ELj16EdEEvi20rocsparse_direction_NS_24const_host_device_scalarIT2_EEPKiS6_PKS3_S8_S4_PS3_21rocsparse_index_base_b,@function
_ZN9rocsparseL19gebsrmvn_2xn_kernelILj128ELj9ELj16EdEEvi20rocsparse_direction_NS_24const_host_device_scalarIT2_EEPKiS6_PKS3_S8_S4_PS3_21rocsparse_index_base_b: ; @_ZN9rocsparseL19gebsrmvn_2xn_kernelILj128ELj9ELj16EdEEvi20rocsparse_direction_NS_24const_host_device_scalarIT2_EEPKiS6_PKS3_S8_S4_PS3_21rocsparse_index_base_b
; %bb.0:
	s_clause 0x2
	s_load_dwordx2 s[2:3], s[4:5], 0x40
	s_load_dwordx2 s[8:9], s[4:5], 0x8
	;; [unrolled: 1-line block ×3, first 2 shown]
	s_waitcnt lgkmcnt(0)
	s_bitcmp1_b32 s3, 0
	v_mov_b32_e32 v1, s8
	v_mov_b32_e32 v2, s9
	s_cselect_b32 s3, -1, 0
	s_and_b32 vcc_lo, exec_lo, s3
	s_xor_b32 s3, s3, -1
	s_cbranch_vccnz .LBB113_2
; %bb.1:
	v_mov_b32_e32 v1, s8
	v_mov_b32_e32 v2, s9
	flat_load_dwordx2 v[1:2], v[1:2]
.LBB113_2:
	v_mov_b32_e32 v4, s1
	v_mov_b32_e32 v3, s0
	s_andn2_b32 vcc_lo, exec_lo, s3
	s_cbranch_vccnz .LBB113_4
; %bb.3:
	v_mov_b32_e32 v4, s1
	v_mov_b32_e32 v3, s0
	flat_load_dwordx2 v[3:4], v[3:4]
.LBB113_4:
	s_waitcnt vmcnt(0) lgkmcnt(0)
	v_cmp_neq_f64_e32 vcc_lo, 0, v[1:2]
	v_cmp_neq_f64_e64 s0, 1.0, v[3:4]
	s_or_b32 s0, vcc_lo, s0
	s_and_saveexec_b32 s1, s0
	s_cbranch_execz .LBB113_23
; %bb.5:
	s_load_dwordx2 s[0:1], s[4:5], 0x0
	v_lshrrev_b32_e32 v5, 4, v0
	v_lshl_or_b32 v5, s6, 3, v5
	s_waitcnt lgkmcnt(0)
	v_cmp_gt_i32_e32 vcc_lo, s0, v5
	s_and_b32 exec_lo, exec_lo, vcc_lo
	s_cbranch_execz .LBB113_23
; %bb.6:
	s_load_dwordx8 s[8:15], s[4:5], 0x10
	v_ashrrev_i32_e32 v6, 31, v5
	v_and_b32_e32 v0, 15, v0
	s_cmp_lg_u32 s1, 0
	v_lshlrev_b64 v[6:7], 2, v[5:6]
	s_waitcnt lgkmcnt(0)
	v_add_co_u32 v6, vcc_lo, s8, v6
	v_add_co_ci_u32_e64 v7, null, s9, v7, vcc_lo
	global_load_dwordx2 v[6:7], v[6:7], off
	s_waitcnt vmcnt(0)
	v_subrev_nc_u32_e32 v6, s2, v6
	v_subrev_nc_u32_e32 v17, s2, v7
	v_add_nc_u32_e32 v6, v6, v0
	v_cmp_lt_i32_e64 s0, v6, v17
	s_cbranch_scc0 .LBB113_12
; %bb.7:
	v_mov_b32_e32 v8, 0
	v_mov_b32_e32 v10, 0
	;; [unrolled: 1-line block ×4, first 2 shown]
	s_and_saveexec_b32 s3, s0
	s_cbranch_execz .LBB113_11
; %bb.8:
	v_mad_u64_u32 v[12:13], null, v6, 18, 16
	v_mov_b32_e32 v8, 0
	v_mov_b32_e32 v10, 0
	;; [unrolled: 1-line block ×6, first 2 shown]
	s_mov_b32 s6, 0
.LBB113_9:                              ; =>This Inner Loop Header: Depth=1
	v_ashrrev_i32_e32 v16, 31, v15
	v_add_nc_u32_e32 v13, -16, v12
	v_mov_b32_e32 v51, v14
	v_lshlrev_b64 v[18:19], 2, v[15:16]
	v_add_nc_u32_e32 v15, 16, v15
	v_add_co_u32 v18, vcc_lo, s10, v18
	v_add_co_ci_u32_e64 v19, null, s11, v19, vcc_lo
	global_load_dword v7, v[18:19], off
	v_lshlrev_b64 v[18:19], 3, v[13:14]
	v_add_nc_u32_e32 v13, -14, v12
	v_lshlrev_b64 v[20:21], 3, v[13:14]
	v_add_co_u32 v18, vcc_lo, s12, v18
	v_add_co_ci_u32_e64 v19, null, s13, v19, vcc_lo
	v_add_co_u32 v22, vcc_lo, s12, v20
	s_waitcnt vmcnt(0)
	v_subrev_nc_u32_e32 v7, s2, v7
	v_lshl_add_u32 v50, v7, 3, v7
	v_lshlrev_b64 v[23:24], 3, v[50:51]
	v_add_nc_u32_e32 v13, 1, v50
	v_add_co_u32 v26, s1, s14, v23
	v_add_co_ci_u32_e64 v23, null, s13, v21, vcc_lo
	v_add_co_ci_u32_e64 v27, null, s15, v24, s1
	s_clause 0x1
	global_load_dwordx4 v[18:21], v[18:19], off
	global_load_dwordx4 v[22:25], v[22:23], off
	global_load_dwordx2 v[54:55], v[26:27], off
	v_lshlrev_b64 v[26:27], 3, v[13:14]
	v_add_nc_u32_e32 v13, -12, v12
	v_lshlrev_b64 v[28:29], 3, v[13:14]
	v_add_co_u32 v26, vcc_lo, s14, v26
	v_add_co_ci_u32_e64 v27, null, s15, v27, vcc_lo
	v_add_nc_u32_e32 v13, 2, v50
	v_add_co_u32 v28, vcc_lo, s12, v28
	global_load_dwordx2 v[56:57], v[26:27], off
	v_add_co_ci_u32_e64 v29, null, s13, v29, vcc_lo
	v_lshlrev_b64 v[26:27], 3, v[13:14]
	v_add_nc_u32_e32 v13, -10, v12
	v_add_co_u32 v30, vcc_lo, s14, v26
	v_add_co_ci_u32_e64 v31, null, s15, v27, vcc_lo
	global_load_dwordx4 v[26:29], v[28:29], off
	global_load_dwordx2 v[58:59], v[30:31], off
	v_lshlrev_b64 v[32:33], 3, v[13:14]
	v_add_nc_u32_e32 v13, 3, v50
	v_lshlrev_b64 v[30:31], 3, v[13:14]
	v_add_co_u32 v32, vcc_lo, s12, v32
	v_add_co_ci_u32_e64 v33, null, s13, v33, vcc_lo
	v_add_nc_u32_e32 v13, -8, v12
	v_add_co_u32 v34, vcc_lo, s14, v30
	v_add_co_ci_u32_e64 v35, null, s15, v31, vcc_lo
	global_load_dwordx4 v[30:33], v[32:33], off
	global_load_dwordx2 v[60:61], v[34:35], off
	v_lshlrev_b64 v[36:37], 3, v[13:14]
	v_add_nc_u32_e32 v13, 4, v50
	v_lshlrev_b64 v[34:35], 3, v[13:14]
	v_add_co_u32 v36, vcc_lo, s12, v36
	v_add_co_ci_u32_e64 v37, null, s13, v37, vcc_lo
	;; [unrolled: 10-line block ×5, first 2 shown]
	v_mov_b32_e32 v13, v14
	v_add_co_u32 v51, vcc_lo, s14, v48
	v_add_co_ci_u32_e64 v52, null, s15, v49, vcc_lo
	global_load_dwordx4 v[46:49], v[46:47], off
	global_load_dwordx2 v[68:69], v[51:52], off
	v_lshlrev_b64 v[51:52], 3, v[12:13]
	v_add_nc_u32_e32 v13, 8, v50
	v_add_nc_u32_e32 v12, 0x120, v12
	v_lshlrev_b64 v[70:71], 3, v[13:14]
	v_add_co_u32 v50, vcc_lo, s12, v51
	v_add_co_ci_u32_e64 v51, null, s13, v52, vcc_lo
	v_add_co_u32 v70, vcc_lo, s14, v70
	v_add_co_ci_u32_e64 v71, null, s15, v71, vcc_lo
	global_load_dwordx4 v[50:53], v[50:51], off
	global_load_dwordx2 v[70:71], v[70:71], off
	v_cmp_ge_i32_e32 vcc_lo, v15, v17
	s_or_b32 s6, vcc_lo, s6
	s_waitcnt vmcnt(15)
	v_fma_f64 v[7:8], v[18:19], v[54:55], v[8:9]
	v_fma_f64 v[9:10], v[20:21], v[54:55], v[10:11]
	s_waitcnt vmcnt(14)
	v_fma_f64 v[7:8], v[22:23], v[56:57], v[7:8]
	v_fma_f64 v[9:10], v[24:25], v[56:57], v[9:10]
	;; [unrolled: 3-line block ×9, first 2 shown]
	s_andn2_b32 exec_lo, exec_lo, s6
	s_cbranch_execnz .LBB113_9
; %bb.10:
	s_or_b32 exec_lo, exec_lo, s6
.LBB113_11:
	s_or_b32 exec_lo, exec_lo, s3
	s_cbranch_execz .LBB113_13
	s_branch .LBB113_18
.LBB113_12:
                                        ; implicit-def: $vgpr8_vgpr9
                                        ; implicit-def: $vgpr10_vgpr11
.LBB113_13:
	v_mov_b32_e32 v8, 0
	v_mov_b32_e32 v10, 0
	v_mov_b32_e32 v9, 0
	v_mov_b32_e32 v11, 0
	s_and_saveexec_b32 s1, s0
	s_cbranch_execz .LBB113_17
; %bb.14:
	v_mad_u64_u32 v[12:13], null, v6, 18, 17
	v_mov_b32_e32 v8, 0
	v_mov_b32_e32 v10, 0
	;; [unrolled: 1-line block ×5, first 2 shown]
	s_mov_b32 s0, 0
.LBB113_15:                             ; =>This Inner Loop Header: Depth=1
	v_ashrrev_i32_e32 v7, 31, v6
	v_subrev_nc_u32_e32 v14, 17, v12
	v_add_nc_u32_e32 v18, -8, v12
	v_mov_b32_e32 v19, v15
	v_mov_b32_e32 v13, v15
	v_lshlrev_b64 v[21:22], 2, v[6:7]
	v_lshlrev_b64 v[23:24], 3, v[14:15]
	v_mov_b32_e32 v20, v15
	v_lshlrev_b64 v[18:19], 3, v[18:19]
	v_lshlrev_b64 v[13:14], 3, v[12:13]
	v_add_nc_u32_e32 v6, 16, v6
	v_add_co_u32 v21, vcc_lo, s10, v21
	v_add_co_ci_u32_e64 v22, null, s11, v22, vcc_lo
	v_add_co_u32 v23, vcc_lo, s12, v23
	v_add_co_ci_u32_e64 v24, null, s13, v24, vcc_lo
	global_load_dword v7, v[21:22], off
	v_add_co_u32 v25, vcc_lo, s12, v18
	v_add_co_ci_u32_e64 v26, null, s13, v19, vcc_lo
	v_add_co_u32 v27, vcc_lo, s12, v13
	v_add_co_ci_u32_e64 v28, null, s13, v14, vcc_lo
	s_waitcnt vmcnt(0)
	v_subrev_nc_u32_e32 v7, s2, v7
	v_lshl_add_u32 v19, v7, 3, v7
	v_add_nc_u32_e32 v14, 1, v19
	v_lshlrev_b64 v[20:21], 3, v[19:20]
	v_lshlrev_b64 v[29:30], 3, v[14:15]
	v_add_nc_u32_e32 v14, -7, v12
	v_add_co_u32 v20, vcc_lo, s14, v20
	v_add_co_ci_u32_e64 v21, null, s15, v21, vcc_lo
	v_lshlrev_b64 v[31:32], 3, v[14:15]
	v_add_nc_u32_e32 v14, -15, v12
	v_add_co_u32 v29, vcc_lo, s14, v29
	v_add_co_ci_u32_e64 v30, null, s15, v30, vcc_lo
	v_lshlrev_b64 v[33:34], 3, v[14:15]
	v_add_nc_u32_e32 v14, 2, v19
	v_add_co_u32 v31, vcc_lo, s12, v31
	v_add_co_ci_u32_e64 v32, null, s13, v32, vcc_lo
	v_lshlrev_b64 v[35:36], 3, v[14:15]
	v_add_nc_u32_e32 v14, -6, v12
	v_add_co_u32 v33, vcc_lo, s12, v33
	v_add_co_ci_u32_e64 v34, null, s13, v34, vcc_lo
	v_lshlrev_b64 v[37:38], 3, v[14:15]
	v_add_nc_u32_e32 v14, -14, v12
	v_add_co_u32 v35, vcc_lo, s14, v35
	v_add_co_ci_u32_e64 v36, null, s15, v36, vcc_lo
	v_lshlrev_b64 v[39:40], 3, v[14:15]
	v_add_nc_u32_e32 v14, 3, v19
	v_add_co_u32 v37, vcc_lo, s12, v37
	v_add_co_ci_u32_e64 v38, null, s13, v38, vcc_lo
	;; [unrolled: 12-line block ×6, first 2 shown]
	v_lshlrev_b64 v[13:14], 3, v[14:15]
	v_add_co_u32 v63, vcc_lo, s12, v63
	v_add_co_ci_u32_e64 v64, null, s13, v64, vcc_lo
	v_add_co_u32 v65, vcc_lo, s14, v13
	v_add_co_ci_u32_e64 v66, null, s15, v14, vcc_lo
	v_add_nc_u32_e32 v14, -1, v12
	v_lshlrev_b64 v[67:68], 3, v[14:15]
	v_add_nc_u32_e32 v14, -9, v12
	v_add_nc_u32_e32 v12, 0x120, v12
	v_lshlrev_b64 v[69:70], 3, v[14:15]
	v_add_nc_u32_e32 v14, 8, v19
	global_load_dwordx2 v[18:19], v[25:26], off
	global_load_dwordx2 v[25:26], v[20:21], off
	v_add_co_u32 v67, vcc_lo, s12, v67
	v_add_co_ci_u32_e64 v68, null, s13, v68, vcc_lo
	v_lshlrev_b64 v[13:14], 3, v[14:15]
	s_waitcnt vmcnt(0)
	v_fma_f64 v[10:11], v[18:19], v[25:26], v[10:11]
	global_load_dwordx4 v[18:21], v[23:24], off
	s_waitcnt vmcnt(0)
	v_fma_f64 v[7:8], v[18:19], v[25:26], v[8:9]
	global_load_dwordx2 v[18:19], v[29:30], off
	s_clause 0x1
	global_load_dwordx2 v[22:23], v[31:32], off
	global_load_dwordx2 v[24:25], v[33:34], off
	global_load_dwordx2 v[29:30], v[35:36], off
	s_clause 0x1
	global_load_dwordx2 v[31:32], v[37:38], off
	global_load_dwordx2 v[33:34], v[39:40], off
	;; [unrolled: 4-line block ×6, first 2 shown]
	global_load_dwordx2 v[59:60], v[65:66], off
	global_load_dwordx2 v[61:62], v[67:68], off
	s_waitcnt vmcnt(19)
	v_fma_f64 v[7:8], v[20:21], v[18:19], v[7:8]
	v_add_co_u32 v20, vcc_lo, s12, v69
	v_add_co_ci_u32_e64 v21, null, s13, v70, vcc_lo
	v_add_co_u32 v13, vcc_lo, s14, v13
	v_add_co_ci_u32_e64 v14, null, s15, v14, vcc_lo
	s_clause 0x1
	global_load_dwordx2 v[26:27], v[27:28], off
	global_load_dwordx2 v[20:21], v[20:21], off
	;; [unrolled: 1-line block ×3, first 2 shown]
	s_waitcnt vmcnt(21)
	v_fma_f64 v[9:10], v[22:23], v[18:19], v[10:11]
	v_cmp_ge_i32_e32 vcc_lo, v6, v17
	s_or_b32 s0, vcc_lo, s0
	s_waitcnt vmcnt(19)
	v_fma_f64 v[7:8], v[24:25], v[29:30], v[7:8]
	s_waitcnt vmcnt(18)
	v_fma_f64 v[9:10], v[31:32], v[29:30], v[9:10]
	;; [unrolled: 2-line block ×13, first 2 shown]
	v_fma_f64 v[10:11], v[26:27], v[13:14], v[10:11]
	s_andn2_b32 exec_lo, exec_lo, s0
	s_cbranch_execnz .LBB113_15
; %bb.16:
	s_or_b32 exec_lo, exec_lo, s0
.LBB113_17:
	s_or_b32 exec_lo, exec_lo, s1
.LBB113_18:
	v_mbcnt_lo_u32_b32 v14, -1, 0
	v_xor_b32_e32 v6, 8, v14
	v_cmp_gt_i32_e32 vcc_lo, 32, v6
	v_cndmask_b32_e32 v6, v14, v6, vcc_lo
	v_lshlrev_b32_e32 v13, 2, v6
	ds_bpermute_b32 v6, v13, v8
	ds_bpermute_b32 v7, v13, v9
	;; [unrolled: 1-line block ×4, first 2 shown]
	s_waitcnt lgkmcnt(2)
	v_add_f64 v[6:7], v[8:9], v[6:7]
	s_waitcnt lgkmcnt(0)
	v_add_f64 v[8:9], v[10:11], v[12:13]
	v_xor_b32_e32 v10, 4, v14
	v_cmp_gt_i32_e32 vcc_lo, 32, v10
	v_cndmask_b32_e32 v10, v14, v10, vcc_lo
	v_lshlrev_b32_e32 v13, 2, v10
	ds_bpermute_b32 v10, v13, v6
	ds_bpermute_b32 v11, v13, v7
	;; [unrolled: 1-line block ×4, first 2 shown]
	s_waitcnt lgkmcnt(2)
	v_add_f64 v[6:7], v[6:7], v[10:11]
	v_xor_b32_e32 v10, 2, v14
	s_waitcnt lgkmcnt(0)
	v_add_f64 v[8:9], v[8:9], v[12:13]
	v_cmp_gt_i32_e32 vcc_lo, 32, v10
	v_cndmask_b32_e32 v10, v14, v10, vcc_lo
	v_lshlrev_b32_e32 v13, 2, v10
	ds_bpermute_b32 v10, v13, v6
	ds_bpermute_b32 v11, v13, v7
	;; [unrolled: 1-line block ×4, first 2 shown]
	s_waitcnt lgkmcnt(2)
	v_add_f64 v[6:7], v[6:7], v[10:11]
	s_waitcnt lgkmcnt(0)
	v_add_f64 v[10:11], v[8:9], v[12:13]
	v_xor_b32_e32 v8, 1, v14
	v_cmp_gt_i32_e32 vcc_lo, 32, v8
	v_cndmask_b32_e32 v8, v14, v8, vcc_lo
	v_cmp_eq_u32_e32 vcc_lo, 15, v0
	v_lshlrev_b32_e32 v13, 2, v8
	ds_bpermute_b32 v8, v13, v6
	ds_bpermute_b32 v9, v13, v7
	ds_bpermute_b32 v12, v13, v10
	ds_bpermute_b32 v13, v13, v11
	s_and_b32 exec_lo, exec_lo, vcc_lo
	s_cbranch_execz .LBB113_23
; %bb.19:
	s_waitcnt lgkmcnt(2)
	v_add_f64 v[8:9], v[6:7], v[8:9]
	s_waitcnt lgkmcnt(0)
	v_add_f64 v[6:7], v[10:11], v[12:13]
	s_load_dwordx2 s[0:1], s[4:5], 0x38
	s_mov_b32 s2, exec_lo
	v_cmpx_eq_f64_e32 0, v[3:4]
	s_xor_b32 s2, exec_lo, s2
	s_cbranch_execz .LBB113_21
; %bb.20:
	v_lshlrev_b32_e32 v0, 1, v5
	v_mul_f64 v[3:4], v[1:2], v[8:9]
	v_mul_f64 v[5:6], v[1:2], v[6:7]
                                        ; implicit-def: $vgpr8_vgpr9
	v_ashrrev_i32_e32 v1, 31, v0
	v_lshlrev_b64 v[0:1], 3, v[0:1]
	s_waitcnt lgkmcnt(0)
	v_add_co_u32 v0, vcc_lo, s0, v0
	v_add_co_ci_u32_e64 v1, null, s1, v1, vcc_lo
	global_store_dwordx4 v[0:1], v[3:6], off
                                        ; implicit-def: $vgpr5
                                        ; implicit-def: $vgpr1_vgpr2
                                        ; implicit-def: $vgpr3_vgpr4
                                        ; implicit-def: $vgpr6_vgpr7
.LBB113_21:
	s_andn2_saveexec_b32 s2, s2
	s_cbranch_execz .LBB113_23
; %bb.22:
	v_lshlrev_b32_e32 v10, 1, v5
	v_mul_f64 v[8:9], v[1:2], v[8:9]
	v_mul_f64 v[5:6], v[1:2], v[6:7]
	v_ashrrev_i32_e32 v11, 31, v10
	v_lshlrev_b64 v[10:11], 3, v[10:11]
	s_waitcnt lgkmcnt(0)
	v_add_co_u32 v14, vcc_lo, s0, v10
	v_add_co_ci_u32_e64 v15, null, s1, v11, vcc_lo
	global_load_dwordx4 v[10:13], v[14:15], off
	s_waitcnt vmcnt(0)
	v_fma_f64 v[0:1], v[3:4], v[10:11], v[8:9]
	v_fma_f64 v[2:3], v[3:4], v[12:13], v[5:6]
	global_store_dwordx4 v[14:15], v[0:3], off
.LBB113_23:
	s_endpgm
	.section	.rodata,"a",@progbits
	.p2align	6, 0x0
	.amdhsa_kernel _ZN9rocsparseL19gebsrmvn_2xn_kernelILj128ELj9ELj16EdEEvi20rocsparse_direction_NS_24const_host_device_scalarIT2_EEPKiS6_PKS3_S8_S4_PS3_21rocsparse_index_base_b
		.amdhsa_group_segment_fixed_size 0
		.amdhsa_private_segment_fixed_size 0
		.amdhsa_kernarg_size 72
		.amdhsa_user_sgpr_count 6
		.amdhsa_user_sgpr_private_segment_buffer 1
		.amdhsa_user_sgpr_dispatch_ptr 0
		.amdhsa_user_sgpr_queue_ptr 0
		.amdhsa_user_sgpr_kernarg_segment_ptr 1
		.amdhsa_user_sgpr_dispatch_id 0
		.amdhsa_user_sgpr_flat_scratch_init 0
		.amdhsa_user_sgpr_private_segment_size 0
		.amdhsa_wavefront_size32 1
		.amdhsa_uses_dynamic_stack 0
		.amdhsa_system_sgpr_private_segment_wavefront_offset 0
		.amdhsa_system_sgpr_workgroup_id_x 1
		.amdhsa_system_sgpr_workgroup_id_y 0
		.amdhsa_system_sgpr_workgroup_id_z 0
		.amdhsa_system_sgpr_workgroup_info 0
		.amdhsa_system_vgpr_workitem_id 0
		.amdhsa_next_free_vgpr 72
		.amdhsa_next_free_sgpr 16
		.amdhsa_reserve_vcc 1
		.amdhsa_reserve_flat_scratch 0
		.amdhsa_float_round_mode_32 0
		.amdhsa_float_round_mode_16_64 0
		.amdhsa_float_denorm_mode_32 3
		.amdhsa_float_denorm_mode_16_64 3
		.amdhsa_dx10_clamp 1
		.amdhsa_ieee_mode 1
		.amdhsa_fp16_overflow 0
		.amdhsa_workgroup_processor_mode 1
		.amdhsa_memory_ordered 1
		.amdhsa_forward_progress 1
		.amdhsa_shared_vgpr_count 0
		.amdhsa_exception_fp_ieee_invalid_op 0
		.amdhsa_exception_fp_denorm_src 0
		.amdhsa_exception_fp_ieee_div_zero 0
		.amdhsa_exception_fp_ieee_overflow 0
		.amdhsa_exception_fp_ieee_underflow 0
		.amdhsa_exception_fp_ieee_inexact 0
		.amdhsa_exception_int_div_zero 0
	.end_amdhsa_kernel
	.section	.text._ZN9rocsparseL19gebsrmvn_2xn_kernelILj128ELj9ELj16EdEEvi20rocsparse_direction_NS_24const_host_device_scalarIT2_EEPKiS6_PKS3_S8_S4_PS3_21rocsparse_index_base_b,"axG",@progbits,_ZN9rocsparseL19gebsrmvn_2xn_kernelILj128ELj9ELj16EdEEvi20rocsparse_direction_NS_24const_host_device_scalarIT2_EEPKiS6_PKS3_S8_S4_PS3_21rocsparse_index_base_b,comdat
.Lfunc_end113:
	.size	_ZN9rocsparseL19gebsrmvn_2xn_kernelILj128ELj9ELj16EdEEvi20rocsparse_direction_NS_24const_host_device_scalarIT2_EEPKiS6_PKS3_S8_S4_PS3_21rocsparse_index_base_b, .Lfunc_end113-_ZN9rocsparseL19gebsrmvn_2xn_kernelILj128ELj9ELj16EdEEvi20rocsparse_direction_NS_24const_host_device_scalarIT2_EEPKiS6_PKS3_S8_S4_PS3_21rocsparse_index_base_b
                                        ; -- End function
	.set _ZN9rocsparseL19gebsrmvn_2xn_kernelILj128ELj9ELj16EdEEvi20rocsparse_direction_NS_24const_host_device_scalarIT2_EEPKiS6_PKS3_S8_S4_PS3_21rocsparse_index_base_b.num_vgpr, 72
	.set _ZN9rocsparseL19gebsrmvn_2xn_kernelILj128ELj9ELj16EdEEvi20rocsparse_direction_NS_24const_host_device_scalarIT2_EEPKiS6_PKS3_S8_S4_PS3_21rocsparse_index_base_b.num_agpr, 0
	.set _ZN9rocsparseL19gebsrmvn_2xn_kernelILj128ELj9ELj16EdEEvi20rocsparse_direction_NS_24const_host_device_scalarIT2_EEPKiS6_PKS3_S8_S4_PS3_21rocsparse_index_base_b.numbered_sgpr, 16
	.set _ZN9rocsparseL19gebsrmvn_2xn_kernelILj128ELj9ELj16EdEEvi20rocsparse_direction_NS_24const_host_device_scalarIT2_EEPKiS6_PKS3_S8_S4_PS3_21rocsparse_index_base_b.num_named_barrier, 0
	.set _ZN9rocsparseL19gebsrmvn_2xn_kernelILj128ELj9ELj16EdEEvi20rocsparse_direction_NS_24const_host_device_scalarIT2_EEPKiS6_PKS3_S8_S4_PS3_21rocsparse_index_base_b.private_seg_size, 0
	.set _ZN9rocsparseL19gebsrmvn_2xn_kernelILj128ELj9ELj16EdEEvi20rocsparse_direction_NS_24const_host_device_scalarIT2_EEPKiS6_PKS3_S8_S4_PS3_21rocsparse_index_base_b.uses_vcc, 1
	.set _ZN9rocsparseL19gebsrmvn_2xn_kernelILj128ELj9ELj16EdEEvi20rocsparse_direction_NS_24const_host_device_scalarIT2_EEPKiS6_PKS3_S8_S4_PS3_21rocsparse_index_base_b.uses_flat_scratch, 0
	.set _ZN9rocsparseL19gebsrmvn_2xn_kernelILj128ELj9ELj16EdEEvi20rocsparse_direction_NS_24const_host_device_scalarIT2_EEPKiS6_PKS3_S8_S4_PS3_21rocsparse_index_base_b.has_dyn_sized_stack, 0
	.set _ZN9rocsparseL19gebsrmvn_2xn_kernelILj128ELj9ELj16EdEEvi20rocsparse_direction_NS_24const_host_device_scalarIT2_EEPKiS6_PKS3_S8_S4_PS3_21rocsparse_index_base_b.has_recursion, 0
	.set _ZN9rocsparseL19gebsrmvn_2xn_kernelILj128ELj9ELj16EdEEvi20rocsparse_direction_NS_24const_host_device_scalarIT2_EEPKiS6_PKS3_S8_S4_PS3_21rocsparse_index_base_b.has_indirect_call, 0
	.section	.AMDGPU.csdata,"",@progbits
; Kernel info:
; codeLenInByte = 3060
; TotalNumSgprs: 18
; NumVgprs: 72
; ScratchSize: 0
; MemoryBound: 0
; FloatMode: 240
; IeeeMode: 1
; LDSByteSize: 0 bytes/workgroup (compile time only)
; SGPRBlocks: 0
; VGPRBlocks: 8
; NumSGPRsForWavesPerEU: 18
; NumVGPRsForWavesPerEU: 72
; Occupancy: 12
; WaveLimiterHint : 1
; COMPUTE_PGM_RSRC2:SCRATCH_EN: 0
; COMPUTE_PGM_RSRC2:USER_SGPR: 6
; COMPUTE_PGM_RSRC2:TRAP_HANDLER: 0
; COMPUTE_PGM_RSRC2:TGID_X_EN: 1
; COMPUTE_PGM_RSRC2:TGID_Y_EN: 0
; COMPUTE_PGM_RSRC2:TGID_Z_EN: 0
; COMPUTE_PGM_RSRC2:TIDIG_COMP_CNT: 0
	.section	.text._ZN9rocsparseL19gebsrmvn_2xn_kernelILj128ELj9ELj32EdEEvi20rocsparse_direction_NS_24const_host_device_scalarIT2_EEPKiS6_PKS3_S8_S4_PS3_21rocsparse_index_base_b,"axG",@progbits,_ZN9rocsparseL19gebsrmvn_2xn_kernelILj128ELj9ELj32EdEEvi20rocsparse_direction_NS_24const_host_device_scalarIT2_EEPKiS6_PKS3_S8_S4_PS3_21rocsparse_index_base_b,comdat
	.globl	_ZN9rocsparseL19gebsrmvn_2xn_kernelILj128ELj9ELj32EdEEvi20rocsparse_direction_NS_24const_host_device_scalarIT2_EEPKiS6_PKS3_S8_S4_PS3_21rocsparse_index_base_b ; -- Begin function _ZN9rocsparseL19gebsrmvn_2xn_kernelILj128ELj9ELj32EdEEvi20rocsparse_direction_NS_24const_host_device_scalarIT2_EEPKiS6_PKS3_S8_S4_PS3_21rocsparse_index_base_b
	.p2align	8
	.type	_ZN9rocsparseL19gebsrmvn_2xn_kernelILj128ELj9ELj32EdEEvi20rocsparse_direction_NS_24const_host_device_scalarIT2_EEPKiS6_PKS3_S8_S4_PS3_21rocsparse_index_base_b,@function
_ZN9rocsparseL19gebsrmvn_2xn_kernelILj128ELj9ELj32EdEEvi20rocsparse_direction_NS_24const_host_device_scalarIT2_EEPKiS6_PKS3_S8_S4_PS3_21rocsparse_index_base_b: ; @_ZN9rocsparseL19gebsrmvn_2xn_kernelILj128ELj9ELj32EdEEvi20rocsparse_direction_NS_24const_host_device_scalarIT2_EEPKiS6_PKS3_S8_S4_PS3_21rocsparse_index_base_b
; %bb.0:
	s_clause 0x2
	s_load_dwordx2 s[2:3], s[4:5], 0x40
	s_load_dwordx2 s[8:9], s[4:5], 0x8
	;; [unrolled: 1-line block ×3, first 2 shown]
	s_waitcnt lgkmcnt(0)
	s_bitcmp1_b32 s3, 0
	v_mov_b32_e32 v1, s8
	v_mov_b32_e32 v2, s9
	s_cselect_b32 s3, -1, 0
	s_and_b32 vcc_lo, exec_lo, s3
	s_xor_b32 s3, s3, -1
	s_cbranch_vccnz .LBB114_2
; %bb.1:
	v_mov_b32_e32 v1, s8
	v_mov_b32_e32 v2, s9
	flat_load_dwordx2 v[1:2], v[1:2]
.LBB114_2:
	v_mov_b32_e32 v4, s1
	v_mov_b32_e32 v3, s0
	s_andn2_b32 vcc_lo, exec_lo, s3
	s_cbranch_vccnz .LBB114_4
; %bb.3:
	v_mov_b32_e32 v4, s1
	v_mov_b32_e32 v3, s0
	flat_load_dwordx2 v[3:4], v[3:4]
.LBB114_4:
	s_waitcnt vmcnt(0) lgkmcnt(0)
	v_cmp_neq_f64_e32 vcc_lo, 0, v[1:2]
	v_cmp_neq_f64_e64 s0, 1.0, v[3:4]
	s_or_b32 s0, vcc_lo, s0
	s_and_saveexec_b32 s1, s0
	s_cbranch_execz .LBB114_23
; %bb.5:
	s_load_dwordx2 s[0:1], s[4:5], 0x0
	v_lshrrev_b32_e32 v5, 5, v0
	v_lshl_or_b32 v5, s6, 2, v5
	s_waitcnt lgkmcnt(0)
	v_cmp_gt_i32_e32 vcc_lo, s0, v5
	s_and_b32 exec_lo, exec_lo, vcc_lo
	s_cbranch_execz .LBB114_23
; %bb.6:
	s_load_dwordx8 s[8:15], s[4:5], 0x10
	v_ashrrev_i32_e32 v6, 31, v5
	v_and_b32_e32 v0, 31, v0
	s_cmp_lg_u32 s1, 0
	v_lshlrev_b64 v[6:7], 2, v[5:6]
	s_waitcnt lgkmcnt(0)
	v_add_co_u32 v6, vcc_lo, s8, v6
	v_add_co_ci_u32_e64 v7, null, s9, v7, vcc_lo
	global_load_dwordx2 v[6:7], v[6:7], off
	s_waitcnt vmcnt(0)
	v_subrev_nc_u32_e32 v6, s2, v6
	v_subrev_nc_u32_e32 v17, s2, v7
	v_add_nc_u32_e32 v6, v6, v0
	v_cmp_lt_i32_e64 s0, v6, v17
	s_cbranch_scc0 .LBB114_12
; %bb.7:
	v_mov_b32_e32 v8, 0
	v_mov_b32_e32 v10, 0
	;; [unrolled: 1-line block ×4, first 2 shown]
	s_and_saveexec_b32 s3, s0
	s_cbranch_execz .LBB114_11
; %bb.8:
	v_mad_u64_u32 v[12:13], null, v6, 18, 16
	v_mov_b32_e32 v8, 0
	v_mov_b32_e32 v10, 0
	;; [unrolled: 1-line block ×6, first 2 shown]
	s_mov_b32 s6, 0
.LBB114_9:                              ; =>This Inner Loop Header: Depth=1
	v_ashrrev_i32_e32 v16, 31, v15
	v_add_nc_u32_e32 v13, -16, v12
	v_mov_b32_e32 v51, v14
	v_lshlrev_b64 v[18:19], 2, v[15:16]
	v_add_nc_u32_e32 v15, 32, v15
	v_add_co_u32 v18, vcc_lo, s10, v18
	v_add_co_ci_u32_e64 v19, null, s11, v19, vcc_lo
	global_load_dword v7, v[18:19], off
	v_lshlrev_b64 v[18:19], 3, v[13:14]
	v_add_nc_u32_e32 v13, -14, v12
	v_lshlrev_b64 v[20:21], 3, v[13:14]
	v_add_co_u32 v18, vcc_lo, s12, v18
	v_add_co_ci_u32_e64 v19, null, s13, v19, vcc_lo
	v_add_co_u32 v22, vcc_lo, s12, v20
	s_waitcnt vmcnt(0)
	v_subrev_nc_u32_e32 v7, s2, v7
	v_lshl_add_u32 v50, v7, 3, v7
	v_lshlrev_b64 v[23:24], 3, v[50:51]
	v_add_nc_u32_e32 v13, 1, v50
	v_add_co_u32 v26, s1, s14, v23
	v_add_co_ci_u32_e64 v23, null, s13, v21, vcc_lo
	v_add_co_ci_u32_e64 v27, null, s15, v24, s1
	s_clause 0x1
	global_load_dwordx4 v[18:21], v[18:19], off
	global_load_dwordx4 v[22:25], v[22:23], off
	global_load_dwordx2 v[54:55], v[26:27], off
	v_lshlrev_b64 v[26:27], 3, v[13:14]
	v_add_nc_u32_e32 v13, -12, v12
	v_lshlrev_b64 v[28:29], 3, v[13:14]
	v_add_co_u32 v26, vcc_lo, s14, v26
	v_add_co_ci_u32_e64 v27, null, s15, v27, vcc_lo
	v_add_nc_u32_e32 v13, 2, v50
	v_add_co_u32 v28, vcc_lo, s12, v28
	global_load_dwordx2 v[56:57], v[26:27], off
	v_add_co_ci_u32_e64 v29, null, s13, v29, vcc_lo
	v_lshlrev_b64 v[26:27], 3, v[13:14]
	v_add_nc_u32_e32 v13, -10, v12
	v_add_co_u32 v30, vcc_lo, s14, v26
	v_add_co_ci_u32_e64 v31, null, s15, v27, vcc_lo
	global_load_dwordx4 v[26:29], v[28:29], off
	global_load_dwordx2 v[58:59], v[30:31], off
	v_lshlrev_b64 v[32:33], 3, v[13:14]
	v_add_nc_u32_e32 v13, 3, v50
	v_lshlrev_b64 v[30:31], 3, v[13:14]
	v_add_co_u32 v32, vcc_lo, s12, v32
	v_add_co_ci_u32_e64 v33, null, s13, v33, vcc_lo
	v_add_nc_u32_e32 v13, -8, v12
	v_add_co_u32 v34, vcc_lo, s14, v30
	v_add_co_ci_u32_e64 v35, null, s15, v31, vcc_lo
	global_load_dwordx4 v[30:33], v[32:33], off
	global_load_dwordx2 v[60:61], v[34:35], off
	v_lshlrev_b64 v[36:37], 3, v[13:14]
	v_add_nc_u32_e32 v13, 4, v50
	v_lshlrev_b64 v[34:35], 3, v[13:14]
	v_add_co_u32 v36, vcc_lo, s12, v36
	v_add_co_ci_u32_e64 v37, null, s13, v37, vcc_lo
	;; [unrolled: 10-line block ×5, first 2 shown]
	v_mov_b32_e32 v13, v14
	v_add_co_u32 v51, vcc_lo, s14, v48
	v_add_co_ci_u32_e64 v52, null, s15, v49, vcc_lo
	global_load_dwordx4 v[46:49], v[46:47], off
	global_load_dwordx2 v[68:69], v[51:52], off
	v_lshlrev_b64 v[51:52], 3, v[12:13]
	v_add_nc_u32_e32 v13, 8, v50
	v_add_nc_u32_e32 v12, 0x240, v12
	v_lshlrev_b64 v[70:71], 3, v[13:14]
	v_add_co_u32 v50, vcc_lo, s12, v51
	v_add_co_ci_u32_e64 v51, null, s13, v52, vcc_lo
	v_add_co_u32 v70, vcc_lo, s14, v70
	v_add_co_ci_u32_e64 v71, null, s15, v71, vcc_lo
	global_load_dwordx4 v[50:53], v[50:51], off
	global_load_dwordx2 v[70:71], v[70:71], off
	v_cmp_ge_i32_e32 vcc_lo, v15, v17
	s_or_b32 s6, vcc_lo, s6
	s_waitcnt vmcnt(15)
	v_fma_f64 v[7:8], v[18:19], v[54:55], v[8:9]
	v_fma_f64 v[9:10], v[20:21], v[54:55], v[10:11]
	s_waitcnt vmcnt(14)
	v_fma_f64 v[7:8], v[22:23], v[56:57], v[7:8]
	v_fma_f64 v[9:10], v[24:25], v[56:57], v[9:10]
	;; [unrolled: 3-line block ×9, first 2 shown]
	s_andn2_b32 exec_lo, exec_lo, s6
	s_cbranch_execnz .LBB114_9
; %bb.10:
	s_or_b32 exec_lo, exec_lo, s6
.LBB114_11:
	s_or_b32 exec_lo, exec_lo, s3
	s_cbranch_execz .LBB114_13
	s_branch .LBB114_18
.LBB114_12:
                                        ; implicit-def: $vgpr8_vgpr9
                                        ; implicit-def: $vgpr10_vgpr11
.LBB114_13:
	v_mov_b32_e32 v8, 0
	v_mov_b32_e32 v10, 0
	;; [unrolled: 1-line block ×4, first 2 shown]
	s_and_saveexec_b32 s1, s0
	s_cbranch_execz .LBB114_17
; %bb.14:
	v_mad_u64_u32 v[12:13], null, v6, 18, 17
	v_mov_b32_e32 v8, 0
	v_mov_b32_e32 v10, 0
	;; [unrolled: 1-line block ×5, first 2 shown]
	s_mov_b32 s0, 0
.LBB114_15:                             ; =>This Inner Loop Header: Depth=1
	v_ashrrev_i32_e32 v7, 31, v6
	v_subrev_nc_u32_e32 v14, 17, v12
	v_add_nc_u32_e32 v18, -8, v12
	v_mov_b32_e32 v19, v15
	v_mov_b32_e32 v13, v15
	v_lshlrev_b64 v[21:22], 2, v[6:7]
	v_lshlrev_b64 v[23:24], 3, v[14:15]
	v_mov_b32_e32 v20, v15
	v_lshlrev_b64 v[18:19], 3, v[18:19]
	v_lshlrev_b64 v[13:14], 3, v[12:13]
	v_add_nc_u32_e32 v6, 32, v6
	v_add_co_u32 v21, vcc_lo, s10, v21
	v_add_co_ci_u32_e64 v22, null, s11, v22, vcc_lo
	v_add_co_u32 v23, vcc_lo, s12, v23
	v_add_co_ci_u32_e64 v24, null, s13, v24, vcc_lo
	global_load_dword v7, v[21:22], off
	v_add_co_u32 v25, vcc_lo, s12, v18
	v_add_co_ci_u32_e64 v26, null, s13, v19, vcc_lo
	v_add_co_u32 v27, vcc_lo, s12, v13
	v_add_co_ci_u32_e64 v28, null, s13, v14, vcc_lo
	s_waitcnt vmcnt(0)
	v_subrev_nc_u32_e32 v7, s2, v7
	v_lshl_add_u32 v19, v7, 3, v7
	v_add_nc_u32_e32 v14, 1, v19
	v_lshlrev_b64 v[20:21], 3, v[19:20]
	v_lshlrev_b64 v[29:30], 3, v[14:15]
	v_add_nc_u32_e32 v14, -7, v12
	v_add_co_u32 v20, vcc_lo, s14, v20
	v_add_co_ci_u32_e64 v21, null, s15, v21, vcc_lo
	v_lshlrev_b64 v[31:32], 3, v[14:15]
	v_add_nc_u32_e32 v14, -15, v12
	v_add_co_u32 v29, vcc_lo, s14, v29
	v_add_co_ci_u32_e64 v30, null, s15, v30, vcc_lo
	v_lshlrev_b64 v[33:34], 3, v[14:15]
	v_add_nc_u32_e32 v14, 2, v19
	v_add_co_u32 v31, vcc_lo, s12, v31
	v_add_co_ci_u32_e64 v32, null, s13, v32, vcc_lo
	v_lshlrev_b64 v[35:36], 3, v[14:15]
	v_add_nc_u32_e32 v14, -6, v12
	v_add_co_u32 v33, vcc_lo, s12, v33
	v_add_co_ci_u32_e64 v34, null, s13, v34, vcc_lo
	v_lshlrev_b64 v[37:38], 3, v[14:15]
	v_add_nc_u32_e32 v14, -14, v12
	v_add_co_u32 v35, vcc_lo, s14, v35
	v_add_co_ci_u32_e64 v36, null, s15, v36, vcc_lo
	v_lshlrev_b64 v[39:40], 3, v[14:15]
	v_add_nc_u32_e32 v14, 3, v19
	v_add_co_u32 v37, vcc_lo, s12, v37
	v_add_co_ci_u32_e64 v38, null, s13, v38, vcc_lo
	;; [unrolled: 12-line block ×6, first 2 shown]
	v_lshlrev_b64 v[13:14], 3, v[14:15]
	v_add_co_u32 v63, vcc_lo, s12, v63
	v_add_co_ci_u32_e64 v64, null, s13, v64, vcc_lo
	v_add_co_u32 v65, vcc_lo, s14, v13
	v_add_co_ci_u32_e64 v66, null, s15, v14, vcc_lo
	v_add_nc_u32_e32 v14, -1, v12
	v_lshlrev_b64 v[67:68], 3, v[14:15]
	v_add_nc_u32_e32 v14, -9, v12
	v_add_nc_u32_e32 v12, 0x240, v12
	v_lshlrev_b64 v[69:70], 3, v[14:15]
	v_add_nc_u32_e32 v14, 8, v19
	global_load_dwordx2 v[18:19], v[25:26], off
	global_load_dwordx2 v[25:26], v[20:21], off
	v_add_co_u32 v67, vcc_lo, s12, v67
	v_add_co_ci_u32_e64 v68, null, s13, v68, vcc_lo
	v_lshlrev_b64 v[13:14], 3, v[14:15]
	s_waitcnt vmcnt(0)
	v_fma_f64 v[10:11], v[18:19], v[25:26], v[10:11]
	global_load_dwordx4 v[18:21], v[23:24], off
	s_waitcnt vmcnt(0)
	v_fma_f64 v[7:8], v[18:19], v[25:26], v[8:9]
	global_load_dwordx2 v[18:19], v[29:30], off
	s_clause 0x1
	global_load_dwordx2 v[22:23], v[31:32], off
	global_load_dwordx2 v[24:25], v[33:34], off
	global_load_dwordx2 v[29:30], v[35:36], off
	s_clause 0x1
	global_load_dwordx2 v[31:32], v[37:38], off
	global_load_dwordx2 v[33:34], v[39:40], off
	;; [unrolled: 4-line block ×6, first 2 shown]
	global_load_dwordx2 v[59:60], v[65:66], off
	global_load_dwordx2 v[61:62], v[67:68], off
	s_waitcnt vmcnt(19)
	v_fma_f64 v[7:8], v[20:21], v[18:19], v[7:8]
	v_add_co_u32 v20, vcc_lo, s12, v69
	v_add_co_ci_u32_e64 v21, null, s13, v70, vcc_lo
	v_add_co_u32 v13, vcc_lo, s14, v13
	v_add_co_ci_u32_e64 v14, null, s15, v14, vcc_lo
	s_clause 0x1
	global_load_dwordx2 v[26:27], v[27:28], off
	global_load_dwordx2 v[20:21], v[20:21], off
	;; [unrolled: 1-line block ×3, first 2 shown]
	s_waitcnt vmcnt(21)
	v_fma_f64 v[9:10], v[22:23], v[18:19], v[10:11]
	v_cmp_ge_i32_e32 vcc_lo, v6, v17
	s_or_b32 s0, vcc_lo, s0
	s_waitcnt vmcnt(19)
	v_fma_f64 v[7:8], v[24:25], v[29:30], v[7:8]
	s_waitcnt vmcnt(18)
	v_fma_f64 v[9:10], v[31:32], v[29:30], v[9:10]
	;; [unrolled: 2-line block ×13, first 2 shown]
	v_fma_f64 v[10:11], v[26:27], v[13:14], v[10:11]
	s_andn2_b32 exec_lo, exec_lo, s0
	s_cbranch_execnz .LBB114_15
; %bb.16:
	s_or_b32 exec_lo, exec_lo, s0
.LBB114_17:
	s_or_b32 exec_lo, exec_lo, s1
.LBB114_18:
	v_mbcnt_lo_u32_b32 v14, -1, 0
	v_xor_b32_e32 v6, 16, v14
	v_cmp_gt_i32_e32 vcc_lo, 32, v6
	v_cndmask_b32_e32 v6, v14, v6, vcc_lo
	v_lshlrev_b32_e32 v13, 2, v6
	ds_bpermute_b32 v6, v13, v8
	ds_bpermute_b32 v7, v13, v9
	;; [unrolled: 1-line block ×4, first 2 shown]
	s_waitcnt lgkmcnt(2)
	v_add_f64 v[6:7], v[8:9], v[6:7]
	s_waitcnt lgkmcnt(0)
	v_add_f64 v[8:9], v[10:11], v[12:13]
	v_xor_b32_e32 v10, 8, v14
	v_cmp_gt_i32_e32 vcc_lo, 32, v10
	v_cndmask_b32_e32 v10, v14, v10, vcc_lo
	v_lshlrev_b32_e32 v13, 2, v10
	ds_bpermute_b32 v10, v13, v6
	ds_bpermute_b32 v11, v13, v7
	;; [unrolled: 1-line block ×4, first 2 shown]
	s_waitcnt lgkmcnt(2)
	v_add_f64 v[6:7], v[6:7], v[10:11]
	v_xor_b32_e32 v10, 4, v14
	s_waitcnt lgkmcnt(0)
	v_add_f64 v[8:9], v[8:9], v[12:13]
	v_cmp_gt_i32_e32 vcc_lo, 32, v10
	v_cndmask_b32_e32 v10, v14, v10, vcc_lo
	v_lshlrev_b32_e32 v13, 2, v10
	ds_bpermute_b32 v10, v13, v6
	ds_bpermute_b32 v11, v13, v7
	;; [unrolled: 1-line block ×4, first 2 shown]
	s_waitcnt lgkmcnt(2)
	v_add_f64 v[6:7], v[6:7], v[10:11]
	v_xor_b32_e32 v10, 2, v14
	s_waitcnt lgkmcnt(0)
	v_add_f64 v[8:9], v[8:9], v[12:13]
	v_cmp_gt_i32_e32 vcc_lo, 32, v10
	v_cndmask_b32_e32 v10, v14, v10, vcc_lo
	v_lshlrev_b32_e32 v13, 2, v10
	ds_bpermute_b32 v10, v13, v6
	ds_bpermute_b32 v11, v13, v7
	;; [unrolled: 1-line block ×4, first 2 shown]
	s_waitcnt lgkmcnt(2)
	v_add_f64 v[6:7], v[6:7], v[10:11]
	s_waitcnt lgkmcnt(0)
	v_add_f64 v[10:11], v[8:9], v[12:13]
	v_xor_b32_e32 v8, 1, v14
	v_cmp_gt_i32_e32 vcc_lo, 32, v8
	v_cndmask_b32_e32 v8, v14, v8, vcc_lo
	v_cmp_eq_u32_e32 vcc_lo, 31, v0
	v_lshlrev_b32_e32 v13, 2, v8
	ds_bpermute_b32 v8, v13, v6
	ds_bpermute_b32 v9, v13, v7
	;; [unrolled: 1-line block ×4, first 2 shown]
	s_and_b32 exec_lo, exec_lo, vcc_lo
	s_cbranch_execz .LBB114_23
; %bb.19:
	s_waitcnt lgkmcnt(2)
	v_add_f64 v[8:9], v[6:7], v[8:9]
	s_waitcnt lgkmcnt(0)
	v_add_f64 v[6:7], v[10:11], v[12:13]
	s_load_dwordx2 s[0:1], s[4:5], 0x38
	s_mov_b32 s2, exec_lo
	v_cmpx_eq_f64_e32 0, v[3:4]
	s_xor_b32 s2, exec_lo, s2
	s_cbranch_execz .LBB114_21
; %bb.20:
	v_lshlrev_b32_e32 v0, 1, v5
	v_mul_f64 v[3:4], v[1:2], v[8:9]
	v_mul_f64 v[5:6], v[1:2], v[6:7]
                                        ; implicit-def: $vgpr8_vgpr9
	v_ashrrev_i32_e32 v1, 31, v0
	v_lshlrev_b64 v[0:1], 3, v[0:1]
	s_waitcnt lgkmcnt(0)
	v_add_co_u32 v0, vcc_lo, s0, v0
	v_add_co_ci_u32_e64 v1, null, s1, v1, vcc_lo
	global_store_dwordx4 v[0:1], v[3:6], off
                                        ; implicit-def: $vgpr5
                                        ; implicit-def: $vgpr1_vgpr2
                                        ; implicit-def: $vgpr3_vgpr4
                                        ; implicit-def: $vgpr6_vgpr7
.LBB114_21:
	s_andn2_saveexec_b32 s2, s2
	s_cbranch_execz .LBB114_23
; %bb.22:
	v_lshlrev_b32_e32 v10, 1, v5
	v_mul_f64 v[8:9], v[1:2], v[8:9]
	v_mul_f64 v[5:6], v[1:2], v[6:7]
	v_ashrrev_i32_e32 v11, 31, v10
	v_lshlrev_b64 v[10:11], 3, v[10:11]
	s_waitcnt lgkmcnt(0)
	v_add_co_u32 v14, vcc_lo, s0, v10
	v_add_co_ci_u32_e64 v15, null, s1, v11, vcc_lo
	global_load_dwordx4 v[10:13], v[14:15], off
	s_waitcnt vmcnt(0)
	v_fma_f64 v[0:1], v[3:4], v[10:11], v[8:9]
	v_fma_f64 v[2:3], v[3:4], v[12:13], v[5:6]
	global_store_dwordx4 v[14:15], v[0:3], off
.LBB114_23:
	s_endpgm
	.section	.rodata,"a",@progbits
	.p2align	6, 0x0
	.amdhsa_kernel _ZN9rocsparseL19gebsrmvn_2xn_kernelILj128ELj9ELj32EdEEvi20rocsparse_direction_NS_24const_host_device_scalarIT2_EEPKiS6_PKS3_S8_S4_PS3_21rocsparse_index_base_b
		.amdhsa_group_segment_fixed_size 0
		.amdhsa_private_segment_fixed_size 0
		.amdhsa_kernarg_size 72
		.amdhsa_user_sgpr_count 6
		.amdhsa_user_sgpr_private_segment_buffer 1
		.amdhsa_user_sgpr_dispatch_ptr 0
		.amdhsa_user_sgpr_queue_ptr 0
		.amdhsa_user_sgpr_kernarg_segment_ptr 1
		.amdhsa_user_sgpr_dispatch_id 0
		.amdhsa_user_sgpr_flat_scratch_init 0
		.amdhsa_user_sgpr_private_segment_size 0
		.amdhsa_wavefront_size32 1
		.amdhsa_uses_dynamic_stack 0
		.amdhsa_system_sgpr_private_segment_wavefront_offset 0
		.amdhsa_system_sgpr_workgroup_id_x 1
		.amdhsa_system_sgpr_workgroup_id_y 0
		.amdhsa_system_sgpr_workgroup_id_z 0
		.amdhsa_system_sgpr_workgroup_info 0
		.amdhsa_system_vgpr_workitem_id 0
		.amdhsa_next_free_vgpr 72
		.amdhsa_next_free_sgpr 16
		.amdhsa_reserve_vcc 1
		.amdhsa_reserve_flat_scratch 0
		.amdhsa_float_round_mode_32 0
		.amdhsa_float_round_mode_16_64 0
		.amdhsa_float_denorm_mode_32 3
		.amdhsa_float_denorm_mode_16_64 3
		.amdhsa_dx10_clamp 1
		.amdhsa_ieee_mode 1
		.amdhsa_fp16_overflow 0
		.amdhsa_workgroup_processor_mode 1
		.amdhsa_memory_ordered 1
		.amdhsa_forward_progress 1
		.amdhsa_shared_vgpr_count 0
		.amdhsa_exception_fp_ieee_invalid_op 0
		.amdhsa_exception_fp_denorm_src 0
		.amdhsa_exception_fp_ieee_div_zero 0
		.amdhsa_exception_fp_ieee_overflow 0
		.amdhsa_exception_fp_ieee_underflow 0
		.amdhsa_exception_fp_ieee_inexact 0
		.amdhsa_exception_int_div_zero 0
	.end_amdhsa_kernel
	.section	.text._ZN9rocsparseL19gebsrmvn_2xn_kernelILj128ELj9ELj32EdEEvi20rocsparse_direction_NS_24const_host_device_scalarIT2_EEPKiS6_PKS3_S8_S4_PS3_21rocsparse_index_base_b,"axG",@progbits,_ZN9rocsparseL19gebsrmvn_2xn_kernelILj128ELj9ELj32EdEEvi20rocsparse_direction_NS_24const_host_device_scalarIT2_EEPKiS6_PKS3_S8_S4_PS3_21rocsparse_index_base_b,comdat
.Lfunc_end114:
	.size	_ZN9rocsparseL19gebsrmvn_2xn_kernelILj128ELj9ELj32EdEEvi20rocsparse_direction_NS_24const_host_device_scalarIT2_EEPKiS6_PKS3_S8_S4_PS3_21rocsparse_index_base_b, .Lfunc_end114-_ZN9rocsparseL19gebsrmvn_2xn_kernelILj128ELj9ELj32EdEEvi20rocsparse_direction_NS_24const_host_device_scalarIT2_EEPKiS6_PKS3_S8_S4_PS3_21rocsparse_index_base_b
                                        ; -- End function
	.set _ZN9rocsparseL19gebsrmvn_2xn_kernelILj128ELj9ELj32EdEEvi20rocsparse_direction_NS_24const_host_device_scalarIT2_EEPKiS6_PKS3_S8_S4_PS3_21rocsparse_index_base_b.num_vgpr, 72
	.set _ZN9rocsparseL19gebsrmvn_2xn_kernelILj128ELj9ELj32EdEEvi20rocsparse_direction_NS_24const_host_device_scalarIT2_EEPKiS6_PKS3_S8_S4_PS3_21rocsparse_index_base_b.num_agpr, 0
	.set _ZN9rocsparseL19gebsrmvn_2xn_kernelILj128ELj9ELj32EdEEvi20rocsparse_direction_NS_24const_host_device_scalarIT2_EEPKiS6_PKS3_S8_S4_PS3_21rocsparse_index_base_b.numbered_sgpr, 16
	.set _ZN9rocsparseL19gebsrmvn_2xn_kernelILj128ELj9ELj32EdEEvi20rocsparse_direction_NS_24const_host_device_scalarIT2_EEPKiS6_PKS3_S8_S4_PS3_21rocsparse_index_base_b.num_named_barrier, 0
	.set _ZN9rocsparseL19gebsrmvn_2xn_kernelILj128ELj9ELj32EdEEvi20rocsparse_direction_NS_24const_host_device_scalarIT2_EEPKiS6_PKS3_S8_S4_PS3_21rocsparse_index_base_b.private_seg_size, 0
	.set _ZN9rocsparseL19gebsrmvn_2xn_kernelILj128ELj9ELj32EdEEvi20rocsparse_direction_NS_24const_host_device_scalarIT2_EEPKiS6_PKS3_S8_S4_PS3_21rocsparse_index_base_b.uses_vcc, 1
	.set _ZN9rocsparseL19gebsrmvn_2xn_kernelILj128ELj9ELj32EdEEvi20rocsparse_direction_NS_24const_host_device_scalarIT2_EEPKiS6_PKS3_S8_S4_PS3_21rocsparse_index_base_b.uses_flat_scratch, 0
	.set _ZN9rocsparseL19gebsrmvn_2xn_kernelILj128ELj9ELj32EdEEvi20rocsparse_direction_NS_24const_host_device_scalarIT2_EEPKiS6_PKS3_S8_S4_PS3_21rocsparse_index_base_b.has_dyn_sized_stack, 0
	.set _ZN9rocsparseL19gebsrmvn_2xn_kernelILj128ELj9ELj32EdEEvi20rocsparse_direction_NS_24const_host_device_scalarIT2_EEPKiS6_PKS3_S8_S4_PS3_21rocsparse_index_base_b.has_recursion, 0
	.set _ZN9rocsparseL19gebsrmvn_2xn_kernelILj128ELj9ELj32EdEEvi20rocsparse_direction_NS_24const_host_device_scalarIT2_EEPKiS6_PKS3_S8_S4_PS3_21rocsparse_index_base_b.has_indirect_call, 0
	.section	.AMDGPU.csdata,"",@progbits
; Kernel info:
; codeLenInByte = 3132
; TotalNumSgprs: 18
; NumVgprs: 72
; ScratchSize: 0
; MemoryBound: 0
; FloatMode: 240
; IeeeMode: 1
; LDSByteSize: 0 bytes/workgroup (compile time only)
; SGPRBlocks: 0
; VGPRBlocks: 8
; NumSGPRsForWavesPerEU: 18
; NumVGPRsForWavesPerEU: 72
; Occupancy: 12
; WaveLimiterHint : 1
; COMPUTE_PGM_RSRC2:SCRATCH_EN: 0
; COMPUTE_PGM_RSRC2:USER_SGPR: 6
; COMPUTE_PGM_RSRC2:TRAP_HANDLER: 0
; COMPUTE_PGM_RSRC2:TGID_X_EN: 1
; COMPUTE_PGM_RSRC2:TGID_Y_EN: 0
; COMPUTE_PGM_RSRC2:TGID_Z_EN: 0
; COMPUTE_PGM_RSRC2:TIDIG_COMP_CNT: 0
	.section	.text._ZN9rocsparseL19gebsrmvn_2xn_kernelILj128ELj9ELj64EdEEvi20rocsparse_direction_NS_24const_host_device_scalarIT2_EEPKiS6_PKS3_S8_S4_PS3_21rocsparse_index_base_b,"axG",@progbits,_ZN9rocsparseL19gebsrmvn_2xn_kernelILj128ELj9ELj64EdEEvi20rocsparse_direction_NS_24const_host_device_scalarIT2_EEPKiS6_PKS3_S8_S4_PS3_21rocsparse_index_base_b,comdat
	.globl	_ZN9rocsparseL19gebsrmvn_2xn_kernelILj128ELj9ELj64EdEEvi20rocsparse_direction_NS_24const_host_device_scalarIT2_EEPKiS6_PKS3_S8_S4_PS3_21rocsparse_index_base_b ; -- Begin function _ZN9rocsparseL19gebsrmvn_2xn_kernelILj128ELj9ELj64EdEEvi20rocsparse_direction_NS_24const_host_device_scalarIT2_EEPKiS6_PKS3_S8_S4_PS3_21rocsparse_index_base_b
	.p2align	8
	.type	_ZN9rocsparseL19gebsrmvn_2xn_kernelILj128ELj9ELj64EdEEvi20rocsparse_direction_NS_24const_host_device_scalarIT2_EEPKiS6_PKS3_S8_S4_PS3_21rocsparse_index_base_b,@function
_ZN9rocsparseL19gebsrmvn_2xn_kernelILj128ELj9ELj64EdEEvi20rocsparse_direction_NS_24const_host_device_scalarIT2_EEPKiS6_PKS3_S8_S4_PS3_21rocsparse_index_base_b: ; @_ZN9rocsparseL19gebsrmvn_2xn_kernelILj128ELj9ELj64EdEEvi20rocsparse_direction_NS_24const_host_device_scalarIT2_EEPKiS6_PKS3_S8_S4_PS3_21rocsparse_index_base_b
; %bb.0:
	s_clause 0x2
	s_load_dwordx2 s[2:3], s[4:5], 0x40
	s_load_dwordx2 s[8:9], s[4:5], 0x8
	;; [unrolled: 1-line block ×3, first 2 shown]
	s_waitcnt lgkmcnt(0)
	s_bitcmp1_b32 s3, 0
	v_mov_b32_e32 v1, s8
	v_mov_b32_e32 v2, s9
	s_cselect_b32 s3, -1, 0
	s_and_b32 vcc_lo, exec_lo, s3
	s_xor_b32 s3, s3, -1
	s_cbranch_vccnz .LBB115_2
; %bb.1:
	v_mov_b32_e32 v1, s8
	v_mov_b32_e32 v2, s9
	flat_load_dwordx2 v[1:2], v[1:2]
.LBB115_2:
	v_mov_b32_e32 v4, s1
	v_mov_b32_e32 v3, s0
	s_andn2_b32 vcc_lo, exec_lo, s3
	s_cbranch_vccnz .LBB115_4
; %bb.3:
	v_mov_b32_e32 v4, s1
	v_mov_b32_e32 v3, s0
	flat_load_dwordx2 v[3:4], v[3:4]
.LBB115_4:
	s_waitcnt vmcnt(0) lgkmcnt(0)
	v_cmp_neq_f64_e32 vcc_lo, 0, v[1:2]
	v_cmp_neq_f64_e64 s0, 1.0, v[3:4]
	s_or_b32 s0, vcc_lo, s0
	s_and_saveexec_b32 s1, s0
	s_cbranch_execz .LBB115_23
; %bb.5:
	s_load_dwordx2 s[0:1], s[4:5], 0x0
	v_lshrrev_b32_e32 v5, 6, v0
	v_lshl_or_b32 v5, s6, 1, v5
	s_waitcnt lgkmcnt(0)
	v_cmp_gt_i32_e32 vcc_lo, s0, v5
	s_and_b32 exec_lo, exec_lo, vcc_lo
	s_cbranch_execz .LBB115_23
; %bb.6:
	s_load_dwordx8 s[8:15], s[4:5], 0x10
	v_ashrrev_i32_e32 v6, 31, v5
	v_and_b32_e32 v0, 63, v0
	s_cmp_lg_u32 s1, 0
	v_lshlrev_b64 v[6:7], 2, v[5:6]
	s_waitcnt lgkmcnt(0)
	v_add_co_u32 v6, vcc_lo, s8, v6
	v_add_co_ci_u32_e64 v7, null, s9, v7, vcc_lo
	global_load_dwordx2 v[6:7], v[6:7], off
	s_waitcnt vmcnt(0)
	v_subrev_nc_u32_e32 v6, s2, v6
	v_subrev_nc_u32_e32 v17, s2, v7
	v_add_nc_u32_e32 v6, v6, v0
	v_cmp_lt_i32_e64 s0, v6, v17
	s_cbranch_scc0 .LBB115_12
; %bb.7:
	v_mov_b32_e32 v8, 0
	v_mov_b32_e32 v10, 0
	v_mov_b32_e32 v9, 0
	v_mov_b32_e32 v11, 0
	s_and_saveexec_b32 s3, s0
	s_cbranch_execz .LBB115_11
; %bb.8:
	v_mad_u64_u32 v[12:13], null, v6, 18, 16
	v_mov_b32_e32 v8, 0
	v_mov_b32_e32 v10, 0
	;; [unrolled: 1-line block ×6, first 2 shown]
	s_mov_b32 s6, 0
.LBB115_9:                              ; =>This Inner Loop Header: Depth=1
	v_ashrrev_i32_e32 v16, 31, v15
	v_add_nc_u32_e32 v13, -16, v12
	v_mov_b32_e32 v51, v14
	v_lshlrev_b64 v[18:19], 2, v[15:16]
	v_add_nc_u32_e32 v15, 64, v15
	v_add_co_u32 v18, vcc_lo, s10, v18
	v_add_co_ci_u32_e64 v19, null, s11, v19, vcc_lo
	global_load_dword v7, v[18:19], off
	v_lshlrev_b64 v[18:19], 3, v[13:14]
	v_add_nc_u32_e32 v13, -14, v12
	v_lshlrev_b64 v[20:21], 3, v[13:14]
	v_add_co_u32 v18, vcc_lo, s12, v18
	v_add_co_ci_u32_e64 v19, null, s13, v19, vcc_lo
	v_add_co_u32 v22, vcc_lo, s12, v20
	s_waitcnt vmcnt(0)
	v_subrev_nc_u32_e32 v7, s2, v7
	v_lshl_add_u32 v50, v7, 3, v7
	v_lshlrev_b64 v[23:24], 3, v[50:51]
	v_add_nc_u32_e32 v13, 1, v50
	v_add_co_u32 v26, s1, s14, v23
	v_add_co_ci_u32_e64 v23, null, s13, v21, vcc_lo
	v_add_co_ci_u32_e64 v27, null, s15, v24, s1
	s_clause 0x1
	global_load_dwordx4 v[18:21], v[18:19], off
	global_load_dwordx4 v[22:25], v[22:23], off
	global_load_dwordx2 v[54:55], v[26:27], off
	v_lshlrev_b64 v[26:27], 3, v[13:14]
	v_add_nc_u32_e32 v13, -12, v12
	v_lshlrev_b64 v[28:29], 3, v[13:14]
	v_add_co_u32 v26, vcc_lo, s14, v26
	v_add_co_ci_u32_e64 v27, null, s15, v27, vcc_lo
	v_add_nc_u32_e32 v13, 2, v50
	v_add_co_u32 v28, vcc_lo, s12, v28
	global_load_dwordx2 v[56:57], v[26:27], off
	v_add_co_ci_u32_e64 v29, null, s13, v29, vcc_lo
	v_lshlrev_b64 v[26:27], 3, v[13:14]
	v_add_nc_u32_e32 v13, -10, v12
	v_add_co_u32 v30, vcc_lo, s14, v26
	v_add_co_ci_u32_e64 v31, null, s15, v27, vcc_lo
	global_load_dwordx4 v[26:29], v[28:29], off
	global_load_dwordx2 v[58:59], v[30:31], off
	v_lshlrev_b64 v[32:33], 3, v[13:14]
	v_add_nc_u32_e32 v13, 3, v50
	v_lshlrev_b64 v[30:31], 3, v[13:14]
	v_add_co_u32 v32, vcc_lo, s12, v32
	v_add_co_ci_u32_e64 v33, null, s13, v33, vcc_lo
	v_add_nc_u32_e32 v13, -8, v12
	v_add_co_u32 v34, vcc_lo, s14, v30
	v_add_co_ci_u32_e64 v35, null, s15, v31, vcc_lo
	global_load_dwordx4 v[30:33], v[32:33], off
	global_load_dwordx2 v[60:61], v[34:35], off
	v_lshlrev_b64 v[36:37], 3, v[13:14]
	v_add_nc_u32_e32 v13, 4, v50
	v_lshlrev_b64 v[34:35], 3, v[13:14]
	v_add_co_u32 v36, vcc_lo, s12, v36
	v_add_co_ci_u32_e64 v37, null, s13, v37, vcc_lo
	;; [unrolled: 10-line block ×5, first 2 shown]
	v_mov_b32_e32 v13, v14
	v_add_co_u32 v51, vcc_lo, s14, v48
	v_add_co_ci_u32_e64 v52, null, s15, v49, vcc_lo
	global_load_dwordx4 v[46:49], v[46:47], off
	global_load_dwordx2 v[68:69], v[51:52], off
	v_lshlrev_b64 v[51:52], 3, v[12:13]
	v_add_nc_u32_e32 v13, 8, v50
	v_add_nc_u32_e32 v12, 0x480, v12
	v_lshlrev_b64 v[70:71], 3, v[13:14]
	v_add_co_u32 v50, vcc_lo, s12, v51
	v_add_co_ci_u32_e64 v51, null, s13, v52, vcc_lo
	v_add_co_u32 v70, vcc_lo, s14, v70
	v_add_co_ci_u32_e64 v71, null, s15, v71, vcc_lo
	global_load_dwordx4 v[50:53], v[50:51], off
	global_load_dwordx2 v[70:71], v[70:71], off
	v_cmp_ge_i32_e32 vcc_lo, v15, v17
	s_or_b32 s6, vcc_lo, s6
	s_waitcnt vmcnt(15)
	v_fma_f64 v[7:8], v[18:19], v[54:55], v[8:9]
	v_fma_f64 v[9:10], v[20:21], v[54:55], v[10:11]
	s_waitcnt vmcnt(14)
	v_fma_f64 v[7:8], v[22:23], v[56:57], v[7:8]
	v_fma_f64 v[9:10], v[24:25], v[56:57], v[9:10]
	;; [unrolled: 3-line block ×9, first 2 shown]
	s_andn2_b32 exec_lo, exec_lo, s6
	s_cbranch_execnz .LBB115_9
; %bb.10:
	s_or_b32 exec_lo, exec_lo, s6
.LBB115_11:
	s_or_b32 exec_lo, exec_lo, s3
	s_cbranch_execz .LBB115_13
	s_branch .LBB115_18
.LBB115_12:
                                        ; implicit-def: $vgpr8_vgpr9
                                        ; implicit-def: $vgpr10_vgpr11
.LBB115_13:
	v_mov_b32_e32 v8, 0
	v_mov_b32_e32 v10, 0
	;; [unrolled: 1-line block ×4, first 2 shown]
	s_and_saveexec_b32 s1, s0
	s_cbranch_execz .LBB115_17
; %bb.14:
	v_mad_u64_u32 v[12:13], null, v6, 18, 17
	v_mov_b32_e32 v8, 0
	v_mov_b32_e32 v10, 0
	;; [unrolled: 1-line block ×5, first 2 shown]
	s_mov_b32 s0, 0
.LBB115_15:                             ; =>This Inner Loop Header: Depth=1
	v_ashrrev_i32_e32 v7, 31, v6
	v_subrev_nc_u32_e32 v14, 17, v12
	v_add_nc_u32_e32 v18, -8, v12
	v_mov_b32_e32 v19, v15
	v_mov_b32_e32 v13, v15
	v_lshlrev_b64 v[21:22], 2, v[6:7]
	v_lshlrev_b64 v[23:24], 3, v[14:15]
	v_mov_b32_e32 v20, v15
	v_lshlrev_b64 v[18:19], 3, v[18:19]
	v_lshlrev_b64 v[13:14], 3, v[12:13]
	v_add_nc_u32_e32 v6, 64, v6
	v_add_co_u32 v21, vcc_lo, s10, v21
	v_add_co_ci_u32_e64 v22, null, s11, v22, vcc_lo
	v_add_co_u32 v23, vcc_lo, s12, v23
	v_add_co_ci_u32_e64 v24, null, s13, v24, vcc_lo
	global_load_dword v7, v[21:22], off
	v_add_co_u32 v25, vcc_lo, s12, v18
	v_add_co_ci_u32_e64 v26, null, s13, v19, vcc_lo
	v_add_co_u32 v27, vcc_lo, s12, v13
	v_add_co_ci_u32_e64 v28, null, s13, v14, vcc_lo
	s_waitcnt vmcnt(0)
	v_subrev_nc_u32_e32 v7, s2, v7
	v_lshl_add_u32 v19, v7, 3, v7
	v_add_nc_u32_e32 v14, 1, v19
	v_lshlrev_b64 v[20:21], 3, v[19:20]
	v_lshlrev_b64 v[29:30], 3, v[14:15]
	v_add_nc_u32_e32 v14, -7, v12
	v_add_co_u32 v20, vcc_lo, s14, v20
	v_add_co_ci_u32_e64 v21, null, s15, v21, vcc_lo
	v_lshlrev_b64 v[31:32], 3, v[14:15]
	v_add_nc_u32_e32 v14, -15, v12
	v_add_co_u32 v29, vcc_lo, s14, v29
	v_add_co_ci_u32_e64 v30, null, s15, v30, vcc_lo
	v_lshlrev_b64 v[33:34], 3, v[14:15]
	v_add_nc_u32_e32 v14, 2, v19
	v_add_co_u32 v31, vcc_lo, s12, v31
	v_add_co_ci_u32_e64 v32, null, s13, v32, vcc_lo
	v_lshlrev_b64 v[35:36], 3, v[14:15]
	v_add_nc_u32_e32 v14, -6, v12
	v_add_co_u32 v33, vcc_lo, s12, v33
	v_add_co_ci_u32_e64 v34, null, s13, v34, vcc_lo
	v_lshlrev_b64 v[37:38], 3, v[14:15]
	v_add_nc_u32_e32 v14, -14, v12
	v_add_co_u32 v35, vcc_lo, s14, v35
	v_add_co_ci_u32_e64 v36, null, s15, v36, vcc_lo
	v_lshlrev_b64 v[39:40], 3, v[14:15]
	v_add_nc_u32_e32 v14, 3, v19
	v_add_co_u32 v37, vcc_lo, s12, v37
	v_add_co_ci_u32_e64 v38, null, s13, v38, vcc_lo
	;; [unrolled: 12-line block ×6, first 2 shown]
	v_lshlrev_b64 v[13:14], 3, v[14:15]
	v_add_co_u32 v63, vcc_lo, s12, v63
	v_add_co_ci_u32_e64 v64, null, s13, v64, vcc_lo
	v_add_co_u32 v65, vcc_lo, s14, v13
	v_add_co_ci_u32_e64 v66, null, s15, v14, vcc_lo
	v_add_nc_u32_e32 v14, -1, v12
	v_lshlrev_b64 v[67:68], 3, v[14:15]
	v_add_nc_u32_e32 v14, -9, v12
	v_add_nc_u32_e32 v12, 0x480, v12
	v_lshlrev_b64 v[69:70], 3, v[14:15]
	v_add_nc_u32_e32 v14, 8, v19
	global_load_dwordx2 v[18:19], v[25:26], off
	global_load_dwordx2 v[25:26], v[20:21], off
	v_add_co_u32 v67, vcc_lo, s12, v67
	v_add_co_ci_u32_e64 v68, null, s13, v68, vcc_lo
	v_lshlrev_b64 v[13:14], 3, v[14:15]
	s_waitcnt vmcnt(0)
	v_fma_f64 v[10:11], v[18:19], v[25:26], v[10:11]
	global_load_dwordx4 v[18:21], v[23:24], off
	s_waitcnt vmcnt(0)
	v_fma_f64 v[7:8], v[18:19], v[25:26], v[8:9]
	global_load_dwordx2 v[18:19], v[29:30], off
	s_clause 0x1
	global_load_dwordx2 v[22:23], v[31:32], off
	global_load_dwordx2 v[24:25], v[33:34], off
	global_load_dwordx2 v[29:30], v[35:36], off
	s_clause 0x1
	global_load_dwordx2 v[31:32], v[37:38], off
	global_load_dwordx2 v[33:34], v[39:40], off
	;; [unrolled: 4-line block ×6, first 2 shown]
	global_load_dwordx2 v[59:60], v[65:66], off
	global_load_dwordx2 v[61:62], v[67:68], off
	s_waitcnt vmcnt(19)
	v_fma_f64 v[7:8], v[20:21], v[18:19], v[7:8]
	v_add_co_u32 v20, vcc_lo, s12, v69
	v_add_co_ci_u32_e64 v21, null, s13, v70, vcc_lo
	v_add_co_u32 v13, vcc_lo, s14, v13
	v_add_co_ci_u32_e64 v14, null, s15, v14, vcc_lo
	s_clause 0x1
	global_load_dwordx2 v[26:27], v[27:28], off
	global_load_dwordx2 v[20:21], v[20:21], off
	;; [unrolled: 1-line block ×3, first 2 shown]
	s_waitcnt vmcnt(21)
	v_fma_f64 v[9:10], v[22:23], v[18:19], v[10:11]
	v_cmp_ge_i32_e32 vcc_lo, v6, v17
	s_or_b32 s0, vcc_lo, s0
	s_waitcnt vmcnt(19)
	v_fma_f64 v[7:8], v[24:25], v[29:30], v[7:8]
	s_waitcnt vmcnt(18)
	v_fma_f64 v[9:10], v[31:32], v[29:30], v[9:10]
	;; [unrolled: 2-line block ×13, first 2 shown]
	v_fma_f64 v[10:11], v[26:27], v[13:14], v[10:11]
	s_andn2_b32 exec_lo, exec_lo, s0
	s_cbranch_execnz .LBB115_15
; %bb.16:
	s_or_b32 exec_lo, exec_lo, s0
.LBB115_17:
	s_or_b32 exec_lo, exec_lo, s1
.LBB115_18:
	v_mbcnt_lo_u32_b32 v14, -1, 0
	v_or_b32_e32 v6, 32, v14
	v_cmp_gt_i32_e32 vcc_lo, 32, v6
	v_cndmask_b32_e32 v6, v14, v6, vcc_lo
	v_lshlrev_b32_e32 v13, 2, v6
	ds_bpermute_b32 v6, v13, v8
	ds_bpermute_b32 v7, v13, v9
	;; [unrolled: 1-line block ×4, first 2 shown]
	s_waitcnt lgkmcnt(2)
	v_add_f64 v[6:7], v[8:9], v[6:7]
	s_waitcnt lgkmcnt(0)
	v_add_f64 v[8:9], v[10:11], v[12:13]
	v_xor_b32_e32 v10, 16, v14
	v_cmp_gt_i32_e32 vcc_lo, 32, v10
	v_cndmask_b32_e32 v10, v14, v10, vcc_lo
	v_lshlrev_b32_e32 v13, 2, v10
	ds_bpermute_b32 v10, v13, v6
	ds_bpermute_b32 v11, v13, v7
	ds_bpermute_b32 v12, v13, v8
	ds_bpermute_b32 v13, v13, v9
	s_waitcnt lgkmcnt(2)
	v_add_f64 v[6:7], v[6:7], v[10:11]
	v_xor_b32_e32 v10, 8, v14
	s_waitcnt lgkmcnt(0)
	v_add_f64 v[8:9], v[8:9], v[12:13]
	v_cmp_gt_i32_e32 vcc_lo, 32, v10
	v_cndmask_b32_e32 v10, v14, v10, vcc_lo
	v_lshlrev_b32_e32 v13, 2, v10
	ds_bpermute_b32 v10, v13, v6
	ds_bpermute_b32 v11, v13, v7
	ds_bpermute_b32 v12, v13, v8
	ds_bpermute_b32 v13, v13, v9
	s_waitcnt lgkmcnt(2)
	v_add_f64 v[6:7], v[6:7], v[10:11]
	v_xor_b32_e32 v10, 4, v14
	s_waitcnt lgkmcnt(0)
	v_add_f64 v[8:9], v[8:9], v[12:13]
	;; [unrolled: 12-line block ×3, first 2 shown]
	v_cmp_gt_i32_e32 vcc_lo, 32, v10
	v_cndmask_b32_e32 v10, v14, v10, vcc_lo
	v_lshlrev_b32_e32 v13, 2, v10
	ds_bpermute_b32 v10, v13, v6
	ds_bpermute_b32 v11, v13, v7
	;; [unrolled: 1-line block ×4, first 2 shown]
	s_waitcnt lgkmcnt(2)
	v_add_f64 v[6:7], v[6:7], v[10:11]
	s_waitcnt lgkmcnt(0)
	v_add_f64 v[10:11], v[8:9], v[12:13]
	v_xor_b32_e32 v8, 1, v14
	v_cmp_gt_i32_e32 vcc_lo, 32, v8
	v_cndmask_b32_e32 v8, v14, v8, vcc_lo
	v_cmp_eq_u32_e32 vcc_lo, 63, v0
	v_lshlrev_b32_e32 v13, 2, v8
	ds_bpermute_b32 v8, v13, v6
	ds_bpermute_b32 v9, v13, v7
	;; [unrolled: 1-line block ×4, first 2 shown]
	s_and_b32 exec_lo, exec_lo, vcc_lo
	s_cbranch_execz .LBB115_23
; %bb.19:
	s_waitcnt lgkmcnt(2)
	v_add_f64 v[8:9], v[6:7], v[8:9]
	s_waitcnt lgkmcnt(0)
	v_add_f64 v[6:7], v[10:11], v[12:13]
	s_load_dwordx2 s[0:1], s[4:5], 0x38
	s_mov_b32 s2, exec_lo
	v_cmpx_eq_f64_e32 0, v[3:4]
	s_xor_b32 s2, exec_lo, s2
	s_cbranch_execz .LBB115_21
; %bb.20:
	v_lshlrev_b32_e32 v0, 1, v5
	v_mul_f64 v[3:4], v[1:2], v[8:9]
	v_mul_f64 v[5:6], v[1:2], v[6:7]
                                        ; implicit-def: $vgpr8_vgpr9
	v_ashrrev_i32_e32 v1, 31, v0
	v_lshlrev_b64 v[0:1], 3, v[0:1]
	s_waitcnt lgkmcnt(0)
	v_add_co_u32 v0, vcc_lo, s0, v0
	v_add_co_ci_u32_e64 v1, null, s1, v1, vcc_lo
	global_store_dwordx4 v[0:1], v[3:6], off
                                        ; implicit-def: $vgpr5
                                        ; implicit-def: $vgpr1_vgpr2
                                        ; implicit-def: $vgpr3_vgpr4
                                        ; implicit-def: $vgpr6_vgpr7
.LBB115_21:
	s_andn2_saveexec_b32 s2, s2
	s_cbranch_execz .LBB115_23
; %bb.22:
	v_lshlrev_b32_e32 v10, 1, v5
	v_mul_f64 v[8:9], v[1:2], v[8:9]
	v_mul_f64 v[5:6], v[1:2], v[6:7]
	v_ashrrev_i32_e32 v11, 31, v10
	v_lshlrev_b64 v[10:11], 3, v[10:11]
	s_waitcnt lgkmcnt(0)
	v_add_co_u32 v14, vcc_lo, s0, v10
	v_add_co_ci_u32_e64 v15, null, s1, v11, vcc_lo
	global_load_dwordx4 v[10:13], v[14:15], off
	s_waitcnt vmcnt(0)
	v_fma_f64 v[0:1], v[3:4], v[10:11], v[8:9]
	v_fma_f64 v[2:3], v[3:4], v[12:13], v[5:6]
	global_store_dwordx4 v[14:15], v[0:3], off
.LBB115_23:
	s_endpgm
	.section	.rodata,"a",@progbits
	.p2align	6, 0x0
	.amdhsa_kernel _ZN9rocsparseL19gebsrmvn_2xn_kernelILj128ELj9ELj64EdEEvi20rocsparse_direction_NS_24const_host_device_scalarIT2_EEPKiS6_PKS3_S8_S4_PS3_21rocsparse_index_base_b
		.amdhsa_group_segment_fixed_size 0
		.amdhsa_private_segment_fixed_size 0
		.amdhsa_kernarg_size 72
		.amdhsa_user_sgpr_count 6
		.amdhsa_user_sgpr_private_segment_buffer 1
		.amdhsa_user_sgpr_dispatch_ptr 0
		.amdhsa_user_sgpr_queue_ptr 0
		.amdhsa_user_sgpr_kernarg_segment_ptr 1
		.amdhsa_user_sgpr_dispatch_id 0
		.amdhsa_user_sgpr_flat_scratch_init 0
		.amdhsa_user_sgpr_private_segment_size 0
		.amdhsa_wavefront_size32 1
		.amdhsa_uses_dynamic_stack 0
		.amdhsa_system_sgpr_private_segment_wavefront_offset 0
		.amdhsa_system_sgpr_workgroup_id_x 1
		.amdhsa_system_sgpr_workgroup_id_y 0
		.amdhsa_system_sgpr_workgroup_id_z 0
		.amdhsa_system_sgpr_workgroup_info 0
		.amdhsa_system_vgpr_workitem_id 0
		.amdhsa_next_free_vgpr 72
		.amdhsa_next_free_sgpr 16
		.amdhsa_reserve_vcc 1
		.amdhsa_reserve_flat_scratch 0
		.amdhsa_float_round_mode_32 0
		.amdhsa_float_round_mode_16_64 0
		.amdhsa_float_denorm_mode_32 3
		.amdhsa_float_denorm_mode_16_64 3
		.amdhsa_dx10_clamp 1
		.amdhsa_ieee_mode 1
		.amdhsa_fp16_overflow 0
		.amdhsa_workgroup_processor_mode 1
		.amdhsa_memory_ordered 1
		.amdhsa_forward_progress 1
		.amdhsa_shared_vgpr_count 0
		.amdhsa_exception_fp_ieee_invalid_op 0
		.amdhsa_exception_fp_denorm_src 0
		.amdhsa_exception_fp_ieee_div_zero 0
		.amdhsa_exception_fp_ieee_overflow 0
		.amdhsa_exception_fp_ieee_underflow 0
		.amdhsa_exception_fp_ieee_inexact 0
		.amdhsa_exception_int_div_zero 0
	.end_amdhsa_kernel
	.section	.text._ZN9rocsparseL19gebsrmvn_2xn_kernelILj128ELj9ELj64EdEEvi20rocsparse_direction_NS_24const_host_device_scalarIT2_EEPKiS6_PKS3_S8_S4_PS3_21rocsparse_index_base_b,"axG",@progbits,_ZN9rocsparseL19gebsrmvn_2xn_kernelILj128ELj9ELj64EdEEvi20rocsparse_direction_NS_24const_host_device_scalarIT2_EEPKiS6_PKS3_S8_S4_PS3_21rocsparse_index_base_b,comdat
.Lfunc_end115:
	.size	_ZN9rocsparseL19gebsrmvn_2xn_kernelILj128ELj9ELj64EdEEvi20rocsparse_direction_NS_24const_host_device_scalarIT2_EEPKiS6_PKS3_S8_S4_PS3_21rocsparse_index_base_b, .Lfunc_end115-_ZN9rocsparseL19gebsrmvn_2xn_kernelILj128ELj9ELj64EdEEvi20rocsparse_direction_NS_24const_host_device_scalarIT2_EEPKiS6_PKS3_S8_S4_PS3_21rocsparse_index_base_b
                                        ; -- End function
	.set _ZN9rocsparseL19gebsrmvn_2xn_kernelILj128ELj9ELj64EdEEvi20rocsparse_direction_NS_24const_host_device_scalarIT2_EEPKiS6_PKS3_S8_S4_PS3_21rocsparse_index_base_b.num_vgpr, 72
	.set _ZN9rocsparseL19gebsrmvn_2xn_kernelILj128ELj9ELj64EdEEvi20rocsparse_direction_NS_24const_host_device_scalarIT2_EEPKiS6_PKS3_S8_S4_PS3_21rocsparse_index_base_b.num_agpr, 0
	.set _ZN9rocsparseL19gebsrmvn_2xn_kernelILj128ELj9ELj64EdEEvi20rocsparse_direction_NS_24const_host_device_scalarIT2_EEPKiS6_PKS3_S8_S4_PS3_21rocsparse_index_base_b.numbered_sgpr, 16
	.set _ZN9rocsparseL19gebsrmvn_2xn_kernelILj128ELj9ELj64EdEEvi20rocsparse_direction_NS_24const_host_device_scalarIT2_EEPKiS6_PKS3_S8_S4_PS3_21rocsparse_index_base_b.num_named_barrier, 0
	.set _ZN9rocsparseL19gebsrmvn_2xn_kernelILj128ELj9ELj64EdEEvi20rocsparse_direction_NS_24const_host_device_scalarIT2_EEPKiS6_PKS3_S8_S4_PS3_21rocsparse_index_base_b.private_seg_size, 0
	.set _ZN9rocsparseL19gebsrmvn_2xn_kernelILj128ELj9ELj64EdEEvi20rocsparse_direction_NS_24const_host_device_scalarIT2_EEPKiS6_PKS3_S8_S4_PS3_21rocsparse_index_base_b.uses_vcc, 1
	.set _ZN9rocsparseL19gebsrmvn_2xn_kernelILj128ELj9ELj64EdEEvi20rocsparse_direction_NS_24const_host_device_scalarIT2_EEPKiS6_PKS3_S8_S4_PS3_21rocsparse_index_base_b.uses_flat_scratch, 0
	.set _ZN9rocsparseL19gebsrmvn_2xn_kernelILj128ELj9ELj64EdEEvi20rocsparse_direction_NS_24const_host_device_scalarIT2_EEPKiS6_PKS3_S8_S4_PS3_21rocsparse_index_base_b.has_dyn_sized_stack, 0
	.set _ZN9rocsparseL19gebsrmvn_2xn_kernelILj128ELj9ELj64EdEEvi20rocsparse_direction_NS_24const_host_device_scalarIT2_EEPKiS6_PKS3_S8_S4_PS3_21rocsparse_index_base_b.has_recursion, 0
	.set _ZN9rocsparseL19gebsrmvn_2xn_kernelILj128ELj9ELj64EdEEvi20rocsparse_direction_NS_24const_host_device_scalarIT2_EEPKiS6_PKS3_S8_S4_PS3_21rocsparse_index_base_b.has_indirect_call, 0
	.section	.AMDGPU.csdata,"",@progbits
; Kernel info:
; codeLenInByte = 3204
; TotalNumSgprs: 18
; NumVgprs: 72
; ScratchSize: 0
; MemoryBound: 0
; FloatMode: 240
; IeeeMode: 1
; LDSByteSize: 0 bytes/workgroup (compile time only)
; SGPRBlocks: 0
; VGPRBlocks: 8
; NumSGPRsForWavesPerEU: 18
; NumVGPRsForWavesPerEU: 72
; Occupancy: 12
; WaveLimiterHint : 1
; COMPUTE_PGM_RSRC2:SCRATCH_EN: 0
; COMPUTE_PGM_RSRC2:USER_SGPR: 6
; COMPUTE_PGM_RSRC2:TRAP_HANDLER: 0
; COMPUTE_PGM_RSRC2:TGID_X_EN: 1
; COMPUTE_PGM_RSRC2:TGID_Y_EN: 0
; COMPUTE_PGM_RSRC2:TGID_Z_EN: 0
; COMPUTE_PGM_RSRC2:TIDIG_COMP_CNT: 0
	.section	.text._ZN9rocsparseL19gebsrmvn_2xn_kernelILj128ELj10ELj4EdEEvi20rocsparse_direction_NS_24const_host_device_scalarIT2_EEPKiS6_PKS3_S8_S4_PS3_21rocsparse_index_base_b,"axG",@progbits,_ZN9rocsparseL19gebsrmvn_2xn_kernelILj128ELj10ELj4EdEEvi20rocsparse_direction_NS_24const_host_device_scalarIT2_EEPKiS6_PKS3_S8_S4_PS3_21rocsparse_index_base_b,comdat
	.globl	_ZN9rocsparseL19gebsrmvn_2xn_kernelILj128ELj10ELj4EdEEvi20rocsparse_direction_NS_24const_host_device_scalarIT2_EEPKiS6_PKS3_S8_S4_PS3_21rocsparse_index_base_b ; -- Begin function _ZN9rocsparseL19gebsrmvn_2xn_kernelILj128ELj10ELj4EdEEvi20rocsparse_direction_NS_24const_host_device_scalarIT2_EEPKiS6_PKS3_S8_S4_PS3_21rocsparse_index_base_b
	.p2align	8
	.type	_ZN9rocsparseL19gebsrmvn_2xn_kernelILj128ELj10ELj4EdEEvi20rocsparse_direction_NS_24const_host_device_scalarIT2_EEPKiS6_PKS3_S8_S4_PS3_21rocsparse_index_base_b,@function
_ZN9rocsparseL19gebsrmvn_2xn_kernelILj128ELj10ELj4EdEEvi20rocsparse_direction_NS_24const_host_device_scalarIT2_EEPKiS6_PKS3_S8_S4_PS3_21rocsparse_index_base_b: ; @_ZN9rocsparseL19gebsrmvn_2xn_kernelILj128ELj10ELj4EdEEvi20rocsparse_direction_NS_24const_host_device_scalarIT2_EEPKiS6_PKS3_S8_S4_PS3_21rocsparse_index_base_b
; %bb.0:
	s_clause 0x2
	s_load_dwordx2 s[2:3], s[4:5], 0x40
	s_load_dwordx2 s[8:9], s[4:5], 0x8
	;; [unrolled: 1-line block ×3, first 2 shown]
	s_waitcnt lgkmcnt(0)
	s_bitcmp1_b32 s3, 0
	v_mov_b32_e32 v1, s8
	v_mov_b32_e32 v2, s9
	s_cselect_b32 s3, -1, 0
	s_and_b32 vcc_lo, exec_lo, s3
	s_xor_b32 s3, s3, -1
	s_cbranch_vccnz .LBB116_2
; %bb.1:
	v_mov_b32_e32 v1, s8
	v_mov_b32_e32 v2, s9
	flat_load_dwordx2 v[1:2], v[1:2]
.LBB116_2:
	v_mov_b32_e32 v4, s1
	v_mov_b32_e32 v3, s0
	s_andn2_b32 vcc_lo, exec_lo, s3
	s_cbranch_vccnz .LBB116_4
; %bb.3:
	v_mov_b32_e32 v4, s1
	v_mov_b32_e32 v3, s0
	flat_load_dwordx2 v[3:4], v[3:4]
.LBB116_4:
	s_waitcnt vmcnt(0) lgkmcnt(0)
	v_cmp_neq_f64_e32 vcc_lo, 0, v[1:2]
	v_cmp_neq_f64_e64 s0, 1.0, v[3:4]
	s_or_b32 s0, vcc_lo, s0
	s_and_saveexec_b32 s1, s0
	s_cbranch_execz .LBB116_23
; %bb.5:
	s_load_dwordx2 s[0:1], s[4:5], 0x0
	v_lshrrev_b32_e32 v5, 2, v0
	v_lshl_or_b32 v5, s6, 5, v5
	s_waitcnt lgkmcnt(0)
	v_cmp_gt_i32_e32 vcc_lo, s0, v5
	s_and_b32 exec_lo, exec_lo, vcc_lo
	s_cbranch_execz .LBB116_23
; %bb.6:
	s_load_dwordx8 s[8:15], s[4:5], 0x10
	v_ashrrev_i32_e32 v6, 31, v5
	v_and_b32_e32 v0, 3, v0
	s_cmp_lg_u32 s1, 0
	v_lshlrev_b64 v[6:7], 2, v[5:6]
	s_waitcnt lgkmcnt(0)
	v_add_co_u32 v6, vcc_lo, s8, v6
	v_add_co_ci_u32_e64 v7, null, s9, v7, vcc_lo
	global_load_dwordx2 v[6:7], v[6:7], off
	s_waitcnt vmcnt(0)
	v_subrev_nc_u32_e32 v6, s2, v6
	v_subrev_nc_u32_e32 v17, s2, v7
	v_add_nc_u32_e32 v6, v6, v0
	v_cmp_lt_i32_e64 s0, v6, v17
	s_cbranch_scc0 .LBB116_12
; %bb.7:
	v_mov_b32_e32 v10, 0
	v_mov_b32_e32 v8, 0
	;; [unrolled: 1-line block ×4, first 2 shown]
	s_and_saveexec_b32 s1, s0
	s_cbranch_execz .LBB116_11
; %bb.8:
	v_mad_u64_u32 v[12:13], null, v6, 20, 18
	v_mov_b32_e32 v10, 0
	v_mov_b32_e32 v8, 0
	;; [unrolled: 1-line block ×6, first 2 shown]
	s_mov_b32 s3, 0
.LBB116_9:                              ; =>This Inner Loop Header: Depth=1
	v_ashrrev_i32_e32 v16, 31, v15
	v_subrev_nc_u32_e32 v13, 18, v12
	v_mov_b32_e32 v67, v14
	v_lshlrev_b64 v[18:19], 2, v[15:16]
	v_add_nc_u32_e32 v15, 4, v15
	v_add_co_u32 v18, vcc_lo, s10, v18
	v_add_co_ci_u32_e64 v19, null, s11, v19, vcc_lo
	global_load_dword v7, v[18:19], off
	v_lshlrev_b64 v[18:19], 3, v[13:14]
	v_add_nc_u32_e32 v13, -14, v12
	v_lshlrev_b64 v[30:31], 3, v[13:14]
	v_add_co_u32 v22, vcc_lo, s12, v18
	v_add_co_ci_u32_e64 v23, null, s13, v19, vcc_lo
	s_waitcnt vmcnt(0)
	v_subrev_nc_u32_e32 v7, s2, v7
	v_mul_lo_u32 v66, v7, 10
	v_lshlrev_b64 v[20:21], 3, v[66:67]
	v_add_nc_u32_e32 v13, 2, v66
	v_lshlrev_b64 v[32:33], 3, v[13:14]
	v_add_co_u32 v26, vcc_lo, s14, v20
	v_add_co_ci_u32_e64 v27, null, s15, v21, vcc_lo
	s_clause 0x1
	global_load_dwordx4 v[18:21], v[22:23], off offset:16
	global_load_dwordx4 v[22:25], v[22:23], off
	global_load_dwordx4 v[26:29], v[26:27], off
	v_add_co_u32 v30, vcc_lo, s12, v30
	v_add_co_ci_u32_e64 v31, null, s13, v31, vcc_lo
	v_add_co_u32 v34, vcc_lo, s14, v32
	v_add_co_ci_u32_e64 v35, null, s15, v33, vcc_lo
	global_load_dwordx4 v[30:33], v[30:31], off
	global_load_dwordx4 v[34:37], v[34:35], off
	v_add_nc_u32_e32 v13, -12, v12
	v_lshlrev_b64 v[38:39], 3, v[13:14]
	v_add_nc_u32_e32 v13, -10, v12
	v_add_co_u32 v38, vcc_lo, s12, v38
	v_add_co_ci_u32_e64 v39, null, s13, v39, vcc_lo
	v_lshlrev_b64 v[42:43], 3, v[13:14]
	v_add_nc_u32_e32 v13, 4, v66
	global_load_dwordx4 v[38:41], v[38:39], off
	v_lshlrev_b64 v[44:45], 3, v[13:14]
	v_add_co_u32 v42, vcc_lo, s12, v42
	v_add_co_ci_u32_e64 v43, null, s13, v43, vcc_lo
	v_add_nc_u32_e32 v13, -8, v12
	v_add_co_u32 v46, vcc_lo, s14, v44
	v_add_co_ci_u32_e64 v47, null, s15, v45, vcc_lo
	global_load_dwordx4 v[42:45], v[42:43], off
	global_load_dwordx4 v[46:49], v[46:47], off
	v_lshlrev_b64 v[50:51], 3, v[13:14]
	v_add_nc_u32_e32 v13, -6, v12
	v_add_co_u32 v50, vcc_lo, s12, v50
	v_add_co_ci_u32_e64 v51, null, s13, v51, vcc_lo
	v_lshlrev_b64 v[54:55], 3, v[13:14]
	v_add_nc_u32_e32 v13, 6, v66
	global_load_dwordx4 v[50:53], v[50:51], off
	v_lshlrev_b64 v[56:57], 3, v[13:14]
	v_add_co_u32 v54, vcc_lo, s12, v54
	v_add_co_ci_u32_e64 v55, null, s13, v55, vcc_lo
	v_add_nc_u32_e32 v13, -4, v12
	v_add_co_u32 v58, vcc_lo, s14, v56
	v_add_co_ci_u32_e64 v59, null, s15, v57, vcc_lo
	global_load_dwordx4 v[54:57], v[54:55], off
	global_load_dwordx4 v[58:61], v[58:59], off
	v_lshlrev_b64 v[62:63], 3, v[13:14]
	v_add_nc_u32_e32 v13, -2, v12
	v_add_co_u32 v62, vcc_lo, s12, v62
	v_add_co_ci_u32_e64 v63, null, s13, v63, vcc_lo
	v_lshlrev_b64 v[67:68], 3, v[13:14]
	v_add_nc_u32_e32 v13, 8, v66
	global_load_dwordx4 v[62:65], v[62:63], off
	v_lshlrev_b64 v[69:70], 3, v[13:14]
	v_add_co_u32 v66, vcc_lo, s12, v67
	v_add_co_ci_u32_e64 v67, null, s13, v68, vcc_lo
	v_mov_b32_e32 v13, v14
	v_add_co_u32 v71, vcc_lo, s14, v69
	v_add_co_ci_u32_e64 v72, null, s15, v70, vcc_lo
	global_load_dwordx4 v[66:69], v[66:67], off
	global_load_dwordx4 v[70:73], v[71:72], off
	v_lshlrev_b64 v[74:75], 3, v[12:13]
	v_add_nc_u32_e32 v12, 0x50, v12
	v_add_co_u32 v74, vcc_lo, s12, v74
	v_add_co_ci_u32_e64 v75, null, s13, v75, vcc_lo
	v_cmp_ge_i32_e32 vcc_lo, v15, v17
	global_load_dwordx4 v[74:77], v[74:75], off
	s_or_b32 s3, vcc_lo, s3
	s_waitcnt vmcnt(12)
	v_fma_f64 v[10:11], v[22:23], v[26:27], v[10:11]
	v_fma_f64 v[7:8], v[24:25], v[26:27], v[8:9]
	;; [unrolled: 1-line block ×4, first 2 shown]
	s_waitcnt vmcnt(10)
	v_fma_f64 v[9:10], v[30:31], v[34:35], v[9:10]
	v_fma_f64 v[7:8], v[32:33], v[34:35], v[7:8]
	s_waitcnt vmcnt(9)
	v_fma_f64 v[9:10], v[38:39], v[36:37], v[9:10]
	v_fma_f64 v[7:8], v[40:41], v[36:37], v[7:8]
	;; [unrolled: 3-line block ×8, first 2 shown]
	s_andn2_b32 exec_lo, exec_lo, s3
	s_cbranch_execnz .LBB116_9
; %bb.10:
	s_or_b32 exec_lo, exec_lo, s3
.LBB116_11:
	s_or_b32 exec_lo, exec_lo, s1
	s_cbranch_execz .LBB116_13
	s_branch .LBB116_18
.LBB116_12:
                                        ; implicit-def: $vgpr10_vgpr11
                                        ; implicit-def: $vgpr8_vgpr9
.LBB116_13:
	v_mov_b32_e32 v10, 0
	v_mov_b32_e32 v8, 0
	;; [unrolled: 1-line block ×4, first 2 shown]
	s_and_saveexec_b32 s1, s0
	s_cbranch_execz .LBB116_17
; %bb.14:
	v_mad_u64_u32 v[12:13], null, v6, 20, 19
	v_mov_b32_e32 v10, 0
	v_mov_b32_e32 v8, 0
	;; [unrolled: 1-line block ×5, first 2 shown]
	s_mov_b32 s0, 0
.LBB116_15:                             ; =>This Inner Loop Header: Depth=1
	v_ashrrev_i32_e32 v7, 31, v6
	v_add_nc_u32_e32 v18, -9, v12
	v_mov_b32_e32 v19, v15
	v_mov_b32_e32 v39, v15
	v_lshlrev_b64 v[13:14], 2, v[6:7]
	v_add_nc_u32_e32 v6, 4, v6
	v_lshlrev_b64 v[18:19], 3, v[18:19]
	v_add_co_u32 v13, vcc_lo, s10, v13
	v_add_co_ci_u32_e64 v14, null, s11, v14, vcc_lo
	global_load_dword v7, v[13:14], off
	v_subrev_nc_u32_e32 v14, 19, v12
	v_mov_b32_e32 v13, v15
	v_lshlrev_b64 v[20:21], 3, v[14:15]
	v_lshlrev_b64 v[22:23], 3, v[12:13]
	v_add_nc_u32_e32 v14, -8, v12
	v_add_co_u32 v24, vcc_lo, s12, v20
	v_add_co_ci_u32_e64 v25, null, s13, v21, vcc_lo
	v_add_co_u32 v26, vcc_lo, s12, v18
	v_add_co_ci_u32_e64 v27, null, s13, v19, vcc_lo
	v_lshlrev_b64 v[13:14], 3, v[14:15]
	v_add_co_u32 v40, vcc_lo, s12, v22
	v_add_co_ci_u32_e64 v41, null, s13, v23, vcc_lo
	s_clause 0x2
	global_load_dwordx4 v[18:21], v[24:25], off offset:16
	global_load_dwordx4 v[22:25], v[24:25], off
	global_load_dwordx2 v[42:43], v[26:27], off
	v_add_co_u32 v13, vcc_lo, s12, v13
	v_add_co_ci_u32_e64 v14, null, s13, v14, vcc_lo
	s_waitcnt vmcnt(3)
	v_subrev_nc_u32_e32 v7, s2, v7
	v_mul_lo_u32 v38, v7, 10
	v_lshlrev_b64 v[26:27], 3, v[38:39]
	v_add_co_u32 v26, vcc_lo, s14, v26
	v_add_co_ci_u32_e64 v27, null, s15, v27, vcc_lo
	global_load_dwordx4 v[26:29], v[26:27], off
	global_load_dwordx2 v[44:45], v[13:14], off
	v_add_nc_u32_e32 v14, 2, v38
	v_lshlrev_b64 v[30:31], 3, v[14:15]
	v_add_nc_u32_e32 v14, -7, v12
	v_lshlrev_b64 v[34:35], 3, v[14:15]
	v_add_co_u32 v30, vcc_lo, s14, v30
	v_add_co_ci_u32_e64 v31, null, s15, v31, vcc_lo
	v_add_nc_u32_e32 v14, -6, v12
	v_add_co_u32 v34, vcc_lo, s12, v34
	v_add_co_ci_u32_e64 v35, null, s13, v35, vcc_lo
	global_load_dwordx4 v[30:33], v[30:31], off
	v_lshlrev_b64 v[36:37], 3, v[14:15]
	v_add_nc_u32_e32 v14, -15, v12
	global_load_dwordx2 v[48:49], v[34:35], off
	v_add_co_u32 v36, vcc_lo, s12, v36
	v_lshlrev_b64 v[46:47], 3, v[14:15]
	v_add_nc_u32_e32 v14, 4, v38
	v_add_co_ci_u32_e64 v37, null, s13, v37, vcc_lo
	global_load_dwordx2 v[50:51], v[36:37], off
	v_lshlrev_b64 v[34:35], 3, v[14:15]
	v_add_nc_u32_e32 v14, -5, v12
	v_add_co_u32 v36, vcc_lo, s12, v46
	v_add_co_ci_u32_e64 v37, null, s13, v47, vcc_lo
	v_lshlrev_b64 v[46:47], 3, v[14:15]
	v_add_nc_u32_e32 v14, -14, v12
	v_add_co_u32 v34, vcc_lo, s14, v34
	v_add_co_ci_u32_e64 v35, null, s15, v35, vcc_lo
	;; [unrolled: 4-line block ×3, first 2 shown]
	v_lshlrev_b64 v[56:57], 3, v[14:15]
	v_add_co_u32 v54, vcc_lo, s12, v54
	v_add_co_ci_u32_e64 v55, null, s13, v55, vcc_lo
	s_clause 0x1
	global_load_dwordx2 v[52:53], v[36:37], off
	global_load_dwordx2 v[46:47], v[46:47], off
	v_add_co_u32 v56, vcc_lo, s12, v56
	v_add_co_ci_u32_e64 v57, null, s13, v57, vcc_lo
	global_load_dwordx2 v[54:55], v[54:55], off
	v_add_nc_u32_e32 v14, -13, v12
	global_load_dwordx2 v[56:57], v[56:57], off
	global_load_dwordx4 v[34:37], v[34:35], off
	v_lshlrev_b64 v[58:59], 3, v[14:15]
	v_add_nc_u32_e32 v14, 6, v38
	v_lshlrev_b64 v[60:61], 3, v[14:15]
	v_add_nc_u32_e32 v14, -3, v12
	v_add_co_u32 v58, vcc_lo, s12, v58
	v_add_co_ci_u32_e64 v59, null, s13, v59, vcc_lo
	v_lshlrev_b64 v[62:63], 3, v[14:15]
	v_add_nc_u32_e32 v14, -12, v12
	v_add_co_u32 v60, vcc_lo, s14, v60
	v_add_co_ci_u32_e64 v61, null, s15, v61, vcc_lo
	;; [unrolled: 4-line block ×3, first 2 shown]
	v_add_co_u32 v64, vcc_lo, s12, v64
	v_add_co_ci_u32_e64 v65, null, s13, v65, vcc_lo
	global_load_dwordx2 v[58:59], v[58:59], off
	s_waitcnt vmcnt(10)
	v_fma_f64 v[10:11], v[22:23], v[26:27], v[10:11]
	v_lshlrev_b64 v[22:23], 3, v[14:15]
	v_add_nc_u32_e32 v14, -11, v12
	v_fma_f64 v[7:8], v[42:43], v[26:27], v[8:9]
	v_fma_f64 v[10:11], v[24:25], v[28:29], v[10:11]
	v_lshlrev_b64 v[24:25], 3, v[14:15]
	v_add_nc_u32_e32 v14, 8, v38
	v_add_co_u32 v38, vcc_lo, s12, v22
	v_add_co_ci_u32_e64 v39, null, s13, v23, vcc_lo
	v_add_co_u32 v66, vcc_lo, s12, v24
	v_add_co_ci_u32_e64 v67, null, s13, v25, vcc_lo
	global_load_dwordx4 v[22:25], v[60:61], off
	s_clause 0x2
	global_load_dwordx2 v[60:61], v[62:63], off
	global_load_dwordx2 v[62:63], v[64:65], off
	;; [unrolled: 1-line block ×3, first 2 shown]
	v_lshlrev_b64 v[26:27], 3, v[14:15]
	v_add_nc_u32_e32 v14, -1, v12
	s_waitcnt vmcnt(13)
	v_fma_f64 v[7:8], v[44:45], v[28:29], v[7:8]
	global_load_dwordx2 v[42:43], v[66:67], off
	v_lshlrev_b64 v[28:29], 3, v[14:15]
	v_add_nc_u32_e32 v14, -10, v12
	v_add_co_u32 v26, vcc_lo, s14, v26
	v_add_co_ci_u32_e64 v27, null, s15, v27, vcc_lo
	v_lshlrev_b64 v[13:14], 3, v[14:15]
	v_add_co_u32 v44, vcc_lo, s12, v28
	v_add_co_ci_u32_e64 v45, null, s13, v29, vcc_lo
	s_waitcnt vmcnt(13)
	v_fma_f64 v[9:10], v[18:19], v[30:31], v[10:11]
	v_add_co_u32 v13, vcc_lo, s12, v13
	v_add_co_ci_u32_e64 v14, null, s13, v14, vcc_lo
	global_load_dwordx4 v[26:29], v[26:27], off
	s_clause 0x2
	global_load_dwordx2 v[44:45], v[44:45], off
	global_load_dwordx2 v[40:41], v[40:41], off
	;; [unrolled: 1-line block ×3, first 2 shown]
	v_cmp_ge_i32_e32 vcc_lo, v6, v17
	s_waitcnt vmcnt(16)
	v_fma_f64 v[7:8], v[48:49], v[30:31], v[7:8]
	v_add_nc_u32_e32 v12, 0x50, v12
	s_or_b32 s0, vcc_lo, s0
	v_fma_f64 v[9:10], v[20:21], v[32:33], v[9:10]
	s_waitcnt vmcnt(15)
	v_fma_f64 v[7:8], v[50:51], v[32:33], v[7:8]
	s_waitcnt vmcnt(10)
	v_fma_f64 v[9:10], v[52:53], v[34:35], v[9:10]
	v_fma_f64 v[7:8], v[46:47], v[34:35], v[7:8]
	;; [unrolled: 1-line block ×4, first 2 shown]
	s_waitcnt vmcnt(8)
	v_fma_f64 v[9:10], v[58:59], v[22:23], v[9:10]
	s_waitcnt vmcnt(7)
	v_fma_f64 v[7:8], v[60:61], v[22:23], v[7:8]
	;; [unrolled: 2-line block ×7, first 2 shown]
	v_fma_f64 v[8:9], v[40:41], v[28:29], v[7:8]
	s_andn2_b32 exec_lo, exec_lo, s0
	s_cbranch_execnz .LBB116_15
; %bb.16:
	s_or_b32 exec_lo, exec_lo, s0
.LBB116_17:
	s_or_b32 exec_lo, exec_lo, s1
.LBB116_18:
	v_mbcnt_lo_u32_b32 v14, -1, 0
	v_xor_b32_e32 v6, 2, v14
	v_cmp_gt_i32_e32 vcc_lo, 32, v6
	v_cndmask_b32_e32 v6, v14, v6, vcc_lo
	v_lshlrev_b32_e32 v13, 2, v6
	ds_bpermute_b32 v6, v13, v10
	ds_bpermute_b32 v7, v13, v11
	;; [unrolled: 1-line block ×4, first 2 shown]
	s_waitcnt lgkmcnt(2)
	v_add_f64 v[6:7], v[10:11], v[6:7]
	s_waitcnt lgkmcnt(0)
	v_add_f64 v[10:11], v[8:9], v[12:13]
	v_xor_b32_e32 v8, 1, v14
	v_cmp_gt_i32_e32 vcc_lo, 32, v8
	v_cndmask_b32_e32 v8, v14, v8, vcc_lo
	v_cmp_eq_u32_e32 vcc_lo, 3, v0
	v_lshlrev_b32_e32 v13, 2, v8
	ds_bpermute_b32 v8, v13, v6
	ds_bpermute_b32 v9, v13, v7
	;; [unrolled: 1-line block ×4, first 2 shown]
	s_and_b32 exec_lo, exec_lo, vcc_lo
	s_cbranch_execz .LBB116_23
; %bb.19:
	s_waitcnt lgkmcnt(2)
	v_add_f64 v[8:9], v[6:7], v[8:9]
	s_waitcnt lgkmcnt(0)
	v_add_f64 v[6:7], v[10:11], v[12:13]
	s_load_dwordx2 s[0:1], s[4:5], 0x38
	s_mov_b32 s2, exec_lo
	v_cmpx_eq_f64_e32 0, v[3:4]
	s_xor_b32 s2, exec_lo, s2
	s_cbranch_execz .LBB116_21
; %bb.20:
	v_lshlrev_b32_e32 v0, 1, v5
	v_mul_f64 v[3:4], v[1:2], v[8:9]
	v_mul_f64 v[5:6], v[1:2], v[6:7]
                                        ; implicit-def: $vgpr8_vgpr9
	v_ashrrev_i32_e32 v1, 31, v0
	v_lshlrev_b64 v[0:1], 3, v[0:1]
	s_waitcnt lgkmcnt(0)
	v_add_co_u32 v0, vcc_lo, s0, v0
	v_add_co_ci_u32_e64 v1, null, s1, v1, vcc_lo
	global_store_dwordx4 v[0:1], v[3:6], off
                                        ; implicit-def: $vgpr5
                                        ; implicit-def: $vgpr1_vgpr2
                                        ; implicit-def: $vgpr3_vgpr4
                                        ; implicit-def: $vgpr6_vgpr7
.LBB116_21:
	s_andn2_saveexec_b32 s2, s2
	s_cbranch_execz .LBB116_23
; %bb.22:
	v_lshlrev_b32_e32 v10, 1, v5
	v_mul_f64 v[8:9], v[1:2], v[8:9]
	v_mul_f64 v[5:6], v[1:2], v[6:7]
	v_ashrrev_i32_e32 v11, 31, v10
	v_lshlrev_b64 v[10:11], 3, v[10:11]
	s_waitcnt lgkmcnt(0)
	v_add_co_u32 v14, vcc_lo, s0, v10
	v_add_co_ci_u32_e64 v15, null, s1, v11, vcc_lo
	global_load_dwordx4 v[10:13], v[14:15], off
	s_waitcnt vmcnt(0)
	v_fma_f64 v[0:1], v[3:4], v[10:11], v[8:9]
	v_fma_f64 v[2:3], v[3:4], v[12:13], v[5:6]
	global_store_dwordx4 v[14:15], v[0:3], off
.LBB116_23:
	s_endpgm
	.section	.rodata,"a",@progbits
	.p2align	6, 0x0
	.amdhsa_kernel _ZN9rocsparseL19gebsrmvn_2xn_kernelILj128ELj10ELj4EdEEvi20rocsparse_direction_NS_24const_host_device_scalarIT2_EEPKiS6_PKS3_S8_S4_PS3_21rocsparse_index_base_b
		.amdhsa_group_segment_fixed_size 0
		.amdhsa_private_segment_fixed_size 0
		.amdhsa_kernarg_size 72
		.amdhsa_user_sgpr_count 6
		.amdhsa_user_sgpr_private_segment_buffer 1
		.amdhsa_user_sgpr_dispatch_ptr 0
		.amdhsa_user_sgpr_queue_ptr 0
		.amdhsa_user_sgpr_kernarg_segment_ptr 1
		.amdhsa_user_sgpr_dispatch_id 0
		.amdhsa_user_sgpr_flat_scratch_init 0
		.amdhsa_user_sgpr_private_segment_size 0
		.amdhsa_wavefront_size32 1
		.amdhsa_uses_dynamic_stack 0
		.amdhsa_system_sgpr_private_segment_wavefront_offset 0
		.amdhsa_system_sgpr_workgroup_id_x 1
		.amdhsa_system_sgpr_workgroup_id_y 0
		.amdhsa_system_sgpr_workgroup_id_z 0
		.amdhsa_system_sgpr_workgroup_info 0
		.amdhsa_system_vgpr_workitem_id 0
		.amdhsa_next_free_vgpr 78
		.amdhsa_next_free_sgpr 16
		.amdhsa_reserve_vcc 1
		.amdhsa_reserve_flat_scratch 0
		.amdhsa_float_round_mode_32 0
		.amdhsa_float_round_mode_16_64 0
		.amdhsa_float_denorm_mode_32 3
		.amdhsa_float_denorm_mode_16_64 3
		.amdhsa_dx10_clamp 1
		.amdhsa_ieee_mode 1
		.amdhsa_fp16_overflow 0
		.amdhsa_workgroup_processor_mode 1
		.amdhsa_memory_ordered 1
		.amdhsa_forward_progress 1
		.amdhsa_shared_vgpr_count 0
		.amdhsa_exception_fp_ieee_invalid_op 0
		.amdhsa_exception_fp_denorm_src 0
		.amdhsa_exception_fp_ieee_div_zero 0
		.amdhsa_exception_fp_ieee_overflow 0
		.amdhsa_exception_fp_ieee_underflow 0
		.amdhsa_exception_fp_ieee_inexact 0
		.amdhsa_exception_int_div_zero 0
	.end_amdhsa_kernel
	.section	.text._ZN9rocsparseL19gebsrmvn_2xn_kernelILj128ELj10ELj4EdEEvi20rocsparse_direction_NS_24const_host_device_scalarIT2_EEPKiS6_PKS3_S8_S4_PS3_21rocsparse_index_base_b,"axG",@progbits,_ZN9rocsparseL19gebsrmvn_2xn_kernelILj128ELj10ELj4EdEEvi20rocsparse_direction_NS_24const_host_device_scalarIT2_EEPKiS6_PKS3_S8_S4_PS3_21rocsparse_index_base_b,comdat
.Lfunc_end116:
	.size	_ZN9rocsparseL19gebsrmvn_2xn_kernelILj128ELj10ELj4EdEEvi20rocsparse_direction_NS_24const_host_device_scalarIT2_EEPKiS6_PKS3_S8_S4_PS3_21rocsparse_index_base_b, .Lfunc_end116-_ZN9rocsparseL19gebsrmvn_2xn_kernelILj128ELj10ELj4EdEEvi20rocsparse_direction_NS_24const_host_device_scalarIT2_EEPKiS6_PKS3_S8_S4_PS3_21rocsparse_index_base_b
                                        ; -- End function
	.set _ZN9rocsparseL19gebsrmvn_2xn_kernelILj128ELj10ELj4EdEEvi20rocsparse_direction_NS_24const_host_device_scalarIT2_EEPKiS6_PKS3_S8_S4_PS3_21rocsparse_index_base_b.num_vgpr, 78
	.set _ZN9rocsparseL19gebsrmvn_2xn_kernelILj128ELj10ELj4EdEEvi20rocsparse_direction_NS_24const_host_device_scalarIT2_EEPKiS6_PKS3_S8_S4_PS3_21rocsparse_index_base_b.num_agpr, 0
	.set _ZN9rocsparseL19gebsrmvn_2xn_kernelILj128ELj10ELj4EdEEvi20rocsparse_direction_NS_24const_host_device_scalarIT2_EEPKiS6_PKS3_S8_S4_PS3_21rocsparse_index_base_b.numbered_sgpr, 16
	.set _ZN9rocsparseL19gebsrmvn_2xn_kernelILj128ELj10ELj4EdEEvi20rocsparse_direction_NS_24const_host_device_scalarIT2_EEPKiS6_PKS3_S8_S4_PS3_21rocsparse_index_base_b.num_named_barrier, 0
	.set _ZN9rocsparseL19gebsrmvn_2xn_kernelILj128ELj10ELj4EdEEvi20rocsparse_direction_NS_24const_host_device_scalarIT2_EEPKiS6_PKS3_S8_S4_PS3_21rocsparse_index_base_b.private_seg_size, 0
	.set _ZN9rocsparseL19gebsrmvn_2xn_kernelILj128ELj10ELj4EdEEvi20rocsparse_direction_NS_24const_host_device_scalarIT2_EEPKiS6_PKS3_S8_S4_PS3_21rocsparse_index_base_b.uses_vcc, 1
	.set _ZN9rocsparseL19gebsrmvn_2xn_kernelILj128ELj10ELj4EdEEvi20rocsparse_direction_NS_24const_host_device_scalarIT2_EEPKiS6_PKS3_S8_S4_PS3_21rocsparse_index_base_b.uses_flat_scratch, 0
	.set _ZN9rocsparseL19gebsrmvn_2xn_kernelILj128ELj10ELj4EdEEvi20rocsparse_direction_NS_24const_host_device_scalarIT2_EEPKiS6_PKS3_S8_S4_PS3_21rocsparse_index_base_b.has_dyn_sized_stack, 0
	.set _ZN9rocsparseL19gebsrmvn_2xn_kernelILj128ELj10ELj4EdEEvi20rocsparse_direction_NS_24const_host_device_scalarIT2_EEPKiS6_PKS3_S8_S4_PS3_21rocsparse_index_base_b.has_recursion, 0
	.set _ZN9rocsparseL19gebsrmvn_2xn_kernelILj128ELj10ELj4EdEEvi20rocsparse_direction_NS_24const_host_device_scalarIT2_EEPKiS6_PKS3_S8_S4_PS3_21rocsparse_index_base_b.has_indirect_call, 0
	.section	.AMDGPU.csdata,"",@progbits
; Kernel info:
; codeLenInByte = 2648
; TotalNumSgprs: 18
; NumVgprs: 78
; ScratchSize: 0
; MemoryBound: 0
; FloatMode: 240
; IeeeMode: 1
; LDSByteSize: 0 bytes/workgroup (compile time only)
; SGPRBlocks: 0
; VGPRBlocks: 9
; NumSGPRsForWavesPerEU: 18
; NumVGPRsForWavesPerEU: 78
; Occupancy: 12
; WaveLimiterHint : 1
; COMPUTE_PGM_RSRC2:SCRATCH_EN: 0
; COMPUTE_PGM_RSRC2:USER_SGPR: 6
; COMPUTE_PGM_RSRC2:TRAP_HANDLER: 0
; COMPUTE_PGM_RSRC2:TGID_X_EN: 1
; COMPUTE_PGM_RSRC2:TGID_Y_EN: 0
; COMPUTE_PGM_RSRC2:TGID_Z_EN: 0
; COMPUTE_PGM_RSRC2:TIDIG_COMP_CNT: 0
	.section	.text._ZN9rocsparseL19gebsrmvn_2xn_kernelILj128ELj10ELj8EdEEvi20rocsparse_direction_NS_24const_host_device_scalarIT2_EEPKiS6_PKS3_S8_S4_PS3_21rocsparse_index_base_b,"axG",@progbits,_ZN9rocsparseL19gebsrmvn_2xn_kernelILj128ELj10ELj8EdEEvi20rocsparse_direction_NS_24const_host_device_scalarIT2_EEPKiS6_PKS3_S8_S4_PS3_21rocsparse_index_base_b,comdat
	.globl	_ZN9rocsparseL19gebsrmvn_2xn_kernelILj128ELj10ELj8EdEEvi20rocsparse_direction_NS_24const_host_device_scalarIT2_EEPKiS6_PKS3_S8_S4_PS3_21rocsparse_index_base_b ; -- Begin function _ZN9rocsparseL19gebsrmvn_2xn_kernelILj128ELj10ELj8EdEEvi20rocsparse_direction_NS_24const_host_device_scalarIT2_EEPKiS6_PKS3_S8_S4_PS3_21rocsparse_index_base_b
	.p2align	8
	.type	_ZN9rocsparseL19gebsrmvn_2xn_kernelILj128ELj10ELj8EdEEvi20rocsparse_direction_NS_24const_host_device_scalarIT2_EEPKiS6_PKS3_S8_S4_PS3_21rocsparse_index_base_b,@function
_ZN9rocsparseL19gebsrmvn_2xn_kernelILj128ELj10ELj8EdEEvi20rocsparse_direction_NS_24const_host_device_scalarIT2_EEPKiS6_PKS3_S8_S4_PS3_21rocsparse_index_base_b: ; @_ZN9rocsparseL19gebsrmvn_2xn_kernelILj128ELj10ELj8EdEEvi20rocsparse_direction_NS_24const_host_device_scalarIT2_EEPKiS6_PKS3_S8_S4_PS3_21rocsparse_index_base_b
; %bb.0:
	s_clause 0x2
	s_load_dwordx2 s[2:3], s[4:5], 0x40
	s_load_dwordx2 s[8:9], s[4:5], 0x8
	;; [unrolled: 1-line block ×3, first 2 shown]
	s_waitcnt lgkmcnt(0)
	s_bitcmp1_b32 s3, 0
	v_mov_b32_e32 v1, s8
	v_mov_b32_e32 v2, s9
	s_cselect_b32 s3, -1, 0
	s_and_b32 vcc_lo, exec_lo, s3
	s_xor_b32 s3, s3, -1
	s_cbranch_vccnz .LBB117_2
; %bb.1:
	v_mov_b32_e32 v1, s8
	v_mov_b32_e32 v2, s9
	flat_load_dwordx2 v[1:2], v[1:2]
.LBB117_2:
	v_mov_b32_e32 v4, s1
	v_mov_b32_e32 v3, s0
	s_andn2_b32 vcc_lo, exec_lo, s3
	s_cbranch_vccnz .LBB117_4
; %bb.3:
	v_mov_b32_e32 v4, s1
	v_mov_b32_e32 v3, s0
	flat_load_dwordx2 v[3:4], v[3:4]
.LBB117_4:
	s_waitcnt vmcnt(0) lgkmcnt(0)
	v_cmp_neq_f64_e32 vcc_lo, 0, v[1:2]
	v_cmp_neq_f64_e64 s0, 1.0, v[3:4]
	s_or_b32 s0, vcc_lo, s0
	s_and_saveexec_b32 s1, s0
	s_cbranch_execz .LBB117_23
; %bb.5:
	s_load_dwordx2 s[0:1], s[4:5], 0x0
	v_lshrrev_b32_e32 v5, 3, v0
	v_lshl_or_b32 v5, s6, 4, v5
	s_waitcnt lgkmcnt(0)
	v_cmp_gt_i32_e32 vcc_lo, s0, v5
	s_and_b32 exec_lo, exec_lo, vcc_lo
	s_cbranch_execz .LBB117_23
; %bb.6:
	s_load_dwordx8 s[8:15], s[4:5], 0x10
	v_ashrrev_i32_e32 v6, 31, v5
	v_and_b32_e32 v0, 7, v0
	s_cmp_lg_u32 s1, 0
	v_lshlrev_b64 v[6:7], 2, v[5:6]
	s_waitcnt lgkmcnt(0)
	v_add_co_u32 v6, vcc_lo, s8, v6
	v_add_co_ci_u32_e64 v7, null, s9, v7, vcc_lo
	global_load_dwordx2 v[6:7], v[6:7], off
	s_waitcnt vmcnt(0)
	v_subrev_nc_u32_e32 v6, s2, v6
	v_subrev_nc_u32_e32 v17, s2, v7
	v_add_nc_u32_e32 v6, v6, v0
	v_cmp_lt_i32_e64 s0, v6, v17
	s_cbranch_scc0 .LBB117_12
; %bb.7:
	v_mov_b32_e32 v10, 0
	v_mov_b32_e32 v8, 0
	;; [unrolled: 1-line block ×4, first 2 shown]
	s_and_saveexec_b32 s1, s0
	s_cbranch_execz .LBB117_11
; %bb.8:
	v_mad_u64_u32 v[12:13], null, v6, 20, 18
	v_mov_b32_e32 v10, 0
	v_mov_b32_e32 v8, 0
	;; [unrolled: 1-line block ×6, first 2 shown]
	s_mov_b32 s3, 0
.LBB117_9:                              ; =>This Inner Loop Header: Depth=1
	v_ashrrev_i32_e32 v16, 31, v15
	v_subrev_nc_u32_e32 v13, 18, v12
	v_mov_b32_e32 v67, v14
	v_lshlrev_b64 v[18:19], 2, v[15:16]
	v_add_nc_u32_e32 v15, 8, v15
	v_add_co_u32 v18, vcc_lo, s10, v18
	v_add_co_ci_u32_e64 v19, null, s11, v19, vcc_lo
	global_load_dword v7, v[18:19], off
	v_lshlrev_b64 v[18:19], 3, v[13:14]
	v_add_nc_u32_e32 v13, -14, v12
	v_lshlrev_b64 v[30:31], 3, v[13:14]
	v_add_co_u32 v22, vcc_lo, s12, v18
	v_add_co_ci_u32_e64 v23, null, s13, v19, vcc_lo
	s_waitcnt vmcnt(0)
	v_subrev_nc_u32_e32 v7, s2, v7
	v_mul_lo_u32 v66, v7, 10
	v_lshlrev_b64 v[20:21], 3, v[66:67]
	v_add_nc_u32_e32 v13, 2, v66
	v_lshlrev_b64 v[32:33], 3, v[13:14]
	v_add_co_u32 v26, vcc_lo, s14, v20
	v_add_co_ci_u32_e64 v27, null, s15, v21, vcc_lo
	s_clause 0x1
	global_load_dwordx4 v[18:21], v[22:23], off offset:16
	global_load_dwordx4 v[22:25], v[22:23], off
	global_load_dwordx4 v[26:29], v[26:27], off
	v_add_co_u32 v30, vcc_lo, s12, v30
	v_add_co_ci_u32_e64 v31, null, s13, v31, vcc_lo
	v_add_co_u32 v34, vcc_lo, s14, v32
	v_add_co_ci_u32_e64 v35, null, s15, v33, vcc_lo
	global_load_dwordx4 v[30:33], v[30:31], off
	global_load_dwordx4 v[34:37], v[34:35], off
	v_add_nc_u32_e32 v13, -12, v12
	v_lshlrev_b64 v[38:39], 3, v[13:14]
	v_add_nc_u32_e32 v13, -10, v12
	v_add_co_u32 v38, vcc_lo, s12, v38
	v_add_co_ci_u32_e64 v39, null, s13, v39, vcc_lo
	v_lshlrev_b64 v[42:43], 3, v[13:14]
	v_add_nc_u32_e32 v13, 4, v66
	global_load_dwordx4 v[38:41], v[38:39], off
	v_lshlrev_b64 v[44:45], 3, v[13:14]
	v_add_co_u32 v42, vcc_lo, s12, v42
	v_add_co_ci_u32_e64 v43, null, s13, v43, vcc_lo
	v_add_nc_u32_e32 v13, -8, v12
	v_add_co_u32 v46, vcc_lo, s14, v44
	v_add_co_ci_u32_e64 v47, null, s15, v45, vcc_lo
	global_load_dwordx4 v[42:45], v[42:43], off
	global_load_dwordx4 v[46:49], v[46:47], off
	v_lshlrev_b64 v[50:51], 3, v[13:14]
	v_add_nc_u32_e32 v13, -6, v12
	v_add_co_u32 v50, vcc_lo, s12, v50
	v_add_co_ci_u32_e64 v51, null, s13, v51, vcc_lo
	v_lshlrev_b64 v[54:55], 3, v[13:14]
	v_add_nc_u32_e32 v13, 6, v66
	global_load_dwordx4 v[50:53], v[50:51], off
	v_lshlrev_b64 v[56:57], 3, v[13:14]
	v_add_co_u32 v54, vcc_lo, s12, v54
	v_add_co_ci_u32_e64 v55, null, s13, v55, vcc_lo
	v_add_nc_u32_e32 v13, -4, v12
	v_add_co_u32 v58, vcc_lo, s14, v56
	v_add_co_ci_u32_e64 v59, null, s15, v57, vcc_lo
	global_load_dwordx4 v[54:57], v[54:55], off
	global_load_dwordx4 v[58:61], v[58:59], off
	v_lshlrev_b64 v[62:63], 3, v[13:14]
	v_add_nc_u32_e32 v13, -2, v12
	v_add_co_u32 v62, vcc_lo, s12, v62
	v_add_co_ci_u32_e64 v63, null, s13, v63, vcc_lo
	v_lshlrev_b64 v[67:68], 3, v[13:14]
	v_add_nc_u32_e32 v13, 8, v66
	global_load_dwordx4 v[62:65], v[62:63], off
	v_lshlrev_b64 v[69:70], 3, v[13:14]
	v_add_co_u32 v66, vcc_lo, s12, v67
	v_add_co_ci_u32_e64 v67, null, s13, v68, vcc_lo
	v_mov_b32_e32 v13, v14
	v_add_co_u32 v71, vcc_lo, s14, v69
	v_add_co_ci_u32_e64 v72, null, s15, v70, vcc_lo
	global_load_dwordx4 v[66:69], v[66:67], off
	global_load_dwordx4 v[70:73], v[71:72], off
	v_lshlrev_b64 v[74:75], 3, v[12:13]
	v_add_nc_u32_e32 v12, 0xa0, v12
	v_add_co_u32 v74, vcc_lo, s12, v74
	v_add_co_ci_u32_e64 v75, null, s13, v75, vcc_lo
	v_cmp_ge_i32_e32 vcc_lo, v15, v17
	global_load_dwordx4 v[74:77], v[74:75], off
	s_or_b32 s3, vcc_lo, s3
	s_waitcnt vmcnt(12)
	v_fma_f64 v[10:11], v[22:23], v[26:27], v[10:11]
	v_fma_f64 v[7:8], v[24:25], v[26:27], v[8:9]
	;; [unrolled: 1-line block ×4, first 2 shown]
	s_waitcnt vmcnt(10)
	v_fma_f64 v[9:10], v[30:31], v[34:35], v[9:10]
	v_fma_f64 v[7:8], v[32:33], v[34:35], v[7:8]
	s_waitcnt vmcnt(9)
	v_fma_f64 v[9:10], v[38:39], v[36:37], v[9:10]
	v_fma_f64 v[7:8], v[40:41], v[36:37], v[7:8]
	;; [unrolled: 3-line block ×8, first 2 shown]
	s_andn2_b32 exec_lo, exec_lo, s3
	s_cbranch_execnz .LBB117_9
; %bb.10:
	s_or_b32 exec_lo, exec_lo, s3
.LBB117_11:
	s_or_b32 exec_lo, exec_lo, s1
	s_cbranch_execz .LBB117_13
	s_branch .LBB117_18
.LBB117_12:
                                        ; implicit-def: $vgpr10_vgpr11
                                        ; implicit-def: $vgpr8_vgpr9
.LBB117_13:
	v_mov_b32_e32 v10, 0
	v_mov_b32_e32 v8, 0
	;; [unrolled: 1-line block ×4, first 2 shown]
	s_and_saveexec_b32 s1, s0
	s_cbranch_execz .LBB117_17
; %bb.14:
	v_mad_u64_u32 v[12:13], null, v6, 20, 19
	v_mov_b32_e32 v10, 0
	v_mov_b32_e32 v8, 0
	;; [unrolled: 1-line block ×5, first 2 shown]
	s_mov_b32 s0, 0
.LBB117_15:                             ; =>This Inner Loop Header: Depth=1
	v_ashrrev_i32_e32 v7, 31, v6
	v_add_nc_u32_e32 v18, -9, v12
	v_mov_b32_e32 v19, v15
	v_mov_b32_e32 v39, v15
	v_lshlrev_b64 v[13:14], 2, v[6:7]
	v_add_nc_u32_e32 v6, 8, v6
	v_lshlrev_b64 v[18:19], 3, v[18:19]
	v_add_co_u32 v13, vcc_lo, s10, v13
	v_add_co_ci_u32_e64 v14, null, s11, v14, vcc_lo
	global_load_dword v7, v[13:14], off
	v_subrev_nc_u32_e32 v14, 19, v12
	v_mov_b32_e32 v13, v15
	v_lshlrev_b64 v[20:21], 3, v[14:15]
	v_lshlrev_b64 v[22:23], 3, v[12:13]
	v_add_nc_u32_e32 v14, -8, v12
	v_add_co_u32 v24, vcc_lo, s12, v20
	v_add_co_ci_u32_e64 v25, null, s13, v21, vcc_lo
	v_add_co_u32 v26, vcc_lo, s12, v18
	v_add_co_ci_u32_e64 v27, null, s13, v19, vcc_lo
	v_lshlrev_b64 v[13:14], 3, v[14:15]
	v_add_co_u32 v40, vcc_lo, s12, v22
	v_add_co_ci_u32_e64 v41, null, s13, v23, vcc_lo
	s_clause 0x2
	global_load_dwordx4 v[18:21], v[24:25], off offset:16
	global_load_dwordx4 v[22:25], v[24:25], off
	global_load_dwordx2 v[42:43], v[26:27], off
	v_add_co_u32 v13, vcc_lo, s12, v13
	v_add_co_ci_u32_e64 v14, null, s13, v14, vcc_lo
	s_waitcnt vmcnt(3)
	v_subrev_nc_u32_e32 v7, s2, v7
	v_mul_lo_u32 v38, v7, 10
	v_lshlrev_b64 v[26:27], 3, v[38:39]
	v_add_co_u32 v26, vcc_lo, s14, v26
	v_add_co_ci_u32_e64 v27, null, s15, v27, vcc_lo
	global_load_dwordx4 v[26:29], v[26:27], off
	global_load_dwordx2 v[44:45], v[13:14], off
	v_add_nc_u32_e32 v14, 2, v38
	v_lshlrev_b64 v[30:31], 3, v[14:15]
	v_add_nc_u32_e32 v14, -7, v12
	v_lshlrev_b64 v[34:35], 3, v[14:15]
	v_add_co_u32 v30, vcc_lo, s14, v30
	v_add_co_ci_u32_e64 v31, null, s15, v31, vcc_lo
	v_add_nc_u32_e32 v14, -6, v12
	v_add_co_u32 v34, vcc_lo, s12, v34
	v_add_co_ci_u32_e64 v35, null, s13, v35, vcc_lo
	global_load_dwordx4 v[30:33], v[30:31], off
	v_lshlrev_b64 v[36:37], 3, v[14:15]
	v_add_nc_u32_e32 v14, -15, v12
	global_load_dwordx2 v[48:49], v[34:35], off
	v_add_co_u32 v36, vcc_lo, s12, v36
	v_lshlrev_b64 v[46:47], 3, v[14:15]
	v_add_nc_u32_e32 v14, 4, v38
	v_add_co_ci_u32_e64 v37, null, s13, v37, vcc_lo
	global_load_dwordx2 v[50:51], v[36:37], off
	v_lshlrev_b64 v[34:35], 3, v[14:15]
	v_add_nc_u32_e32 v14, -5, v12
	v_add_co_u32 v36, vcc_lo, s12, v46
	v_add_co_ci_u32_e64 v37, null, s13, v47, vcc_lo
	v_lshlrev_b64 v[46:47], 3, v[14:15]
	v_add_nc_u32_e32 v14, -14, v12
	v_add_co_u32 v34, vcc_lo, s14, v34
	v_add_co_ci_u32_e64 v35, null, s15, v35, vcc_lo
	;; [unrolled: 4-line block ×3, first 2 shown]
	v_lshlrev_b64 v[56:57], 3, v[14:15]
	v_add_co_u32 v54, vcc_lo, s12, v54
	v_add_co_ci_u32_e64 v55, null, s13, v55, vcc_lo
	s_clause 0x1
	global_load_dwordx2 v[52:53], v[36:37], off
	global_load_dwordx2 v[46:47], v[46:47], off
	v_add_co_u32 v56, vcc_lo, s12, v56
	v_add_co_ci_u32_e64 v57, null, s13, v57, vcc_lo
	global_load_dwordx2 v[54:55], v[54:55], off
	v_add_nc_u32_e32 v14, -13, v12
	global_load_dwordx2 v[56:57], v[56:57], off
	global_load_dwordx4 v[34:37], v[34:35], off
	v_lshlrev_b64 v[58:59], 3, v[14:15]
	v_add_nc_u32_e32 v14, 6, v38
	v_lshlrev_b64 v[60:61], 3, v[14:15]
	v_add_nc_u32_e32 v14, -3, v12
	v_add_co_u32 v58, vcc_lo, s12, v58
	v_add_co_ci_u32_e64 v59, null, s13, v59, vcc_lo
	v_lshlrev_b64 v[62:63], 3, v[14:15]
	v_add_nc_u32_e32 v14, -12, v12
	v_add_co_u32 v60, vcc_lo, s14, v60
	v_add_co_ci_u32_e64 v61, null, s15, v61, vcc_lo
	;; [unrolled: 4-line block ×3, first 2 shown]
	v_add_co_u32 v64, vcc_lo, s12, v64
	v_add_co_ci_u32_e64 v65, null, s13, v65, vcc_lo
	global_load_dwordx2 v[58:59], v[58:59], off
	s_waitcnt vmcnt(10)
	v_fma_f64 v[10:11], v[22:23], v[26:27], v[10:11]
	v_lshlrev_b64 v[22:23], 3, v[14:15]
	v_add_nc_u32_e32 v14, -11, v12
	v_fma_f64 v[7:8], v[42:43], v[26:27], v[8:9]
	v_fma_f64 v[10:11], v[24:25], v[28:29], v[10:11]
	v_lshlrev_b64 v[24:25], 3, v[14:15]
	v_add_nc_u32_e32 v14, 8, v38
	v_add_co_u32 v38, vcc_lo, s12, v22
	v_add_co_ci_u32_e64 v39, null, s13, v23, vcc_lo
	v_add_co_u32 v66, vcc_lo, s12, v24
	v_add_co_ci_u32_e64 v67, null, s13, v25, vcc_lo
	global_load_dwordx4 v[22:25], v[60:61], off
	s_clause 0x2
	global_load_dwordx2 v[60:61], v[62:63], off
	global_load_dwordx2 v[62:63], v[64:65], off
	;; [unrolled: 1-line block ×3, first 2 shown]
	v_lshlrev_b64 v[26:27], 3, v[14:15]
	v_add_nc_u32_e32 v14, -1, v12
	s_waitcnt vmcnt(13)
	v_fma_f64 v[7:8], v[44:45], v[28:29], v[7:8]
	global_load_dwordx2 v[42:43], v[66:67], off
	v_lshlrev_b64 v[28:29], 3, v[14:15]
	v_add_nc_u32_e32 v14, -10, v12
	v_add_co_u32 v26, vcc_lo, s14, v26
	v_add_co_ci_u32_e64 v27, null, s15, v27, vcc_lo
	v_lshlrev_b64 v[13:14], 3, v[14:15]
	v_add_co_u32 v44, vcc_lo, s12, v28
	v_add_co_ci_u32_e64 v45, null, s13, v29, vcc_lo
	s_waitcnt vmcnt(13)
	v_fma_f64 v[9:10], v[18:19], v[30:31], v[10:11]
	v_add_co_u32 v13, vcc_lo, s12, v13
	v_add_co_ci_u32_e64 v14, null, s13, v14, vcc_lo
	global_load_dwordx4 v[26:29], v[26:27], off
	s_clause 0x2
	global_load_dwordx2 v[44:45], v[44:45], off
	global_load_dwordx2 v[40:41], v[40:41], off
	;; [unrolled: 1-line block ×3, first 2 shown]
	v_cmp_ge_i32_e32 vcc_lo, v6, v17
	s_waitcnt vmcnt(16)
	v_fma_f64 v[7:8], v[48:49], v[30:31], v[7:8]
	v_add_nc_u32_e32 v12, 0xa0, v12
	s_or_b32 s0, vcc_lo, s0
	v_fma_f64 v[9:10], v[20:21], v[32:33], v[9:10]
	s_waitcnt vmcnt(15)
	v_fma_f64 v[7:8], v[50:51], v[32:33], v[7:8]
	s_waitcnt vmcnt(10)
	v_fma_f64 v[9:10], v[52:53], v[34:35], v[9:10]
	v_fma_f64 v[7:8], v[46:47], v[34:35], v[7:8]
	;; [unrolled: 1-line block ×4, first 2 shown]
	s_waitcnt vmcnt(8)
	v_fma_f64 v[9:10], v[58:59], v[22:23], v[9:10]
	s_waitcnt vmcnt(7)
	v_fma_f64 v[7:8], v[60:61], v[22:23], v[7:8]
	;; [unrolled: 2-line block ×7, first 2 shown]
	v_fma_f64 v[8:9], v[40:41], v[28:29], v[7:8]
	s_andn2_b32 exec_lo, exec_lo, s0
	s_cbranch_execnz .LBB117_15
; %bb.16:
	s_or_b32 exec_lo, exec_lo, s0
.LBB117_17:
	s_or_b32 exec_lo, exec_lo, s1
.LBB117_18:
	v_mbcnt_lo_u32_b32 v14, -1, 0
	v_xor_b32_e32 v6, 4, v14
	v_cmp_gt_i32_e32 vcc_lo, 32, v6
	v_cndmask_b32_e32 v6, v14, v6, vcc_lo
	v_lshlrev_b32_e32 v13, 2, v6
	ds_bpermute_b32 v6, v13, v10
	ds_bpermute_b32 v7, v13, v11
	;; [unrolled: 1-line block ×4, first 2 shown]
	s_waitcnt lgkmcnt(2)
	v_add_f64 v[6:7], v[10:11], v[6:7]
	v_xor_b32_e32 v10, 2, v14
	s_waitcnt lgkmcnt(0)
	v_add_f64 v[8:9], v[8:9], v[12:13]
	v_cmp_gt_i32_e32 vcc_lo, 32, v10
	v_cndmask_b32_e32 v10, v14, v10, vcc_lo
	v_lshlrev_b32_e32 v13, 2, v10
	ds_bpermute_b32 v10, v13, v6
	ds_bpermute_b32 v11, v13, v7
	;; [unrolled: 1-line block ×4, first 2 shown]
	s_waitcnt lgkmcnt(2)
	v_add_f64 v[6:7], v[6:7], v[10:11]
	s_waitcnt lgkmcnt(0)
	v_add_f64 v[10:11], v[8:9], v[12:13]
	v_xor_b32_e32 v8, 1, v14
	v_cmp_gt_i32_e32 vcc_lo, 32, v8
	v_cndmask_b32_e32 v8, v14, v8, vcc_lo
	v_cmp_eq_u32_e32 vcc_lo, 7, v0
	v_lshlrev_b32_e32 v13, 2, v8
	ds_bpermute_b32 v8, v13, v6
	ds_bpermute_b32 v9, v13, v7
	;; [unrolled: 1-line block ×4, first 2 shown]
	s_and_b32 exec_lo, exec_lo, vcc_lo
	s_cbranch_execz .LBB117_23
; %bb.19:
	s_waitcnt lgkmcnt(2)
	v_add_f64 v[8:9], v[6:7], v[8:9]
	s_waitcnt lgkmcnt(0)
	v_add_f64 v[6:7], v[10:11], v[12:13]
	s_load_dwordx2 s[0:1], s[4:5], 0x38
	s_mov_b32 s2, exec_lo
	v_cmpx_eq_f64_e32 0, v[3:4]
	s_xor_b32 s2, exec_lo, s2
	s_cbranch_execz .LBB117_21
; %bb.20:
	v_lshlrev_b32_e32 v0, 1, v5
	v_mul_f64 v[3:4], v[1:2], v[8:9]
	v_mul_f64 v[5:6], v[1:2], v[6:7]
                                        ; implicit-def: $vgpr8_vgpr9
	v_ashrrev_i32_e32 v1, 31, v0
	v_lshlrev_b64 v[0:1], 3, v[0:1]
	s_waitcnt lgkmcnt(0)
	v_add_co_u32 v0, vcc_lo, s0, v0
	v_add_co_ci_u32_e64 v1, null, s1, v1, vcc_lo
	global_store_dwordx4 v[0:1], v[3:6], off
                                        ; implicit-def: $vgpr5
                                        ; implicit-def: $vgpr1_vgpr2
                                        ; implicit-def: $vgpr3_vgpr4
                                        ; implicit-def: $vgpr6_vgpr7
.LBB117_21:
	s_andn2_saveexec_b32 s2, s2
	s_cbranch_execz .LBB117_23
; %bb.22:
	v_lshlrev_b32_e32 v10, 1, v5
	v_mul_f64 v[8:9], v[1:2], v[8:9]
	v_mul_f64 v[5:6], v[1:2], v[6:7]
	v_ashrrev_i32_e32 v11, 31, v10
	v_lshlrev_b64 v[10:11], 3, v[10:11]
	s_waitcnt lgkmcnt(0)
	v_add_co_u32 v14, vcc_lo, s0, v10
	v_add_co_ci_u32_e64 v15, null, s1, v11, vcc_lo
	global_load_dwordx4 v[10:13], v[14:15], off
	s_waitcnt vmcnt(0)
	v_fma_f64 v[0:1], v[3:4], v[10:11], v[8:9]
	v_fma_f64 v[2:3], v[3:4], v[12:13], v[5:6]
	global_store_dwordx4 v[14:15], v[0:3], off
.LBB117_23:
	s_endpgm
	.section	.rodata,"a",@progbits
	.p2align	6, 0x0
	.amdhsa_kernel _ZN9rocsparseL19gebsrmvn_2xn_kernelILj128ELj10ELj8EdEEvi20rocsparse_direction_NS_24const_host_device_scalarIT2_EEPKiS6_PKS3_S8_S4_PS3_21rocsparse_index_base_b
		.amdhsa_group_segment_fixed_size 0
		.amdhsa_private_segment_fixed_size 0
		.amdhsa_kernarg_size 72
		.amdhsa_user_sgpr_count 6
		.amdhsa_user_sgpr_private_segment_buffer 1
		.amdhsa_user_sgpr_dispatch_ptr 0
		.amdhsa_user_sgpr_queue_ptr 0
		.amdhsa_user_sgpr_kernarg_segment_ptr 1
		.amdhsa_user_sgpr_dispatch_id 0
		.amdhsa_user_sgpr_flat_scratch_init 0
		.amdhsa_user_sgpr_private_segment_size 0
		.amdhsa_wavefront_size32 1
		.amdhsa_uses_dynamic_stack 0
		.amdhsa_system_sgpr_private_segment_wavefront_offset 0
		.amdhsa_system_sgpr_workgroup_id_x 1
		.amdhsa_system_sgpr_workgroup_id_y 0
		.amdhsa_system_sgpr_workgroup_id_z 0
		.amdhsa_system_sgpr_workgroup_info 0
		.amdhsa_system_vgpr_workitem_id 0
		.amdhsa_next_free_vgpr 78
		.amdhsa_next_free_sgpr 16
		.amdhsa_reserve_vcc 1
		.amdhsa_reserve_flat_scratch 0
		.amdhsa_float_round_mode_32 0
		.amdhsa_float_round_mode_16_64 0
		.amdhsa_float_denorm_mode_32 3
		.amdhsa_float_denorm_mode_16_64 3
		.amdhsa_dx10_clamp 1
		.amdhsa_ieee_mode 1
		.amdhsa_fp16_overflow 0
		.amdhsa_workgroup_processor_mode 1
		.amdhsa_memory_ordered 1
		.amdhsa_forward_progress 1
		.amdhsa_shared_vgpr_count 0
		.amdhsa_exception_fp_ieee_invalid_op 0
		.amdhsa_exception_fp_denorm_src 0
		.amdhsa_exception_fp_ieee_div_zero 0
		.amdhsa_exception_fp_ieee_overflow 0
		.amdhsa_exception_fp_ieee_underflow 0
		.amdhsa_exception_fp_ieee_inexact 0
		.amdhsa_exception_int_div_zero 0
	.end_amdhsa_kernel
	.section	.text._ZN9rocsparseL19gebsrmvn_2xn_kernelILj128ELj10ELj8EdEEvi20rocsparse_direction_NS_24const_host_device_scalarIT2_EEPKiS6_PKS3_S8_S4_PS3_21rocsparse_index_base_b,"axG",@progbits,_ZN9rocsparseL19gebsrmvn_2xn_kernelILj128ELj10ELj8EdEEvi20rocsparse_direction_NS_24const_host_device_scalarIT2_EEPKiS6_PKS3_S8_S4_PS3_21rocsparse_index_base_b,comdat
.Lfunc_end117:
	.size	_ZN9rocsparseL19gebsrmvn_2xn_kernelILj128ELj10ELj8EdEEvi20rocsparse_direction_NS_24const_host_device_scalarIT2_EEPKiS6_PKS3_S8_S4_PS3_21rocsparse_index_base_b, .Lfunc_end117-_ZN9rocsparseL19gebsrmvn_2xn_kernelILj128ELj10ELj8EdEEvi20rocsparse_direction_NS_24const_host_device_scalarIT2_EEPKiS6_PKS3_S8_S4_PS3_21rocsparse_index_base_b
                                        ; -- End function
	.set _ZN9rocsparseL19gebsrmvn_2xn_kernelILj128ELj10ELj8EdEEvi20rocsparse_direction_NS_24const_host_device_scalarIT2_EEPKiS6_PKS3_S8_S4_PS3_21rocsparse_index_base_b.num_vgpr, 78
	.set _ZN9rocsparseL19gebsrmvn_2xn_kernelILj128ELj10ELj8EdEEvi20rocsparse_direction_NS_24const_host_device_scalarIT2_EEPKiS6_PKS3_S8_S4_PS3_21rocsparse_index_base_b.num_agpr, 0
	.set _ZN9rocsparseL19gebsrmvn_2xn_kernelILj128ELj10ELj8EdEEvi20rocsparse_direction_NS_24const_host_device_scalarIT2_EEPKiS6_PKS3_S8_S4_PS3_21rocsparse_index_base_b.numbered_sgpr, 16
	.set _ZN9rocsparseL19gebsrmvn_2xn_kernelILj128ELj10ELj8EdEEvi20rocsparse_direction_NS_24const_host_device_scalarIT2_EEPKiS6_PKS3_S8_S4_PS3_21rocsparse_index_base_b.num_named_barrier, 0
	.set _ZN9rocsparseL19gebsrmvn_2xn_kernelILj128ELj10ELj8EdEEvi20rocsparse_direction_NS_24const_host_device_scalarIT2_EEPKiS6_PKS3_S8_S4_PS3_21rocsparse_index_base_b.private_seg_size, 0
	.set _ZN9rocsparseL19gebsrmvn_2xn_kernelILj128ELj10ELj8EdEEvi20rocsparse_direction_NS_24const_host_device_scalarIT2_EEPKiS6_PKS3_S8_S4_PS3_21rocsparse_index_base_b.uses_vcc, 1
	.set _ZN9rocsparseL19gebsrmvn_2xn_kernelILj128ELj10ELj8EdEEvi20rocsparse_direction_NS_24const_host_device_scalarIT2_EEPKiS6_PKS3_S8_S4_PS3_21rocsparse_index_base_b.uses_flat_scratch, 0
	.set _ZN9rocsparseL19gebsrmvn_2xn_kernelILj128ELj10ELj8EdEEvi20rocsparse_direction_NS_24const_host_device_scalarIT2_EEPKiS6_PKS3_S8_S4_PS3_21rocsparse_index_base_b.has_dyn_sized_stack, 0
	.set _ZN9rocsparseL19gebsrmvn_2xn_kernelILj128ELj10ELj8EdEEvi20rocsparse_direction_NS_24const_host_device_scalarIT2_EEPKiS6_PKS3_S8_S4_PS3_21rocsparse_index_base_b.has_recursion, 0
	.set _ZN9rocsparseL19gebsrmvn_2xn_kernelILj128ELj10ELj8EdEEvi20rocsparse_direction_NS_24const_host_device_scalarIT2_EEPKiS6_PKS3_S8_S4_PS3_21rocsparse_index_base_b.has_indirect_call, 0
	.section	.AMDGPU.csdata,"",@progbits
; Kernel info:
; codeLenInByte = 2720
; TotalNumSgprs: 18
; NumVgprs: 78
; ScratchSize: 0
; MemoryBound: 0
; FloatMode: 240
; IeeeMode: 1
; LDSByteSize: 0 bytes/workgroup (compile time only)
; SGPRBlocks: 0
; VGPRBlocks: 9
; NumSGPRsForWavesPerEU: 18
; NumVGPRsForWavesPerEU: 78
; Occupancy: 12
; WaveLimiterHint : 1
; COMPUTE_PGM_RSRC2:SCRATCH_EN: 0
; COMPUTE_PGM_RSRC2:USER_SGPR: 6
; COMPUTE_PGM_RSRC2:TRAP_HANDLER: 0
; COMPUTE_PGM_RSRC2:TGID_X_EN: 1
; COMPUTE_PGM_RSRC2:TGID_Y_EN: 0
; COMPUTE_PGM_RSRC2:TGID_Z_EN: 0
; COMPUTE_PGM_RSRC2:TIDIG_COMP_CNT: 0
	.section	.text._ZN9rocsparseL19gebsrmvn_2xn_kernelILj128ELj10ELj16EdEEvi20rocsparse_direction_NS_24const_host_device_scalarIT2_EEPKiS6_PKS3_S8_S4_PS3_21rocsparse_index_base_b,"axG",@progbits,_ZN9rocsparseL19gebsrmvn_2xn_kernelILj128ELj10ELj16EdEEvi20rocsparse_direction_NS_24const_host_device_scalarIT2_EEPKiS6_PKS3_S8_S4_PS3_21rocsparse_index_base_b,comdat
	.globl	_ZN9rocsparseL19gebsrmvn_2xn_kernelILj128ELj10ELj16EdEEvi20rocsparse_direction_NS_24const_host_device_scalarIT2_EEPKiS6_PKS3_S8_S4_PS3_21rocsparse_index_base_b ; -- Begin function _ZN9rocsparseL19gebsrmvn_2xn_kernelILj128ELj10ELj16EdEEvi20rocsparse_direction_NS_24const_host_device_scalarIT2_EEPKiS6_PKS3_S8_S4_PS3_21rocsparse_index_base_b
	.p2align	8
	.type	_ZN9rocsparseL19gebsrmvn_2xn_kernelILj128ELj10ELj16EdEEvi20rocsparse_direction_NS_24const_host_device_scalarIT2_EEPKiS6_PKS3_S8_S4_PS3_21rocsparse_index_base_b,@function
_ZN9rocsparseL19gebsrmvn_2xn_kernelILj128ELj10ELj16EdEEvi20rocsparse_direction_NS_24const_host_device_scalarIT2_EEPKiS6_PKS3_S8_S4_PS3_21rocsparse_index_base_b: ; @_ZN9rocsparseL19gebsrmvn_2xn_kernelILj128ELj10ELj16EdEEvi20rocsparse_direction_NS_24const_host_device_scalarIT2_EEPKiS6_PKS3_S8_S4_PS3_21rocsparse_index_base_b
; %bb.0:
	s_clause 0x2
	s_load_dwordx2 s[2:3], s[4:5], 0x40
	s_load_dwordx2 s[8:9], s[4:5], 0x8
	;; [unrolled: 1-line block ×3, first 2 shown]
	s_waitcnt lgkmcnt(0)
	s_bitcmp1_b32 s3, 0
	v_mov_b32_e32 v1, s8
	v_mov_b32_e32 v2, s9
	s_cselect_b32 s3, -1, 0
	s_and_b32 vcc_lo, exec_lo, s3
	s_xor_b32 s3, s3, -1
	s_cbranch_vccnz .LBB118_2
; %bb.1:
	v_mov_b32_e32 v1, s8
	v_mov_b32_e32 v2, s9
	flat_load_dwordx2 v[1:2], v[1:2]
.LBB118_2:
	v_mov_b32_e32 v4, s1
	v_mov_b32_e32 v3, s0
	s_andn2_b32 vcc_lo, exec_lo, s3
	s_cbranch_vccnz .LBB118_4
; %bb.3:
	v_mov_b32_e32 v4, s1
	v_mov_b32_e32 v3, s0
	flat_load_dwordx2 v[3:4], v[3:4]
.LBB118_4:
	s_waitcnt vmcnt(0) lgkmcnt(0)
	v_cmp_neq_f64_e32 vcc_lo, 0, v[1:2]
	v_cmp_neq_f64_e64 s0, 1.0, v[3:4]
	s_or_b32 s0, vcc_lo, s0
	s_and_saveexec_b32 s1, s0
	s_cbranch_execz .LBB118_23
; %bb.5:
	s_load_dwordx2 s[0:1], s[4:5], 0x0
	v_lshrrev_b32_e32 v5, 4, v0
	v_lshl_or_b32 v5, s6, 3, v5
	s_waitcnt lgkmcnt(0)
	v_cmp_gt_i32_e32 vcc_lo, s0, v5
	s_and_b32 exec_lo, exec_lo, vcc_lo
	s_cbranch_execz .LBB118_23
; %bb.6:
	s_load_dwordx8 s[8:15], s[4:5], 0x10
	v_ashrrev_i32_e32 v6, 31, v5
	v_and_b32_e32 v0, 15, v0
	s_cmp_lg_u32 s1, 0
	v_lshlrev_b64 v[6:7], 2, v[5:6]
	s_waitcnt lgkmcnt(0)
	v_add_co_u32 v6, vcc_lo, s8, v6
	v_add_co_ci_u32_e64 v7, null, s9, v7, vcc_lo
	global_load_dwordx2 v[6:7], v[6:7], off
	s_waitcnt vmcnt(0)
	v_subrev_nc_u32_e32 v6, s2, v6
	v_subrev_nc_u32_e32 v17, s2, v7
	v_add_nc_u32_e32 v6, v6, v0
	v_cmp_lt_i32_e64 s0, v6, v17
	s_cbranch_scc0 .LBB118_12
; %bb.7:
	v_mov_b32_e32 v10, 0
	v_mov_b32_e32 v8, 0
	;; [unrolled: 1-line block ×4, first 2 shown]
	s_and_saveexec_b32 s1, s0
	s_cbranch_execz .LBB118_11
; %bb.8:
	v_mad_u64_u32 v[12:13], null, v6, 20, 18
	v_mov_b32_e32 v10, 0
	v_mov_b32_e32 v8, 0
	;; [unrolled: 1-line block ×6, first 2 shown]
	s_mov_b32 s3, 0
.LBB118_9:                              ; =>This Inner Loop Header: Depth=1
	v_ashrrev_i32_e32 v16, 31, v15
	v_subrev_nc_u32_e32 v13, 18, v12
	v_mov_b32_e32 v67, v14
	v_lshlrev_b64 v[18:19], 2, v[15:16]
	v_add_nc_u32_e32 v15, 16, v15
	v_add_co_u32 v18, vcc_lo, s10, v18
	v_add_co_ci_u32_e64 v19, null, s11, v19, vcc_lo
	global_load_dword v7, v[18:19], off
	v_lshlrev_b64 v[18:19], 3, v[13:14]
	v_add_nc_u32_e32 v13, -14, v12
	v_lshlrev_b64 v[30:31], 3, v[13:14]
	v_add_co_u32 v22, vcc_lo, s12, v18
	v_add_co_ci_u32_e64 v23, null, s13, v19, vcc_lo
	s_waitcnt vmcnt(0)
	v_subrev_nc_u32_e32 v7, s2, v7
	v_mul_lo_u32 v66, v7, 10
	v_lshlrev_b64 v[20:21], 3, v[66:67]
	v_add_nc_u32_e32 v13, 2, v66
	v_lshlrev_b64 v[32:33], 3, v[13:14]
	v_add_co_u32 v26, vcc_lo, s14, v20
	v_add_co_ci_u32_e64 v27, null, s15, v21, vcc_lo
	s_clause 0x1
	global_load_dwordx4 v[18:21], v[22:23], off offset:16
	global_load_dwordx4 v[22:25], v[22:23], off
	global_load_dwordx4 v[26:29], v[26:27], off
	v_add_co_u32 v30, vcc_lo, s12, v30
	v_add_co_ci_u32_e64 v31, null, s13, v31, vcc_lo
	v_add_co_u32 v34, vcc_lo, s14, v32
	v_add_co_ci_u32_e64 v35, null, s15, v33, vcc_lo
	global_load_dwordx4 v[30:33], v[30:31], off
	global_load_dwordx4 v[34:37], v[34:35], off
	v_add_nc_u32_e32 v13, -12, v12
	v_lshlrev_b64 v[38:39], 3, v[13:14]
	v_add_nc_u32_e32 v13, -10, v12
	v_add_co_u32 v38, vcc_lo, s12, v38
	v_add_co_ci_u32_e64 v39, null, s13, v39, vcc_lo
	v_lshlrev_b64 v[42:43], 3, v[13:14]
	v_add_nc_u32_e32 v13, 4, v66
	global_load_dwordx4 v[38:41], v[38:39], off
	v_lshlrev_b64 v[44:45], 3, v[13:14]
	v_add_co_u32 v42, vcc_lo, s12, v42
	v_add_co_ci_u32_e64 v43, null, s13, v43, vcc_lo
	v_add_nc_u32_e32 v13, -8, v12
	v_add_co_u32 v46, vcc_lo, s14, v44
	v_add_co_ci_u32_e64 v47, null, s15, v45, vcc_lo
	global_load_dwordx4 v[42:45], v[42:43], off
	global_load_dwordx4 v[46:49], v[46:47], off
	v_lshlrev_b64 v[50:51], 3, v[13:14]
	v_add_nc_u32_e32 v13, -6, v12
	v_add_co_u32 v50, vcc_lo, s12, v50
	v_add_co_ci_u32_e64 v51, null, s13, v51, vcc_lo
	v_lshlrev_b64 v[54:55], 3, v[13:14]
	v_add_nc_u32_e32 v13, 6, v66
	global_load_dwordx4 v[50:53], v[50:51], off
	v_lshlrev_b64 v[56:57], 3, v[13:14]
	v_add_co_u32 v54, vcc_lo, s12, v54
	v_add_co_ci_u32_e64 v55, null, s13, v55, vcc_lo
	v_add_nc_u32_e32 v13, -4, v12
	v_add_co_u32 v58, vcc_lo, s14, v56
	v_add_co_ci_u32_e64 v59, null, s15, v57, vcc_lo
	global_load_dwordx4 v[54:57], v[54:55], off
	global_load_dwordx4 v[58:61], v[58:59], off
	v_lshlrev_b64 v[62:63], 3, v[13:14]
	v_add_nc_u32_e32 v13, -2, v12
	v_add_co_u32 v62, vcc_lo, s12, v62
	v_add_co_ci_u32_e64 v63, null, s13, v63, vcc_lo
	v_lshlrev_b64 v[67:68], 3, v[13:14]
	v_add_nc_u32_e32 v13, 8, v66
	global_load_dwordx4 v[62:65], v[62:63], off
	v_lshlrev_b64 v[69:70], 3, v[13:14]
	v_add_co_u32 v66, vcc_lo, s12, v67
	v_add_co_ci_u32_e64 v67, null, s13, v68, vcc_lo
	v_mov_b32_e32 v13, v14
	v_add_co_u32 v71, vcc_lo, s14, v69
	v_add_co_ci_u32_e64 v72, null, s15, v70, vcc_lo
	global_load_dwordx4 v[66:69], v[66:67], off
	global_load_dwordx4 v[70:73], v[71:72], off
	v_lshlrev_b64 v[74:75], 3, v[12:13]
	v_add_nc_u32_e32 v12, 0x140, v12
	v_add_co_u32 v74, vcc_lo, s12, v74
	v_add_co_ci_u32_e64 v75, null, s13, v75, vcc_lo
	v_cmp_ge_i32_e32 vcc_lo, v15, v17
	global_load_dwordx4 v[74:77], v[74:75], off
	s_or_b32 s3, vcc_lo, s3
	s_waitcnt vmcnt(12)
	v_fma_f64 v[10:11], v[22:23], v[26:27], v[10:11]
	v_fma_f64 v[7:8], v[24:25], v[26:27], v[8:9]
	;; [unrolled: 1-line block ×4, first 2 shown]
	s_waitcnt vmcnt(10)
	v_fma_f64 v[9:10], v[30:31], v[34:35], v[9:10]
	v_fma_f64 v[7:8], v[32:33], v[34:35], v[7:8]
	s_waitcnt vmcnt(9)
	v_fma_f64 v[9:10], v[38:39], v[36:37], v[9:10]
	v_fma_f64 v[7:8], v[40:41], v[36:37], v[7:8]
	;; [unrolled: 3-line block ×8, first 2 shown]
	s_andn2_b32 exec_lo, exec_lo, s3
	s_cbranch_execnz .LBB118_9
; %bb.10:
	s_or_b32 exec_lo, exec_lo, s3
.LBB118_11:
	s_or_b32 exec_lo, exec_lo, s1
	s_cbranch_execz .LBB118_13
	s_branch .LBB118_18
.LBB118_12:
                                        ; implicit-def: $vgpr10_vgpr11
                                        ; implicit-def: $vgpr8_vgpr9
.LBB118_13:
	v_mov_b32_e32 v10, 0
	v_mov_b32_e32 v8, 0
	;; [unrolled: 1-line block ×4, first 2 shown]
	s_and_saveexec_b32 s1, s0
	s_cbranch_execz .LBB118_17
; %bb.14:
	v_mad_u64_u32 v[12:13], null, v6, 20, 19
	v_mov_b32_e32 v10, 0
	v_mov_b32_e32 v8, 0
	;; [unrolled: 1-line block ×5, first 2 shown]
	s_mov_b32 s0, 0
.LBB118_15:                             ; =>This Inner Loop Header: Depth=1
	v_ashrrev_i32_e32 v7, 31, v6
	v_add_nc_u32_e32 v18, -9, v12
	v_mov_b32_e32 v19, v15
	v_mov_b32_e32 v39, v15
	v_lshlrev_b64 v[13:14], 2, v[6:7]
	v_add_nc_u32_e32 v6, 16, v6
	v_lshlrev_b64 v[18:19], 3, v[18:19]
	v_add_co_u32 v13, vcc_lo, s10, v13
	v_add_co_ci_u32_e64 v14, null, s11, v14, vcc_lo
	global_load_dword v7, v[13:14], off
	v_subrev_nc_u32_e32 v14, 19, v12
	v_mov_b32_e32 v13, v15
	v_lshlrev_b64 v[20:21], 3, v[14:15]
	v_lshlrev_b64 v[22:23], 3, v[12:13]
	v_add_nc_u32_e32 v14, -8, v12
	v_add_co_u32 v24, vcc_lo, s12, v20
	v_add_co_ci_u32_e64 v25, null, s13, v21, vcc_lo
	v_add_co_u32 v26, vcc_lo, s12, v18
	v_add_co_ci_u32_e64 v27, null, s13, v19, vcc_lo
	v_lshlrev_b64 v[13:14], 3, v[14:15]
	v_add_co_u32 v40, vcc_lo, s12, v22
	v_add_co_ci_u32_e64 v41, null, s13, v23, vcc_lo
	s_clause 0x2
	global_load_dwordx4 v[18:21], v[24:25], off offset:16
	global_load_dwordx4 v[22:25], v[24:25], off
	global_load_dwordx2 v[42:43], v[26:27], off
	v_add_co_u32 v13, vcc_lo, s12, v13
	v_add_co_ci_u32_e64 v14, null, s13, v14, vcc_lo
	s_waitcnt vmcnt(3)
	v_subrev_nc_u32_e32 v7, s2, v7
	v_mul_lo_u32 v38, v7, 10
	v_lshlrev_b64 v[26:27], 3, v[38:39]
	v_add_co_u32 v26, vcc_lo, s14, v26
	v_add_co_ci_u32_e64 v27, null, s15, v27, vcc_lo
	global_load_dwordx4 v[26:29], v[26:27], off
	global_load_dwordx2 v[44:45], v[13:14], off
	v_add_nc_u32_e32 v14, 2, v38
	v_lshlrev_b64 v[30:31], 3, v[14:15]
	v_add_nc_u32_e32 v14, -7, v12
	v_lshlrev_b64 v[34:35], 3, v[14:15]
	v_add_co_u32 v30, vcc_lo, s14, v30
	v_add_co_ci_u32_e64 v31, null, s15, v31, vcc_lo
	v_add_nc_u32_e32 v14, -6, v12
	v_add_co_u32 v34, vcc_lo, s12, v34
	v_add_co_ci_u32_e64 v35, null, s13, v35, vcc_lo
	global_load_dwordx4 v[30:33], v[30:31], off
	v_lshlrev_b64 v[36:37], 3, v[14:15]
	v_add_nc_u32_e32 v14, -15, v12
	global_load_dwordx2 v[48:49], v[34:35], off
	v_add_co_u32 v36, vcc_lo, s12, v36
	v_lshlrev_b64 v[46:47], 3, v[14:15]
	v_add_nc_u32_e32 v14, 4, v38
	v_add_co_ci_u32_e64 v37, null, s13, v37, vcc_lo
	global_load_dwordx2 v[50:51], v[36:37], off
	v_lshlrev_b64 v[34:35], 3, v[14:15]
	v_add_nc_u32_e32 v14, -5, v12
	v_add_co_u32 v36, vcc_lo, s12, v46
	v_add_co_ci_u32_e64 v37, null, s13, v47, vcc_lo
	v_lshlrev_b64 v[46:47], 3, v[14:15]
	v_add_nc_u32_e32 v14, -14, v12
	v_add_co_u32 v34, vcc_lo, s14, v34
	v_add_co_ci_u32_e64 v35, null, s15, v35, vcc_lo
	;; [unrolled: 4-line block ×3, first 2 shown]
	v_lshlrev_b64 v[56:57], 3, v[14:15]
	v_add_co_u32 v54, vcc_lo, s12, v54
	v_add_co_ci_u32_e64 v55, null, s13, v55, vcc_lo
	s_clause 0x1
	global_load_dwordx2 v[52:53], v[36:37], off
	global_load_dwordx2 v[46:47], v[46:47], off
	v_add_co_u32 v56, vcc_lo, s12, v56
	v_add_co_ci_u32_e64 v57, null, s13, v57, vcc_lo
	global_load_dwordx2 v[54:55], v[54:55], off
	v_add_nc_u32_e32 v14, -13, v12
	global_load_dwordx2 v[56:57], v[56:57], off
	global_load_dwordx4 v[34:37], v[34:35], off
	v_lshlrev_b64 v[58:59], 3, v[14:15]
	v_add_nc_u32_e32 v14, 6, v38
	v_lshlrev_b64 v[60:61], 3, v[14:15]
	v_add_nc_u32_e32 v14, -3, v12
	v_add_co_u32 v58, vcc_lo, s12, v58
	v_add_co_ci_u32_e64 v59, null, s13, v59, vcc_lo
	v_lshlrev_b64 v[62:63], 3, v[14:15]
	v_add_nc_u32_e32 v14, -12, v12
	v_add_co_u32 v60, vcc_lo, s14, v60
	v_add_co_ci_u32_e64 v61, null, s15, v61, vcc_lo
	;; [unrolled: 4-line block ×3, first 2 shown]
	v_add_co_u32 v64, vcc_lo, s12, v64
	v_add_co_ci_u32_e64 v65, null, s13, v65, vcc_lo
	global_load_dwordx2 v[58:59], v[58:59], off
	s_waitcnt vmcnt(10)
	v_fma_f64 v[10:11], v[22:23], v[26:27], v[10:11]
	v_lshlrev_b64 v[22:23], 3, v[14:15]
	v_add_nc_u32_e32 v14, -11, v12
	v_fma_f64 v[7:8], v[42:43], v[26:27], v[8:9]
	v_fma_f64 v[10:11], v[24:25], v[28:29], v[10:11]
	v_lshlrev_b64 v[24:25], 3, v[14:15]
	v_add_nc_u32_e32 v14, 8, v38
	v_add_co_u32 v38, vcc_lo, s12, v22
	v_add_co_ci_u32_e64 v39, null, s13, v23, vcc_lo
	v_add_co_u32 v66, vcc_lo, s12, v24
	v_add_co_ci_u32_e64 v67, null, s13, v25, vcc_lo
	global_load_dwordx4 v[22:25], v[60:61], off
	s_clause 0x2
	global_load_dwordx2 v[60:61], v[62:63], off
	global_load_dwordx2 v[62:63], v[64:65], off
	global_load_dwordx2 v[38:39], v[38:39], off
	v_lshlrev_b64 v[26:27], 3, v[14:15]
	v_add_nc_u32_e32 v14, -1, v12
	s_waitcnt vmcnt(13)
	v_fma_f64 v[7:8], v[44:45], v[28:29], v[7:8]
	global_load_dwordx2 v[42:43], v[66:67], off
	v_lshlrev_b64 v[28:29], 3, v[14:15]
	v_add_nc_u32_e32 v14, -10, v12
	v_add_co_u32 v26, vcc_lo, s14, v26
	v_add_co_ci_u32_e64 v27, null, s15, v27, vcc_lo
	v_lshlrev_b64 v[13:14], 3, v[14:15]
	v_add_co_u32 v44, vcc_lo, s12, v28
	v_add_co_ci_u32_e64 v45, null, s13, v29, vcc_lo
	s_waitcnt vmcnt(13)
	v_fma_f64 v[9:10], v[18:19], v[30:31], v[10:11]
	v_add_co_u32 v13, vcc_lo, s12, v13
	v_add_co_ci_u32_e64 v14, null, s13, v14, vcc_lo
	global_load_dwordx4 v[26:29], v[26:27], off
	s_clause 0x2
	global_load_dwordx2 v[44:45], v[44:45], off
	global_load_dwordx2 v[40:41], v[40:41], off
	;; [unrolled: 1-line block ×3, first 2 shown]
	v_cmp_ge_i32_e32 vcc_lo, v6, v17
	s_waitcnt vmcnt(16)
	v_fma_f64 v[7:8], v[48:49], v[30:31], v[7:8]
	v_add_nc_u32_e32 v12, 0x140, v12
	s_or_b32 s0, vcc_lo, s0
	v_fma_f64 v[9:10], v[20:21], v[32:33], v[9:10]
	s_waitcnt vmcnt(15)
	v_fma_f64 v[7:8], v[50:51], v[32:33], v[7:8]
	s_waitcnt vmcnt(10)
	v_fma_f64 v[9:10], v[52:53], v[34:35], v[9:10]
	v_fma_f64 v[7:8], v[46:47], v[34:35], v[7:8]
	;; [unrolled: 1-line block ×4, first 2 shown]
	s_waitcnt vmcnt(8)
	v_fma_f64 v[9:10], v[58:59], v[22:23], v[9:10]
	s_waitcnt vmcnt(7)
	v_fma_f64 v[7:8], v[60:61], v[22:23], v[7:8]
	;; [unrolled: 2-line block ×7, first 2 shown]
	v_fma_f64 v[8:9], v[40:41], v[28:29], v[7:8]
	s_andn2_b32 exec_lo, exec_lo, s0
	s_cbranch_execnz .LBB118_15
; %bb.16:
	s_or_b32 exec_lo, exec_lo, s0
.LBB118_17:
	s_or_b32 exec_lo, exec_lo, s1
.LBB118_18:
	v_mbcnt_lo_u32_b32 v14, -1, 0
	v_xor_b32_e32 v6, 8, v14
	v_cmp_gt_i32_e32 vcc_lo, 32, v6
	v_cndmask_b32_e32 v6, v14, v6, vcc_lo
	v_lshlrev_b32_e32 v13, 2, v6
	ds_bpermute_b32 v6, v13, v10
	ds_bpermute_b32 v7, v13, v11
	;; [unrolled: 1-line block ×4, first 2 shown]
	s_waitcnt lgkmcnt(2)
	v_add_f64 v[6:7], v[10:11], v[6:7]
	v_xor_b32_e32 v10, 4, v14
	s_waitcnt lgkmcnt(0)
	v_add_f64 v[8:9], v[8:9], v[12:13]
	v_cmp_gt_i32_e32 vcc_lo, 32, v10
	v_cndmask_b32_e32 v10, v14, v10, vcc_lo
	v_lshlrev_b32_e32 v13, 2, v10
	ds_bpermute_b32 v10, v13, v6
	ds_bpermute_b32 v11, v13, v7
	;; [unrolled: 1-line block ×4, first 2 shown]
	s_waitcnt lgkmcnt(2)
	v_add_f64 v[6:7], v[6:7], v[10:11]
	v_xor_b32_e32 v10, 2, v14
	s_waitcnt lgkmcnt(0)
	v_add_f64 v[8:9], v[8:9], v[12:13]
	v_cmp_gt_i32_e32 vcc_lo, 32, v10
	v_cndmask_b32_e32 v10, v14, v10, vcc_lo
	v_lshlrev_b32_e32 v13, 2, v10
	ds_bpermute_b32 v10, v13, v6
	ds_bpermute_b32 v11, v13, v7
	;; [unrolled: 1-line block ×4, first 2 shown]
	s_waitcnt lgkmcnt(2)
	v_add_f64 v[6:7], v[6:7], v[10:11]
	s_waitcnt lgkmcnt(0)
	v_add_f64 v[10:11], v[8:9], v[12:13]
	v_xor_b32_e32 v8, 1, v14
	v_cmp_gt_i32_e32 vcc_lo, 32, v8
	v_cndmask_b32_e32 v8, v14, v8, vcc_lo
	v_cmp_eq_u32_e32 vcc_lo, 15, v0
	v_lshlrev_b32_e32 v13, 2, v8
	ds_bpermute_b32 v8, v13, v6
	ds_bpermute_b32 v9, v13, v7
	;; [unrolled: 1-line block ×4, first 2 shown]
	s_and_b32 exec_lo, exec_lo, vcc_lo
	s_cbranch_execz .LBB118_23
; %bb.19:
	s_waitcnt lgkmcnt(2)
	v_add_f64 v[8:9], v[6:7], v[8:9]
	s_waitcnt lgkmcnt(0)
	v_add_f64 v[6:7], v[10:11], v[12:13]
	s_load_dwordx2 s[0:1], s[4:5], 0x38
	s_mov_b32 s2, exec_lo
	v_cmpx_eq_f64_e32 0, v[3:4]
	s_xor_b32 s2, exec_lo, s2
	s_cbranch_execz .LBB118_21
; %bb.20:
	v_lshlrev_b32_e32 v0, 1, v5
	v_mul_f64 v[3:4], v[1:2], v[8:9]
	v_mul_f64 v[5:6], v[1:2], v[6:7]
                                        ; implicit-def: $vgpr8_vgpr9
	v_ashrrev_i32_e32 v1, 31, v0
	v_lshlrev_b64 v[0:1], 3, v[0:1]
	s_waitcnt lgkmcnt(0)
	v_add_co_u32 v0, vcc_lo, s0, v0
	v_add_co_ci_u32_e64 v1, null, s1, v1, vcc_lo
	global_store_dwordx4 v[0:1], v[3:6], off
                                        ; implicit-def: $vgpr5
                                        ; implicit-def: $vgpr1_vgpr2
                                        ; implicit-def: $vgpr3_vgpr4
                                        ; implicit-def: $vgpr6_vgpr7
.LBB118_21:
	s_andn2_saveexec_b32 s2, s2
	s_cbranch_execz .LBB118_23
; %bb.22:
	v_lshlrev_b32_e32 v10, 1, v5
	v_mul_f64 v[8:9], v[1:2], v[8:9]
	v_mul_f64 v[5:6], v[1:2], v[6:7]
	v_ashrrev_i32_e32 v11, 31, v10
	v_lshlrev_b64 v[10:11], 3, v[10:11]
	s_waitcnt lgkmcnt(0)
	v_add_co_u32 v14, vcc_lo, s0, v10
	v_add_co_ci_u32_e64 v15, null, s1, v11, vcc_lo
	global_load_dwordx4 v[10:13], v[14:15], off
	s_waitcnt vmcnt(0)
	v_fma_f64 v[0:1], v[3:4], v[10:11], v[8:9]
	v_fma_f64 v[2:3], v[3:4], v[12:13], v[5:6]
	global_store_dwordx4 v[14:15], v[0:3], off
.LBB118_23:
	s_endpgm
	.section	.rodata,"a",@progbits
	.p2align	6, 0x0
	.amdhsa_kernel _ZN9rocsparseL19gebsrmvn_2xn_kernelILj128ELj10ELj16EdEEvi20rocsparse_direction_NS_24const_host_device_scalarIT2_EEPKiS6_PKS3_S8_S4_PS3_21rocsparse_index_base_b
		.amdhsa_group_segment_fixed_size 0
		.amdhsa_private_segment_fixed_size 0
		.amdhsa_kernarg_size 72
		.amdhsa_user_sgpr_count 6
		.amdhsa_user_sgpr_private_segment_buffer 1
		.amdhsa_user_sgpr_dispatch_ptr 0
		.amdhsa_user_sgpr_queue_ptr 0
		.amdhsa_user_sgpr_kernarg_segment_ptr 1
		.amdhsa_user_sgpr_dispatch_id 0
		.amdhsa_user_sgpr_flat_scratch_init 0
		.amdhsa_user_sgpr_private_segment_size 0
		.amdhsa_wavefront_size32 1
		.amdhsa_uses_dynamic_stack 0
		.amdhsa_system_sgpr_private_segment_wavefront_offset 0
		.amdhsa_system_sgpr_workgroup_id_x 1
		.amdhsa_system_sgpr_workgroup_id_y 0
		.amdhsa_system_sgpr_workgroup_id_z 0
		.amdhsa_system_sgpr_workgroup_info 0
		.amdhsa_system_vgpr_workitem_id 0
		.amdhsa_next_free_vgpr 78
		.amdhsa_next_free_sgpr 16
		.amdhsa_reserve_vcc 1
		.amdhsa_reserve_flat_scratch 0
		.amdhsa_float_round_mode_32 0
		.amdhsa_float_round_mode_16_64 0
		.amdhsa_float_denorm_mode_32 3
		.amdhsa_float_denorm_mode_16_64 3
		.amdhsa_dx10_clamp 1
		.amdhsa_ieee_mode 1
		.amdhsa_fp16_overflow 0
		.amdhsa_workgroup_processor_mode 1
		.amdhsa_memory_ordered 1
		.amdhsa_forward_progress 1
		.amdhsa_shared_vgpr_count 0
		.amdhsa_exception_fp_ieee_invalid_op 0
		.amdhsa_exception_fp_denorm_src 0
		.amdhsa_exception_fp_ieee_div_zero 0
		.amdhsa_exception_fp_ieee_overflow 0
		.amdhsa_exception_fp_ieee_underflow 0
		.amdhsa_exception_fp_ieee_inexact 0
		.amdhsa_exception_int_div_zero 0
	.end_amdhsa_kernel
	.section	.text._ZN9rocsparseL19gebsrmvn_2xn_kernelILj128ELj10ELj16EdEEvi20rocsparse_direction_NS_24const_host_device_scalarIT2_EEPKiS6_PKS3_S8_S4_PS3_21rocsparse_index_base_b,"axG",@progbits,_ZN9rocsparseL19gebsrmvn_2xn_kernelILj128ELj10ELj16EdEEvi20rocsparse_direction_NS_24const_host_device_scalarIT2_EEPKiS6_PKS3_S8_S4_PS3_21rocsparse_index_base_b,comdat
.Lfunc_end118:
	.size	_ZN9rocsparseL19gebsrmvn_2xn_kernelILj128ELj10ELj16EdEEvi20rocsparse_direction_NS_24const_host_device_scalarIT2_EEPKiS6_PKS3_S8_S4_PS3_21rocsparse_index_base_b, .Lfunc_end118-_ZN9rocsparseL19gebsrmvn_2xn_kernelILj128ELj10ELj16EdEEvi20rocsparse_direction_NS_24const_host_device_scalarIT2_EEPKiS6_PKS3_S8_S4_PS3_21rocsparse_index_base_b
                                        ; -- End function
	.set _ZN9rocsparseL19gebsrmvn_2xn_kernelILj128ELj10ELj16EdEEvi20rocsparse_direction_NS_24const_host_device_scalarIT2_EEPKiS6_PKS3_S8_S4_PS3_21rocsparse_index_base_b.num_vgpr, 78
	.set _ZN9rocsparseL19gebsrmvn_2xn_kernelILj128ELj10ELj16EdEEvi20rocsparse_direction_NS_24const_host_device_scalarIT2_EEPKiS6_PKS3_S8_S4_PS3_21rocsparse_index_base_b.num_agpr, 0
	.set _ZN9rocsparseL19gebsrmvn_2xn_kernelILj128ELj10ELj16EdEEvi20rocsparse_direction_NS_24const_host_device_scalarIT2_EEPKiS6_PKS3_S8_S4_PS3_21rocsparse_index_base_b.numbered_sgpr, 16
	.set _ZN9rocsparseL19gebsrmvn_2xn_kernelILj128ELj10ELj16EdEEvi20rocsparse_direction_NS_24const_host_device_scalarIT2_EEPKiS6_PKS3_S8_S4_PS3_21rocsparse_index_base_b.num_named_barrier, 0
	.set _ZN9rocsparseL19gebsrmvn_2xn_kernelILj128ELj10ELj16EdEEvi20rocsparse_direction_NS_24const_host_device_scalarIT2_EEPKiS6_PKS3_S8_S4_PS3_21rocsparse_index_base_b.private_seg_size, 0
	.set _ZN9rocsparseL19gebsrmvn_2xn_kernelILj128ELj10ELj16EdEEvi20rocsparse_direction_NS_24const_host_device_scalarIT2_EEPKiS6_PKS3_S8_S4_PS3_21rocsparse_index_base_b.uses_vcc, 1
	.set _ZN9rocsparseL19gebsrmvn_2xn_kernelILj128ELj10ELj16EdEEvi20rocsparse_direction_NS_24const_host_device_scalarIT2_EEPKiS6_PKS3_S8_S4_PS3_21rocsparse_index_base_b.uses_flat_scratch, 0
	.set _ZN9rocsparseL19gebsrmvn_2xn_kernelILj128ELj10ELj16EdEEvi20rocsparse_direction_NS_24const_host_device_scalarIT2_EEPKiS6_PKS3_S8_S4_PS3_21rocsparse_index_base_b.has_dyn_sized_stack, 0
	.set _ZN9rocsparseL19gebsrmvn_2xn_kernelILj128ELj10ELj16EdEEvi20rocsparse_direction_NS_24const_host_device_scalarIT2_EEPKiS6_PKS3_S8_S4_PS3_21rocsparse_index_base_b.has_recursion, 0
	.set _ZN9rocsparseL19gebsrmvn_2xn_kernelILj128ELj10ELj16EdEEvi20rocsparse_direction_NS_24const_host_device_scalarIT2_EEPKiS6_PKS3_S8_S4_PS3_21rocsparse_index_base_b.has_indirect_call, 0
	.section	.AMDGPU.csdata,"",@progbits
; Kernel info:
; codeLenInByte = 2792
; TotalNumSgprs: 18
; NumVgprs: 78
; ScratchSize: 0
; MemoryBound: 0
; FloatMode: 240
; IeeeMode: 1
; LDSByteSize: 0 bytes/workgroup (compile time only)
; SGPRBlocks: 0
; VGPRBlocks: 9
; NumSGPRsForWavesPerEU: 18
; NumVGPRsForWavesPerEU: 78
; Occupancy: 12
; WaveLimiterHint : 1
; COMPUTE_PGM_RSRC2:SCRATCH_EN: 0
; COMPUTE_PGM_RSRC2:USER_SGPR: 6
; COMPUTE_PGM_RSRC2:TRAP_HANDLER: 0
; COMPUTE_PGM_RSRC2:TGID_X_EN: 1
; COMPUTE_PGM_RSRC2:TGID_Y_EN: 0
; COMPUTE_PGM_RSRC2:TGID_Z_EN: 0
; COMPUTE_PGM_RSRC2:TIDIG_COMP_CNT: 0
	.section	.text._ZN9rocsparseL19gebsrmvn_2xn_kernelILj128ELj10ELj32EdEEvi20rocsparse_direction_NS_24const_host_device_scalarIT2_EEPKiS6_PKS3_S8_S4_PS3_21rocsparse_index_base_b,"axG",@progbits,_ZN9rocsparseL19gebsrmvn_2xn_kernelILj128ELj10ELj32EdEEvi20rocsparse_direction_NS_24const_host_device_scalarIT2_EEPKiS6_PKS3_S8_S4_PS3_21rocsparse_index_base_b,comdat
	.globl	_ZN9rocsparseL19gebsrmvn_2xn_kernelILj128ELj10ELj32EdEEvi20rocsparse_direction_NS_24const_host_device_scalarIT2_EEPKiS6_PKS3_S8_S4_PS3_21rocsparse_index_base_b ; -- Begin function _ZN9rocsparseL19gebsrmvn_2xn_kernelILj128ELj10ELj32EdEEvi20rocsparse_direction_NS_24const_host_device_scalarIT2_EEPKiS6_PKS3_S8_S4_PS3_21rocsparse_index_base_b
	.p2align	8
	.type	_ZN9rocsparseL19gebsrmvn_2xn_kernelILj128ELj10ELj32EdEEvi20rocsparse_direction_NS_24const_host_device_scalarIT2_EEPKiS6_PKS3_S8_S4_PS3_21rocsparse_index_base_b,@function
_ZN9rocsparseL19gebsrmvn_2xn_kernelILj128ELj10ELj32EdEEvi20rocsparse_direction_NS_24const_host_device_scalarIT2_EEPKiS6_PKS3_S8_S4_PS3_21rocsparse_index_base_b: ; @_ZN9rocsparseL19gebsrmvn_2xn_kernelILj128ELj10ELj32EdEEvi20rocsparse_direction_NS_24const_host_device_scalarIT2_EEPKiS6_PKS3_S8_S4_PS3_21rocsparse_index_base_b
; %bb.0:
	s_clause 0x2
	s_load_dwordx2 s[2:3], s[4:5], 0x40
	s_load_dwordx2 s[8:9], s[4:5], 0x8
	;; [unrolled: 1-line block ×3, first 2 shown]
	s_waitcnt lgkmcnt(0)
	s_bitcmp1_b32 s3, 0
	v_mov_b32_e32 v1, s8
	v_mov_b32_e32 v2, s9
	s_cselect_b32 s3, -1, 0
	s_and_b32 vcc_lo, exec_lo, s3
	s_xor_b32 s3, s3, -1
	s_cbranch_vccnz .LBB119_2
; %bb.1:
	v_mov_b32_e32 v1, s8
	v_mov_b32_e32 v2, s9
	flat_load_dwordx2 v[1:2], v[1:2]
.LBB119_2:
	v_mov_b32_e32 v4, s1
	v_mov_b32_e32 v3, s0
	s_andn2_b32 vcc_lo, exec_lo, s3
	s_cbranch_vccnz .LBB119_4
; %bb.3:
	v_mov_b32_e32 v4, s1
	v_mov_b32_e32 v3, s0
	flat_load_dwordx2 v[3:4], v[3:4]
.LBB119_4:
	s_waitcnt vmcnt(0) lgkmcnt(0)
	v_cmp_neq_f64_e32 vcc_lo, 0, v[1:2]
	v_cmp_neq_f64_e64 s0, 1.0, v[3:4]
	s_or_b32 s0, vcc_lo, s0
	s_and_saveexec_b32 s1, s0
	s_cbranch_execz .LBB119_23
; %bb.5:
	s_load_dwordx2 s[0:1], s[4:5], 0x0
	v_lshrrev_b32_e32 v5, 5, v0
	v_lshl_or_b32 v5, s6, 2, v5
	s_waitcnt lgkmcnt(0)
	v_cmp_gt_i32_e32 vcc_lo, s0, v5
	s_and_b32 exec_lo, exec_lo, vcc_lo
	s_cbranch_execz .LBB119_23
; %bb.6:
	s_load_dwordx8 s[8:15], s[4:5], 0x10
	v_ashrrev_i32_e32 v6, 31, v5
	v_and_b32_e32 v0, 31, v0
	s_cmp_lg_u32 s1, 0
	v_lshlrev_b64 v[6:7], 2, v[5:6]
	s_waitcnt lgkmcnt(0)
	v_add_co_u32 v6, vcc_lo, s8, v6
	v_add_co_ci_u32_e64 v7, null, s9, v7, vcc_lo
	global_load_dwordx2 v[6:7], v[6:7], off
	s_waitcnt vmcnt(0)
	v_subrev_nc_u32_e32 v6, s2, v6
	v_subrev_nc_u32_e32 v17, s2, v7
	v_add_nc_u32_e32 v6, v6, v0
	v_cmp_lt_i32_e64 s0, v6, v17
	s_cbranch_scc0 .LBB119_12
; %bb.7:
	v_mov_b32_e32 v10, 0
	v_mov_b32_e32 v8, 0
	;; [unrolled: 1-line block ×4, first 2 shown]
	s_and_saveexec_b32 s1, s0
	s_cbranch_execz .LBB119_11
; %bb.8:
	v_mad_u64_u32 v[12:13], null, v6, 20, 18
	v_mov_b32_e32 v10, 0
	v_mov_b32_e32 v8, 0
	;; [unrolled: 1-line block ×6, first 2 shown]
	s_mov_b32 s3, 0
.LBB119_9:                              ; =>This Inner Loop Header: Depth=1
	v_ashrrev_i32_e32 v16, 31, v15
	v_subrev_nc_u32_e32 v13, 18, v12
	v_mov_b32_e32 v67, v14
	v_lshlrev_b64 v[18:19], 2, v[15:16]
	v_add_nc_u32_e32 v15, 32, v15
	v_add_co_u32 v18, vcc_lo, s10, v18
	v_add_co_ci_u32_e64 v19, null, s11, v19, vcc_lo
	global_load_dword v7, v[18:19], off
	v_lshlrev_b64 v[18:19], 3, v[13:14]
	v_add_nc_u32_e32 v13, -14, v12
	v_lshlrev_b64 v[30:31], 3, v[13:14]
	v_add_co_u32 v22, vcc_lo, s12, v18
	v_add_co_ci_u32_e64 v23, null, s13, v19, vcc_lo
	s_waitcnt vmcnt(0)
	v_subrev_nc_u32_e32 v7, s2, v7
	v_mul_lo_u32 v66, v7, 10
	v_lshlrev_b64 v[20:21], 3, v[66:67]
	v_add_nc_u32_e32 v13, 2, v66
	v_lshlrev_b64 v[32:33], 3, v[13:14]
	v_add_co_u32 v26, vcc_lo, s14, v20
	v_add_co_ci_u32_e64 v27, null, s15, v21, vcc_lo
	s_clause 0x1
	global_load_dwordx4 v[18:21], v[22:23], off offset:16
	global_load_dwordx4 v[22:25], v[22:23], off
	global_load_dwordx4 v[26:29], v[26:27], off
	v_add_co_u32 v30, vcc_lo, s12, v30
	v_add_co_ci_u32_e64 v31, null, s13, v31, vcc_lo
	v_add_co_u32 v34, vcc_lo, s14, v32
	v_add_co_ci_u32_e64 v35, null, s15, v33, vcc_lo
	global_load_dwordx4 v[30:33], v[30:31], off
	global_load_dwordx4 v[34:37], v[34:35], off
	v_add_nc_u32_e32 v13, -12, v12
	v_lshlrev_b64 v[38:39], 3, v[13:14]
	v_add_nc_u32_e32 v13, -10, v12
	v_add_co_u32 v38, vcc_lo, s12, v38
	v_add_co_ci_u32_e64 v39, null, s13, v39, vcc_lo
	v_lshlrev_b64 v[42:43], 3, v[13:14]
	v_add_nc_u32_e32 v13, 4, v66
	global_load_dwordx4 v[38:41], v[38:39], off
	v_lshlrev_b64 v[44:45], 3, v[13:14]
	v_add_co_u32 v42, vcc_lo, s12, v42
	v_add_co_ci_u32_e64 v43, null, s13, v43, vcc_lo
	v_add_nc_u32_e32 v13, -8, v12
	v_add_co_u32 v46, vcc_lo, s14, v44
	v_add_co_ci_u32_e64 v47, null, s15, v45, vcc_lo
	global_load_dwordx4 v[42:45], v[42:43], off
	global_load_dwordx4 v[46:49], v[46:47], off
	v_lshlrev_b64 v[50:51], 3, v[13:14]
	v_add_nc_u32_e32 v13, -6, v12
	v_add_co_u32 v50, vcc_lo, s12, v50
	v_add_co_ci_u32_e64 v51, null, s13, v51, vcc_lo
	v_lshlrev_b64 v[54:55], 3, v[13:14]
	v_add_nc_u32_e32 v13, 6, v66
	global_load_dwordx4 v[50:53], v[50:51], off
	v_lshlrev_b64 v[56:57], 3, v[13:14]
	v_add_co_u32 v54, vcc_lo, s12, v54
	v_add_co_ci_u32_e64 v55, null, s13, v55, vcc_lo
	v_add_nc_u32_e32 v13, -4, v12
	v_add_co_u32 v58, vcc_lo, s14, v56
	v_add_co_ci_u32_e64 v59, null, s15, v57, vcc_lo
	global_load_dwordx4 v[54:57], v[54:55], off
	global_load_dwordx4 v[58:61], v[58:59], off
	v_lshlrev_b64 v[62:63], 3, v[13:14]
	v_add_nc_u32_e32 v13, -2, v12
	v_add_co_u32 v62, vcc_lo, s12, v62
	v_add_co_ci_u32_e64 v63, null, s13, v63, vcc_lo
	v_lshlrev_b64 v[67:68], 3, v[13:14]
	v_add_nc_u32_e32 v13, 8, v66
	global_load_dwordx4 v[62:65], v[62:63], off
	v_lshlrev_b64 v[69:70], 3, v[13:14]
	v_add_co_u32 v66, vcc_lo, s12, v67
	v_add_co_ci_u32_e64 v67, null, s13, v68, vcc_lo
	v_mov_b32_e32 v13, v14
	v_add_co_u32 v71, vcc_lo, s14, v69
	v_add_co_ci_u32_e64 v72, null, s15, v70, vcc_lo
	global_load_dwordx4 v[66:69], v[66:67], off
	global_load_dwordx4 v[70:73], v[71:72], off
	v_lshlrev_b64 v[74:75], 3, v[12:13]
	v_add_nc_u32_e32 v12, 0x280, v12
	v_add_co_u32 v74, vcc_lo, s12, v74
	v_add_co_ci_u32_e64 v75, null, s13, v75, vcc_lo
	v_cmp_ge_i32_e32 vcc_lo, v15, v17
	global_load_dwordx4 v[74:77], v[74:75], off
	s_or_b32 s3, vcc_lo, s3
	s_waitcnt vmcnt(12)
	v_fma_f64 v[10:11], v[22:23], v[26:27], v[10:11]
	v_fma_f64 v[7:8], v[24:25], v[26:27], v[8:9]
	v_fma_f64 v[9:10], v[18:19], v[28:29], v[10:11]
	v_fma_f64 v[7:8], v[20:21], v[28:29], v[7:8]
	s_waitcnt vmcnt(10)
	v_fma_f64 v[9:10], v[30:31], v[34:35], v[9:10]
	v_fma_f64 v[7:8], v[32:33], v[34:35], v[7:8]
	s_waitcnt vmcnt(9)
	v_fma_f64 v[9:10], v[38:39], v[36:37], v[9:10]
	v_fma_f64 v[7:8], v[40:41], v[36:37], v[7:8]
	;; [unrolled: 3-line block ×8, first 2 shown]
	s_andn2_b32 exec_lo, exec_lo, s3
	s_cbranch_execnz .LBB119_9
; %bb.10:
	s_or_b32 exec_lo, exec_lo, s3
.LBB119_11:
	s_or_b32 exec_lo, exec_lo, s1
	s_cbranch_execz .LBB119_13
	s_branch .LBB119_18
.LBB119_12:
                                        ; implicit-def: $vgpr10_vgpr11
                                        ; implicit-def: $vgpr8_vgpr9
.LBB119_13:
	v_mov_b32_e32 v10, 0
	v_mov_b32_e32 v8, 0
	;; [unrolled: 1-line block ×4, first 2 shown]
	s_and_saveexec_b32 s1, s0
	s_cbranch_execz .LBB119_17
; %bb.14:
	v_mad_u64_u32 v[12:13], null, v6, 20, 19
	v_mov_b32_e32 v10, 0
	v_mov_b32_e32 v8, 0
	;; [unrolled: 1-line block ×5, first 2 shown]
	s_mov_b32 s0, 0
.LBB119_15:                             ; =>This Inner Loop Header: Depth=1
	v_ashrrev_i32_e32 v7, 31, v6
	v_add_nc_u32_e32 v18, -9, v12
	v_mov_b32_e32 v19, v15
	v_mov_b32_e32 v39, v15
	v_lshlrev_b64 v[13:14], 2, v[6:7]
	v_add_nc_u32_e32 v6, 32, v6
	v_lshlrev_b64 v[18:19], 3, v[18:19]
	v_add_co_u32 v13, vcc_lo, s10, v13
	v_add_co_ci_u32_e64 v14, null, s11, v14, vcc_lo
	global_load_dword v7, v[13:14], off
	v_subrev_nc_u32_e32 v14, 19, v12
	v_mov_b32_e32 v13, v15
	v_lshlrev_b64 v[20:21], 3, v[14:15]
	v_lshlrev_b64 v[22:23], 3, v[12:13]
	v_add_nc_u32_e32 v14, -8, v12
	v_add_co_u32 v24, vcc_lo, s12, v20
	v_add_co_ci_u32_e64 v25, null, s13, v21, vcc_lo
	v_add_co_u32 v26, vcc_lo, s12, v18
	v_add_co_ci_u32_e64 v27, null, s13, v19, vcc_lo
	v_lshlrev_b64 v[13:14], 3, v[14:15]
	v_add_co_u32 v40, vcc_lo, s12, v22
	v_add_co_ci_u32_e64 v41, null, s13, v23, vcc_lo
	s_clause 0x2
	global_load_dwordx4 v[18:21], v[24:25], off offset:16
	global_load_dwordx4 v[22:25], v[24:25], off
	global_load_dwordx2 v[42:43], v[26:27], off
	v_add_co_u32 v13, vcc_lo, s12, v13
	v_add_co_ci_u32_e64 v14, null, s13, v14, vcc_lo
	s_waitcnt vmcnt(3)
	v_subrev_nc_u32_e32 v7, s2, v7
	v_mul_lo_u32 v38, v7, 10
	v_lshlrev_b64 v[26:27], 3, v[38:39]
	v_add_co_u32 v26, vcc_lo, s14, v26
	v_add_co_ci_u32_e64 v27, null, s15, v27, vcc_lo
	global_load_dwordx4 v[26:29], v[26:27], off
	global_load_dwordx2 v[44:45], v[13:14], off
	v_add_nc_u32_e32 v14, 2, v38
	v_lshlrev_b64 v[30:31], 3, v[14:15]
	v_add_nc_u32_e32 v14, -7, v12
	v_lshlrev_b64 v[34:35], 3, v[14:15]
	v_add_co_u32 v30, vcc_lo, s14, v30
	v_add_co_ci_u32_e64 v31, null, s15, v31, vcc_lo
	v_add_nc_u32_e32 v14, -6, v12
	v_add_co_u32 v34, vcc_lo, s12, v34
	v_add_co_ci_u32_e64 v35, null, s13, v35, vcc_lo
	global_load_dwordx4 v[30:33], v[30:31], off
	v_lshlrev_b64 v[36:37], 3, v[14:15]
	v_add_nc_u32_e32 v14, -15, v12
	global_load_dwordx2 v[48:49], v[34:35], off
	v_add_co_u32 v36, vcc_lo, s12, v36
	v_lshlrev_b64 v[46:47], 3, v[14:15]
	v_add_nc_u32_e32 v14, 4, v38
	v_add_co_ci_u32_e64 v37, null, s13, v37, vcc_lo
	global_load_dwordx2 v[50:51], v[36:37], off
	v_lshlrev_b64 v[34:35], 3, v[14:15]
	v_add_nc_u32_e32 v14, -5, v12
	v_add_co_u32 v36, vcc_lo, s12, v46
	v_add_co_ci_u32_e64 v37, null, s13, v47, vcc_lo
	v_lshlrev_b64 v[46:47], 3, v[14:15]
	v_add_nc_u32_e32 v14, -14, v12
	v_add_co_u32 v34, vcc_lo, s14, v34
	v_add_co_ci_u32_e64 v35, null, s15, v35, vcc_lo
	;; [unrolled: 4-line block ×3, first 2 shown]
	v_lshlrev_b64 v[56:57], 3, v[14:15]
	v_add_co_u32 v54, vcc_lo, s12, v54
	v_add_co_ci_u32_e64 v55, null, s13, v55, vcc_lo
	s_clause 0x1
	global_load_dwordx2 v[52:53], v[36:37], off
	global_load_dwordx2 v[46:47], v[46:47], off
	v_add_co_u32 v56, vcc_lo, s12, v56
	v_add_co_ci_u32_e64 v57, null, s13, v57, vcc_lo
	global_load_dwordx2 v[54:55], v[54:55], off
	v_add_nc_u32_e32 v14, -13, v12
	global_load_dwordx2 v[56:57], v[56:57], off
	global_load_dwordx4 v[34:37], v[34:35], off
	v_lshlrev_b64 v[58:59], 3, v[14:15]
	v_add_nc_u32_e32 v14, 6, v38
	v_lshlrev_b64 v[60:61], 3, v[14:15]
	v_add_nc_u32_e32 v14, -3, v12
	v_add_co_u32 v58, vcc_lo, s12, v58
	v_add_co_ci_u32_e64 v59, null, s13, v59, vcc_lo
	v_lshlrev_b64 v[62:63], 3, v[14:15]
	v_add_nc_u32_e32 v14, -12, v12
	v_add_co_u32 v60, vcc_lo, s14, v60
	v_add_co_ci_u32_e64 v61, null, s15, v61, vcc_lo
	v_lshlrev_b64 v[64:65], 3, v[14:15]
	v_add_nc_u32_e32 v14, -2, v12
	v_add_co_u32 v62, vcc_lo, s12, v62
	v_add_co_ci_u32_e64 v63, null, s13, v63, vcc_lo
	v_add_co_u32 v64, vcc_lo, s12, v64
	v_add_co_ci_u32_e64 v65, null, s13, v65, vcc_lo
	global_load_dwordx2 v[58:59], v[58:59], off
	s_waitcnt vmcnt(10)
	v_fma_f64 v[10:11], v[22:23], v[26:27], v[10:11]
	v_lshlrev_b64 v[22:23], 3, v[14:15]
	v_add_nc_u32_e32 v14, -11, v12
	v_fma_f64 v[7:8], v[42:43], v[26:27], v[8:9]
	v_fma_f64 v[10:11], v[24:25], v[28:29], v[10:11]
	v_lshlrev_b64 v[24:25], 3, v[14:15]
	v_add_nc_u32_e32 v14, 8, v38
	v_add_co_u32 v38, vcc_lo, s12, v22
	v_add_co_ci_u32_e64 v39, null, s13, v23, vcc_lo
	v_add_co_u32 v66, vcc_lo, s12, v24
	v_add_co_ci_u32_e64 v67, null, s13, v25, vcc_lo
	global_load_dwordx4 v[22:25], v[60:61], off
	s_clause 0x2
	global_load_dwordx2 v[60:61], v[62:63], off
	global_load_dwordx2 v[62:63], v[64:65], off
	;; [unrolled: 1-line block ×3, first 2 shown]
	v_lshlrev_b64 v[26:27], 3, v[14:15]
	v_add_nc_u32_e32 v14, -1, v12
	s_waitcnt vmcnt(13)
	v_fma_f64 v[7:8], v[44:45], v[28:29], v[7:8]
	global_load_dwordx2 v[42:43], v[66:67], off
	v_lshlrev_b64 v[28:29], 3, v[14:15]
	v_add_nc_u32_e32 v14, -10, v12
	v_add_co_u32 v26, vcc_lo, s14, v26
	v_add_co_ci_u32_e64 v27, null, s15, v27, vcc_lo
	v_lshlrev_b64 v[13:14], 3, v[14:15]
	v_add_co_u32 v44, vcc_lo, s12, v28
	v_add_co_ci_u32_e64 v45, null, s13, v29, vcc_lo
	s_waitcnt vmcnt(13)
	v_fma_f64 v[9:10], v[18:19], v[30:31], v[10:11]
	v_add_co_u32 v13, vcc_lo, s12, v13
	v_add_co_ci_u32_e64 v14, null, s13, v14, vcc_lo
	global_load_dwordx4 v[26:29], v[26:27], off
	s_clause 0x2
	global_load_dwordx2 v[44:45], v[44:45], off
	global_load_dwordx2 v[40:41], v[40:41], off
	;; [unrolled: 1-line block ×3, first 2 shown]
	v_cmp_ge_i32_e32 vcc_lo, v6, v17
	s_waitcnt vmcnt(16)
	v_fma_f64 v[7:8], v[48:49], v[30:31], v[7:8]
	v_add_nc_u32_e32 v12, 0x280, v12
	s_or_b32 s0, vcc_lo, s0
	v_fma_f64 v[9:10], v[20:21], v[32:33], v[9:10]
	s_waitcnt vmcnt(15)
	v_fma_f64 v[7:8], v[50:51], v[32:33], v[7:8]
	s_waitcnt vmcnt(10)
	v_fma_f64 v[9:10], v[52:53], v[34:35], v[9:10]
	v_fma_f64 v[7:8], v[46:47], v[34:35], v[7:8]
	;; [unrolled: 1-line block ×4, first 2 shown]
	s_waitcnt vmcnt(8)
	v_fma_f64 v[9:10], v[58:59], v[22:23], v[9:10]
	s_waitcnt vmcnt(7)
	v_fma_f64 v[7:8], v[60:61], v[22:23], v[7:8]
	;; [unrolled: 2-line block ×7, first 2 shown]
	v_fma_f64 v[8:9], v[40:41], v[28:29], v[7:8]
	s_andn2_b32 exec_lo, exec_lo, s0
	s_cbranch_execnz .LBB119_15
; %bb.16:
	s_or_b32 exec_lo, exec_lo, s0
.LBB119_17:
	s_or_b32 exec_lo, exec_lo, s1
.LBB119_18:
	v_mbcnt_lo_u32_b32 v14, -1, 0
	v_xor_b32_e32 v6, 16, v14
	v_cmp_gt_i32_e32 vcc_lo, 32, v6
	v_cndmask_b32_e32 v6, v14, v6, vcc_lo
	v_lshlrev_b32_e32 v13, 2, v6
	ds_bpermute_b32 v6, v13, v10
	ds_bpermute_b32 v7, v13, v11
	ds_bpermute_b32 v12, v13, v8
	ds_bpermute_b32 v13, v13, v9
	s_waitcnt lgkmcnt(2)
	v_add_f64 v[6:7], v[10:11], v[6:7]
	v_xor_b32_e32 v10, 8, v14
	s_waitcnt lgkmcnt(0)
	v_add_f64 v[8:9], v[8:9], v[12:13]
	v_cmp_gt_i32_e32 vcc_lo, 32, v10
	v_cndmask_b32_e32 v10, v14, v10, vcc_lo
	v_lshlrev_b32_e32 v13, 2, v10
	ds_bpermute_b32 v10, v13, v6
	ds_bpermute_b32 v11, v13, v7
	ds_bpermute_b32 v12, v13, v8
	ds_bpermute_b32 v13, v13, v9
	s_waitcnt lgkmcnt(2)
	v_add_f64 v[6:7], v[6:7], v[10:11]
	v_xor_b32_e32 v10, 4, v14
	s_waitcnt lgkmcnt(0)
	v_add_f64 v[8:9], v[8:9], v[12:13]
	;; [unrolled: 12-line block ×3, first 2 shown]
	v_cmp_gt_i32_e32 vcc_lo, 32, v10
	v_cndmask_b32_e32 v10, v14, v10, vcc_lo
	v_lshlrev_b32_e32 v13, 2, v10
	ds_bpermute_b32 v10, v13, v6
	ds_bpermute_b32 v11, v13, v7
	;; [unrolled: 1-line block ×4, first 2 shown]
	s_waitcnt lgkmcnt(2)
	v_add_f64 v[6:7], v[6:7], v[10:11]
	s_waitcnt lgkmcnt(0)
	v_add_f64 v[10:11], v[8:9], v[12:13]
	v_xor_b32_e32 v8, 1, v14
	v_cmp_gt_i32_e32 vcc_lo, 32, v8
	v_cndmask_b32_e32 v8, v14, v8, vcc_lo
	v_cmp_eq_u32_e32 vcc_lo, 31, v0
	v_lshlrev_b32_e32 v13, 2, v8
	ds_bpermute_b32 v8, v13, v6
	ds_bpermute_b32 v9, v13, v7
	;; [unrolled: 1-line block ×4, first 2 shown]
	s_and_b32 exec_lo, exec_lo, vcc_lo
	s_cbranch_execz .LBB119_23
; %bb.19:
	s_waitcnt lgkmcnt(2)
	v_add_f64 v[8:9], v[6:7], v[8:9]
	s_waitcnt lgkmcnt(0)
	v_add_f64 v[6:7], v[10:11], v[12:13]
	s_load_dwordx2 s[0:1], s[4:5], 0x38
	s_mov_b32 s2, exec_lo
	v_cmpx_eq_f64_e32 0, v[3:4]
	s_xor_b32 s2, exec_lo, s2
	s_cbranch_execz .LBB119_21
; %bb.20:
	v_lshlrev_b32_e32 v0, 1, v5
	v_mul_f64 v[3:4], v[1:2], v[8:9]
	v_mul_f64 v[5:6], v[1:2], v[6:7]
                                        ; implicit-def: $vgpr8_vgpr9
	v_ashrrev_i32_e32 v1, 31, v0
	v_lshlrev_b64 v[0:1], 3, v[0:1]
	s_waitcnt lgkmcnt(0)
	v_add_co_u32 v0, vcc_lo, s0, v0
	v_add_co_ci_u32_e64 v1, null, s1, v1, vcc_lo
	global_store_dwordx4 v[0:1], v[3:6], off
                                        ; implicit-def: $vgpr5
                                        ; implicit-def: $vgpr1_vgpr2
                                        ; implicit-def: $vgpr3_vgpr4
                                        ; implicit-def: $vgpr6_vgpr7
.LBB119_21:
	s_andn2_saveexec_b32 s2, s2
	s_cbranch_execz .LBB119_23
; %bb.22:
	v_lshlrev_b32_e32 v10, 1, v5
	v_mul_f64 v[8:9], v[1:2], v[8:9]
	v_mul_f64 v[5:6], v[1:2], v[6:7]
	v_ashrrev_i32_e32 v11, 31, v10
	v_lshlrev_b64 v[10:11], 3, v[10:11]
	s_waitcnt lgkmcnt(0)
	v_add_co_u32 v14, vcc_lo, s0, v10
	v_add_co_ci_u32_e64 v15, null, s1, v11, vcc_lo
	global_load_dwordx4 v[10:13], v[14:15], off
	s_waitcnt vmcnt(0)
	v_fma_f64 v[0:1], v[3:4], v[10:11], v[8:9]
	v_fma_f64 v[2:3], v[3:4], v[12:13], v[5:6]
	global_store_dwordx4 v[14:15], v[0:3], off
.LBB119_23:
	s_endpgm
	.section	.rodata,"a",@progbits
	.p2align	6, 0x0
	.amdhsa_kernel _ZN9rocsparseL19gebsrmvn_2xn_kernelILj128ELj10ELj32EdEEvi20rocsparse_direction_NS_24const_host_device_scalarIT2_EEPKiS6_PKS3_S8_S4_PS3_21rocsparse_index_base_b
		.amdhsa_group_segment_fixed_size 0
		.amdhsa_private_segment_fixed_size 0
		.amdhsa_kernarg_size 72
		.amdhsa_user_sgpr_count 6
		.amdhsa_user_sgpr_private_segment_buffer 1
		.amdhsa_user_sgpr_dispatch_ptr 0
		.amdhsa_user_sgpr_queue_ptr 0
		.amdhsa_user_sgpr_kernarg_segment_ptr 1
		.amdhsa_user_sgpr_dispatch_id 0
		.amdhsa_user_sgpr_flat_scratch_init 0
		.amdhsa_user_sgpr_private_segment_size 0
		.amdhsa_wavefront_size32 1
		.amdhsa_uses_dynamic_stack 0
		.amdhsa_system_sgpr_private_segment_wavefront_offset 0
		.amdhsa_system_sgpr_workgroup_id_x 1
		.amdhsa_system_sgpr_workgroup_id_y 0
		.amdhsa_system_sgpr_workgroup_id_z 0
		.amdhsa_system_sgpr_workgroup_info 0
		.amdhsa_system_vgpr_workitem_id 0
		.amdhsa_next_free_vgpr 78
		.amdhsa_next_free_sgpr 16
		.amdhsa_reserve_vcc 1
		.amdhsa_reserve_flat_scratch 0
		.amdhsa_float_round_mode_32 0
		.amdhsa_float_round_mode_16_64 0
		.amdhsa_float_denorm_mode_32 3
		.amdhsa_float_denorm_mode_16_64 3
		.amdhsa_dx10_clamp 1
		.amdhsa_ieee_mode 1
		.amdhsa_fp16_overflow 0
		.amdhsa_workgroup_processor_mode 1
		.amdhsa_memory_ordered 1
		.amdhsa_forward_progress 1
		.amdhsa_shared_vgpr_count 0
		.amdhsa_exception_fp_ieee_invalid_op 0
		.amdhsa_exception_fp_denorm_src 0
		.amdhsa_exception_fp_ieee_div_zero 0
		.amdhsa_exception_fp_ieee_overflow 0
		.amdhsa_exception_fp_ieee_underflow 0
		.amdhsa_exception_fp_ieee_inexact 0
		.amdhsa_exception_int_div_zero 0
	.end_amdhsa_kernel
	.section	.text._ZN9rocsparseL19gebsrmvn_2xn_kernelILj128ELj10ELj32EdEEvi20rocsparse_direction_NS_24const_host_device_scalarIT2_EEPKiS6_PKS3_S8_S4_PS3_21rocsparse_index_base_b,"axG",@progbits,_ZN9rocsparseL19gebsrmvn_2xn_kernelILj128ELj10ELj32EdEEvi20rocsparse_direction_NS_24const_host_device_scalarIT2_EEPKiS6_PKS3_S8_S4_PS3_21rocsparse_index_base_b,comdat
.Lfunc_end119:
	.size	_ZN9rocsparseL19gebsrmvn_2xn_kernelILj128ELj10ELj32EdEEvi20rocsparse_direction_NS_24const_host_device_scalarIT2_EEPKiS6_PKS3_S8_S4_PS3_21rocsparse_index_base_b, .Lfunc_end119-_ZN9rocsparseL19gebsrmvn_2xn_kernelILj128ELj10ELj32EdEEvi20rocsparse_direction_NS_24const_host_device_scalarIT2_EEPKiS6_PKS3_S8_S4_PS3_21rocsparse_index_base_b
                                        ; -- End function
	.set _ZN9rocsparseL19gebsrmvn_2xn_kernelILj128ELj10ELj32EdEEvi20rocsparse_direction_NS_24const_host_device_scalarIT2_EEPKiS6_PKS3_S8_S4_PS3_21rocsparse_index_base_b.num_vgpr, 78
	.set _ZN9rocsparseL19gebsrmvn_2xn_kernelILj128ELj10ELj32EdEEvi20rocsparse_direction_NS_24const_host_device_scalarIT2_EEPKiS6_PKS3_S8_S4_PS3_21rocsparse_index_base_b.num_agpr, 0
	.set _ZN9rocsparseL19gebsrmvn_2xn_kernelILj128ELj10ELj32EdEEvi20rocsparse_direction_NS_24const_host_device_scalarIT2_EEPKiS6_PKS3_S8_S4_PS3_21rocsparse_index_base_b.numbered_sgpr, 16
	.set _ZN9rocsparseL19gebsrmvn_2xn_kernelILj128ELj10ELj32EdEEvi20rocsparse_direction_NS_24const_host_device_scalarIT2_EEPKiS6_PKS3_S8_S4_PS3_21rocsparse_index_base_b.num_named_barrier, 0
	.set _ZN9rocsparseL19gebsrmvn_2xn_kernelILj128ELj10ELj32EdEEvi20rocsparse_direction_NS_24const_host_device_scalarIT2_EEPKiS6_PKS3_S8_S4_PS3_21rocsparse_index_base_b.private_seg_size, 0
	.set _ZN9rocsparseL19gebsrmvn_2xn_kernelILj128ELj10ELj32EdEEvi20rocsparse_direction_NS_24const_host_device_scalarIT2_EEPKiS6_PKS3_S8_S4_PS3_21rocsparse_index_base_b.uses_vcc, 1
	.set _ZN9rocsparseL19gebsrmvn_2xn_kernelILj128ELj10ELj32EdEEvi20rocsparse_direction_NS_24const_host_device_scalarIT2_EEPKiS6_PKS3_S8_S4_PS3_21rocsparse_index_base_b.uses_flat_scratch, 0
	.set _ZN9rocsparseL19gebsrmvn_2xn_kernelILj128ELj10ELj32EdEEvi20rocsparse_direction_NS_24const_host_device_scalarIT2_EEPKiS6_PKS3_S8_S4_PS3_21rocsparse_index_base_b.has_dyn_sized_stack, 0
	.set _ZN9rocsparseL19gebsrmvn_2xn_kernelILj128ELj10ELj32EdEEvi20rocsparse_direction_NS_24const_host_device_scalarIT2_EEPKiS6_PKS3_S8_S4_PS3_21rocsparse_index_base_b.has_recursion, 0
	.set _ZN9rocsparseL19gebsrmvn_2xn_kernelILj128ELj10ELj32EdEEvi20rocsparse_direction_NS_24const_host_device_scalarIT2_EEPKiS6_PKS3_S8_S4_PS3_21rocsparse_index_base_b.has_indirect_call, 0
	.section	.AMDGPU.csdata,"",@progbits
; Kernel info:
; codeLenInByte = 2864
; TotalNumSgprs: 18
; NumVgprs: 78
; ScratchSize: 0
; MemoryBound: 0
; FloatMode: 240
; IeeeMode: 1
; LDSByteSize: 0 bytes/workgroup (compile time only)
; SGPRBlocks: 0
; VGPRBlocks: 9
; NumSGPRsForWavesPerEU: 18
; NumVGPRsForWavesPerEU: 78
; Occupancy: 12
; WaveLimiterHint : 1
; COMPUTE_PGM_RSRC2:SCRATCH_EN: 0
; COMPUTE_PGM_RSRC2:USER_SGPR: 6
; COMPUTE_PGM_RSRC2:TRAP_HANDLER: 0
; COMPUTE_PGM_RSRC2:TGID_X_EN: 1
; COMPUTE_PGM_RSRC2:TGID_Y_EN: 0
; COMPUTE_PGM_RSRC2:TGID_Z_EN: 0
; COMPUTE_PGM_RSRC2:TIDIG_COMP_CNT: 0
	.section	.text._ZN9rocsparseL19gebsrmvn_2xn_kernelILj128ELj10ELj64EdEEvi20rocsparse_direction_NS_24const_host_device_scalarIT2_EEPKiS6_PKS3_S8_S4_PS3_21rocsparse_index_base_b,"axG",@progbits,_ZN9rocsparseL19gebsrmvn_2xn_kernelILj128ELj10ELj64EdEEvi20rocsparse_direction_NS_24const_host_device_scalarIT2_EEPKiS6_PKS3_S8_S4_PS3_21rocsparse_index_base_b,comdat
	.globl	_ZN9rocsparseL19gebsrmvn_2xn_kernelILj128ELj10ELj64EdEEvi20rocsparse_direction_NS_24const_host_device_scalarIT2_EEPKiS6_PKS3_S8_S4_PS3_21rocsparse_index_base_b ; -- Begin function _ZN9rocsparseL19gebsrmvn_2xn_kernelILj128ELj10ELj64EdEEvi20rocsparse_direction_NS_24const_host_device_scalarIT2_EEPKiS6_PKS3_S8_S4_PS3_21rocsparse_index_base_b
	.p2align	8
	.type	_ZN9rocsparseL19gebsrmvn_2xn_kernelILj128ELj10ELj64EdEEvi20rocsparse_direction_NS_24const_host_device_scalarIT2_EEPKiS6_PKS3_S8_S4_PS3_21rocsparse_index_base_b,@function
_ZN9rocsparseL19gebsrmvn_2xn_kernelILj128ELj10ELj64EdEEvi20rocsparse_direction_NS_24const_host_device_scalarIT2_EEPKiS6_PKS3_S8_S4_PS3_21rocsparse_index_base_b: ; @_ZN9rocsparseL19gebsrmvn_2xn_kernelILj128ELj10ELj64EdEEvi20rocsparse_direction_NS_24const_host_device_scalarIT2_EEPKiS6_PKS3_S8_S4_PS3_21rocsparse_index_base_b
; %bb.0:
	s_clause 0x2
	s_load_dwordx2 s[2:3], s[4:5], 0x40
	s_load_dwordx2 s[8:9], s[4:5], 0x8
	;; [unrolled: 1-line block ×3, first 2 shown]
	s_waitcnt lgkmcnt(0)
	s_bitcmp1_b32 s3, 0
	v_mov_b32_e32 v1, s8
	v_mov_b32_e32 v2, s9
	s_cselect_b32 s3, -1, 0
	s_and_b32 vcc_lo, exec_lo, s3
	s_xor_b32 s3, s3, -1
	s_cbranch_vccnz .LBB120_2
; %bb.1:
	v_mov_b32_e32 v1, s8
	v_mov_b32_e32 v2, s9
	flat_load_dwordx2 v[1:2], v[1:2]
.LBB120_2:
	v_mov_b32_e32 v4, s1
	v_mov_b32_e32 v3, s0
	s_andn2_b32 vcc_lo, exec_lo, s3
	s_cbranch_vccnz .LBB120_4
; %bb.3:
	v_mov_b32_e32 v4, s1
	v_mov_b32_e32 v3, s0
	flat_load_dwordx2 v[3:4], v[3:4]
.LBB120_4:
	s_waitcnt vmcnt(0) lgkmcnt(0)
	v_cmp_neq_f64_e32 vcc_lo, 0, v[1:2]
	v_cmp_neq_f64_e64 s0, 1.0, v[3:4]
	s_or_b32 s0, vcc_lo, s0
	s_and_saveexec_b32 s1, s0
	s_cbranch_execz .LBB120_23
; %bb.5:
	s_load_dwordx2 s[0:1], s[4:5], 0x0
	v_lshrrev_b32_e32 v5, 6, v0
	v_lshl_or_b32 v5, s6, 1, v5
	s_waitcnt lgkmcnt(0)
	v_cmp_gt_i32_e32 vcc_lo, s0, v5
	s_and_b32 exec_lo, exec_lo, vcc_lo
	s_cbranch_execz .LBB120_23
; %bb.6:
	s_load_dwordx8 s[8:15], s[4:5], 0x10
	v_ashrrev_i32_e32 v6, 31, v5
	v_and_b32_e32 v0, 63, v0
	s_cmp_lg_u32 s1, 0
	v_lshlrev_b64 v[6:7], 2, v[5:6]
	s_waitcnt lgkmcnt(0)
	v_add_co_u32 v6, vcc_lo, s8, v6
	v_add_co_ci_u32_e64 v7, null, s9, v7, vcc_lo
	global_load_dwordx2 v[6:7], v[6:7], off
	s_waitcnt vmcnt(0)
	v_subrev_nc_u32_e32 v6, s2, v6
	v_subrev_nc_u32_e32 v17, s2, v7
	v_add_nc_u32_e32 v6, v6, v0
	v_cmp_lt_i32_e64 s0, v6, v17
	s_cbranch_scc0 .LBB120_12
; %bb.7:
	v_mov_b32_e32 v10, 0
	v_mov_b32_e32 v8, 0
	;; [unrolled: 1-line block ×4, first 2 shown]
	s_and_saveexec_b32 s1, s0
	s_cbranch_execz .LBB120_11
; %bb.8:
	v_mad_u64_u32 v[12:13], null, v6, 20, 18
	v_mov_b32_e32 v10, 0
	v_mov_b32_e32 v8, 0
	;; [unrolled: 1-line block ×6, first 2 shown]
	s_mov_b32 s3, 0
.LBB120_9:                              ; =>This Inner Loop Header: Depth=1
	v_ashrrev_i32_e32 v16, 31, v15
	v_subrev_nc_u32_e32 v13, 18, v12
	v_mov_b32_e32 v67, v14
	v_lshlrev_b64 v[18:19], 2, v[15:16]
	v_add_nc_u32_e32 v15, 64, v15
	v_add_co_u32 v18, vcc_lo, s10, v18
	v_add_co_ci_u32_e64 v19, null, s11, v19, vcc_lo
	global_load_dword v7, v[18:19], off
	v_lshlrev_b64 v[18:19], 3, v[13:14]
	v_add_nc_u32_e32 v13, -14, v12
	v_lshlrev_b64 v[30:31], 3, v[13:14]
	v_add_co_u32 v22, vcc_lo, s12, v18
	v_add_co_ci_u32_e64 v23, null, s13, v19, vcc_lo
	s_waitcnt vmcnt(0)
	v_subrev_nc_u32_e32 v7, s2, v7
	v_mul_lo_u32 v66, v7, 10
	v_lshlrev_b64 v[20:21], 3, v[66:67]
	v_add_nc_u32_e32 v13, 2, v66
	v_lshlrev_b64 v[32:33], 3, v[13:14]
	v_add_co_u32 v26, vcc_lo, s14, v20
	v_add_co_ci_u32_e64 v27, null, s15, v21, vcc_lo
	s_clause 0x1
	global_load_dwordx4 v[18:21], v[22:23], off offset:16
	global_load_dwordx4 v[22:25], v[22:23], off
	global_load_dwordx4 v[26:29], v[26:27], off
	v_add_co_u32 v30, vcc_lo, s12, v30
	v_add_co_ci_u32_e64 v31, null, s13, v31, vcc_lo
	v_add_co_u32 v34, vcc_lo, s14, v32
	v_add_co_ci_u32_e64 v35, null, s15, v33, vcc_lo
	global_load_dwordx4 v[30:33], v[30:31], off
	global_load_dwordx4 v[34:37], v[34:35], off
	v_add_nc_u32_e32 v13, -12, v12
	v_lshlrev_b64 v[38:39], 3, v[13:14]
	v_add_nc_u32_e32 v13, -10, v12
	v_add_co_u32 v38, vcc_lo, s12, v38
	v_add_co_ci_u32_e64 v39, null, s13, v39, vcc_lo
	v_lshlrev_b64 v[42:43], 3, v[13:14]
	v_add_nc_u32_e32 v13, 4, v66
	global_load_dwordx4 v[38:41], v[38:39], off
	v_lshlrev_b64 v[44:45], 3, v[13:14]
	v_add_co_u32 v42, vcc_lo, s12, v42
	v_add_co_ci_u32_e64 v43, null, s13, v43, vcc_lo
	v_add_nc_u32_e32 v13, -8, v12
	v_add_co_u32 v46, vcc_lo, s14, v44
	v_add_co_ci_u32_e64 v47, null, s15, v45, vcc_lo
	global_load_dwordx4 v[42:45], v[42:43], off
	global_load_dwordx4 v[46:49], v[46:47], off
	v_lshlrev_b64 v[50:51], 3, v[13:14]
	v_add_nc_u32_e32 v13, -6, v12
	v_add_co_u32 v50, vcc_lo, s12, v50
	v_add_co_ci_u32_e64 v51, null, s13, v51, vcc_lo
	v_lshlrev_b64 v[54:55], 3, v[13:14]
	v_add_nc_u32_e32 v13, 6, v66
	global_load_dwordx4 v[50:53], v[50:51], off
	v_lshlrev_b64 v[56:57], 3, v[13:14]
	v_add_co_u32 v54, vcc_lo, s12, v54
	v_add_co_ci_u32_e64 v55, null, s13, v55, vcc_lo
	v_add_nc_u32_e32 v13, -4, v12
	v_add_co_u32 v58, vcc_lo, s14, v56
	v_add_co_ci_u32_e64 v59, null, s15, v57, vcc_lo
	global_load_dwordx4 v[54:57], v[54:55], off
	global_load_dwordx4 v[58:61], v[58:59], off
	v_lshlrev_b64 v[62:63], 3, v[13:14]
	v_add_nc_u32_e32 v13, -2, v12
	v_add_co_u32 v62, vcc_lo, s12, v62
	v_add_co_ci_u32_e64 v63, null, s13, v63, vcc_lo
	v_lshlrev_b64 v[67:68], 3, v[13:14]
	v_add_nc_u32_e32 v13, 8, v66
	global_load_dwordx4 v[62:65], v[62:63], off
	v_lshlrev_b64 v[69:70], 3, v[13:14]
	v_add_co_u32 v66, vcc_lo, s12, v67
	v_add_co_ci_u32_e64 v67, null, s13, v68, vcc_lo
	v_mov_b32_e32 v13, v14
	v_add_co_u32 v71, vcc_lo, s14, v69
	v_add_co_ci_u32_e64 v72, null, s15, v70, vcc_lo
	global_load_dwordx4 v[66:69], v[66:67], off
	global_load_dwordx4 v[70:73], v[71:72], off
	v_lshlrev_b64 v[74:75], 3, v[12:13]
	v_add_nc_u32_e32 v12, 0x500, v12
	v_add_co_u32 v74, vcc_lo, s12, v74
	v_add_co_ci_u32_e64 v75, null, s13, v75, vcc_lo
	v_cmp_ge_i32_e32 vcc_lo, v15, v17
	global_load_dwordx4 v[74:77], v[74:75], off
	s_or_b32 s3, vcc_lo, s3
	s_waitcnt vmcnt(12)
	v_fma_f64 v[10:11], v[22:23], v[26:27], v[10:11]
	v_fma_f64 v[7:8], v[24:25], v[26:27], v[8:9]
	;; [unrolled: 1-line block ×4, first 2 shown]
	s_waitcnt vmcnt(10)
	v_fma_f64 v[9:10], v[30:31], v[34:35], v[9:10]
	v_fma_f64 v[7:8], v[32:33], v[34:35], v[7:8]
	s_waitcnt vmcnt(9)
	v_fma_f64 v[9:10], v[38:39], v[36:37], v[9:10]
	v_fma_f64 v[7:8], v[40:41], v[36:37], v[7:8]
	;; [unrolled: 3-line block ×8, first 2 shown]
	s_andn2_b32 exec_lo, exec_lo, s3
	s_cbranch_execnz .LBB120_9
; %bb.10:
	s_or_b32 exec_lo, exec_lo, s3
.LBB120_11:
	s_or_b32 exec_lo, exec_lo, s1
	s_cbranch_execz .LBB120_13
	s_branch .LBB120_18
.LBB120_12:
                                        ; implicit-def: $vgpr10_vgpr11
                                        ; implicit-def: $vgpr8_vgpr9
.LBB120_13:
	v_mov_b32_e32 v10, 0
	v_mov_b32_e32 v8, 0
	;; [unrolled: 1-line block ×4, first 2 shown]
	s_and_saveexec_b32 s1, s0
	s_cbranch_execz .LBB120_17
; %bb.14:
	v_mad_u64_u32 v[12:13], null, v6, 20, 19
	v_mov_b32_e32 v10, 0
	v_mov_b32_e32 v8, 0
	;; [unrolled: 1-line block ×5, first 2 shown]
	s_mov_b32 s0, 0
.LBB120_15:                             ; =>This Inner Loop Header: Depth=1
	v_ashrrev_i32_e32 v7, 31, v6
	v_add_nc_u32_e32 v18, -9, v12
	v_mov_b32_e32 v19, v15
	v_mov_b32_e32 v39, v15
	v_lshlrev_b64 v[13:14], 2, v[6:7]
	v_add_nc_u32_e32 v6, 64, v6
	v_lshlrev_b64 v[18:19], 3, v[18:19]
	v_add_co_u32 v13, vcc_lo, s10, v13
	v_add_co_ci_u32_e64 v14, null, s11, v14, vcc_lo
	global_load_dword v7, v[13:14], off
	v_subrev_nc_u32_e32 v14, 19, v12
	v_mov_b32_e32 v13, v15
	v_lshlrev_b64 v[20:21], 3, v[14:15]
	v_lshlrev_b64 v[22:23], 3, v[12:13]
	v_add_nc_u32_e32 v14, -8, v12
	v_add_co_u32 v24, vcc_lo, s12, v20
	v_add_co_ci_u32_e64 v25, null, s13, v21, vcc_lo
	v_add_co_u32 v26, vcc_lo, s12, v18
	v_add_co_ci_u32_e64 v27, null, s13, v19, vcc_lo
	v_lshlrev_b64 v[13:14], 3, v[14:15]
	v_add_co_u32 v40, vcc_lo, s12, v22
	v_add_co_ci_u32_e64 v41, null, s13, v23, vcc_lo
	s_clause 0x2
	global_load_dwordx4 v[18:21], v[24:25], off offset:16
	global_load_dwordx4 v[22:25], v[24:25], off
	global_load_dwordx2 v[42:43], v[26:27], off
	v_add_co_u32 v13, vcc_lo, s12, v13
	v_add_co_ci_u32_e64 v14, null, s13, v14, vcc_lo
	s_waitcnt vmcnt(3)
	v_subrev_nc_u32_e32 v7, s2, v7
	v_mul_lo_u32 v38, v7, 10
	v_lshlrev_b64 v[26:27], 3, v[38:39]
	v_add_co_u32 v26, vcc_lo, s14, v26
	v_add_co_ci_u32_e64 v27, null, s15, v27, vcc_lo
	global_load_dwordx4 v[26:29], v[26:27], off
	global_load_dwordx2 v[44:45], v[13:14], off
	v_add_nc_u32_e32 v14, 2, v38
	v_lshlrev_b64 v[30:31], 3, v[14:15]
	v_add_nc_u32_e32 v14, -7, v12
	v_lshlrev_b64 v[34:35], 3, v[14:15]
	v_add_co_u32 v30, vcc_lo, s14, v30
	v_add_co_ci_u32_e64 v31, null, s15, v31, vcc_lo
	v_add_nc_u32_e32 v14, -6, v12
	v_add_co_u32 v34, vcc_lo, s12, v34
	v_add_co_ci_u32_e64 v35, null, s13, v35, vcc_lo
	global_load_dwordx4 v[30:33], v[30:31], off
	v_lshlrev_b64 v[36:37], 3, v[14:15]
	v_add_nc_u32_e32 v14, -15, v12
	global_load_dwordx2 v[48:49], v[34:35], off
	v_add_co_u32 v36, vcc_lo, s12, v36
	v_lshlrev_b64 v[46:47], 3, v[14:15]
	v_add_nc_u32_e32 v14, 4, v38
	v_add_co_ci_u32_e64 v37, null, s13, v37, vcc_lo
	global_load_dwordx2 v[50:51], v[36:37], off
	v_lshlrev_b64 v[34:35], 3, v[14:15]
	v_add_nc_u32_e32 v14, -5, v12
	v_add_co_u32 v36, vcc_lo, s12, v46
	v_add_co_ci_u32_e64 v37, null, s13, v47, vcc_lo
	v_lshlrev_b64 v[46:47], 3, v[14:15]
	v_add_nc_u32_e32 v14, -14, v12
	v_add_co_u32 v34, vcc_lo, s14, v34
	v_add_co_ci_u32_e64 v35, null, s15, v35, vcc_lo
	;; [unrolled: 4-line block ×3, first 2 shown]
	v_lshlrev_b64 v[56:57], 3, v[14:15]
	v_add_co_u32 v54, vcc_lo, s12, v54
	v_add_co_ci_u32_e64 v55, null, s13, v55, vcc_lo
	s_clause 0x1
	global_load_dwordx2 v[52:53], v[36:37], off
	global_load_dwordx2 v[46:47], v[46:47], off
	v_add_co_u32 v56, vcc_lo, s12, v56
	v_add_co_ci_u32_e64 v57, null, s13, v57, vcc_lo
	global_load_dwordx2 v[54:55], v[54:55], off
	v_add_nc_u32_e32 v14, -13, v12
	global_load_dwordx2 v[56:57], v[56:57], off
	global_load_dwordx4 v[34:37], v[34:35], off
	v_lshlrev_b64 v[58:59], 3, v[14:15]
	v_add_nc_u32_e32 v14, 6, v38
	v_lshlrev_b64 v[60:61], 3, v[14:15]
	v_add_nc_u32_e32 v14, -3, v12
	v_add_co_u32 v58, vcc_lo, s12, v58
	v_add_co_ci_u32_e64 v59, null, s13, v59, vcc_lo
	v_lshlrev_b64 v[62:63], 3, v[14:15]
	v_add_nc_u32_e32 v14, -12, v12
	v_add_co_u32 v60, vcc_lo, s14, v60
	v_add_co_ci_u32_e64 v61, null, s15, v61, vcc_lo
	;; [unrolled: 4-line block ×3, first 2 shown]
	v_add_co_u32 v64, vcc_lo, s12, v64
	v_add_co_ci_u32_e64 v65, null, s13, v65, vcc_lo
	global_load_dwordx2 v[58:59], v[58:59], off
	s_waitcnt vmcnt(10)
	v_fma_f64 v[10:11], v[22:23], v[26:27], v[10:11]
	v_lshlrev_b64 v[22:23], 3, v[14:15]
	v_add_nc_u32_e32 v14, -11, v12
	v_fma_f64 v[7:8], v[42:43], v[26:27], v[8:9]
	v_fma_f64 v[10:11], v[24:25], v[28:29], v[10:11]
	v_lshlrev_b64 v[24:25], 3, v[14:15]
	v_add_nc_u32_e32 v14, 8, v38
	v_add_co_u32 v38, vcc_lo, s12, v22
	v_add_co_ci_u32_e64 v39, null, s13, v23, vcc_lo
	v_add_co_u32 v66, vcc_lo, s12, v24
	v_add_co_ci_u32_e64 v67, null, s13, v25, vcc_lo
	global_load_dwordx4 v[22:25], v[60:61], off
	s_clause 0x2
	global_load_dwordx2 v[60:61], v[62:63], off
	global_load_dwordx2 v[62:63], v[64:65], off
	;; [unrolled: 1-line block ×3, first 2 shown]
	v_lshlrev_b64 v[26:27], 3, v[14:15]
	v_add_nc_u32_e32 v14, -1, v12
	s_waitcnt vmcnt(13)
	v_fma_f64 v[7:8], v[44:45], v[28:29], v[7:8]
	global_load_dwordx2 v[42:43], v[66:67], off
	v_lshlrev_b64 v[28:29], 3, v[14:15]
	v_add_nc_u32_e32 v14, -10, v12
	v_add_co_u32 v26, vcc_lo, s14, v26
	v_add_co_ci_u32_e64 v27, null, s15, v27, vcc_lo
	v_lshlrev_b64 v[13:14], 3, v[14:15]
	v_add_co_u32 v44, vcc_lo, s12, v28
	v_add_co_ci_u32_e64 v45, null, s13, v29, vcc_lo
	s_waitcnt vmcnt(13)
	v_fma_f64 v[9:10], v[18:19], v[30:31], v[10:11]
	v_add_co_u32 v13, vcc_lo, s12, v13
	v_add_co_ci_u32_e64 v14, null, s13, v14, vcc_lo
	global_load_dwordx4 v[26:29], v[26:27], off
	s_clause 0x2
	global_load_dwordx2 v[44:45], v[44:45], off
	global_load_dwordx2 v[40:41], v[40:41], off
	global_load_dwordx2 v[13:14], v[13:14], off
	v_cmp_ge_i32_e32 vcc_lo, v6, v17
	s_waitcnt vmcnt(16)
	v_fma_f64 v[7:8], v[48:49], v[30:31], v[7:8]
	v_add_nc_u32_e32 v12, 0x500, v12
	s_or_b32 s0, vcc_lo, s0
	v_fma_f64 v[9:10], v[20:21], v[32:33], v[9:10]
	s_waitcnt vmcnt(15)
	v_fma_f64 v[7:8], v[50:51], v[32:33], v[7:8]
	s_waitcnt vmcnt(10)
	v_fma_f64 v[9:10], v[52:53], v[34:35], v[9:10]
	v_fma_f64 v[7:8], v[46:47], v[34:35], v[7:8]
	;; [unrolled: 1-line block ×4, first 2 shown]
	s_waitcnt vmcnt(8)
	v_fma_f64 v[9:10], v[58:59], v[22:23], v[9:10]
	s_waitcnt vmcnt(7)
	v_fma_f64 v[7:8], v[60:61], v[22:23], v[7:8]
	s_waitcnt vmcnt(6)
	v_fma_f64 v[9:10], v[62:63], v[24:25], v[9:10]
	s_waitcnt vmcnt(5)
	v_fma_f64 v[7:8], v[38:39], v[24:25], v[7:8]
	s_waitcnt vmcnt(3)
	v_fma_f64 v[9:10], v[42:43], v[26:27], v[9:10]
	s_waitcnt vmcnt(2)
	v_fma_f64 v[7:8], v[44:45], v[26:27], v[7:8]
	s_waitcnt vmcnt(0)
	v_fma_f64 v[10:11], v[13:14], v[28:29], v[9:10]
	v_fma_f64 v[8:9], v[40:41], v[28:29], v[7:8]
	s_andn2_b32 exec_lo, exec_lo, s0
	s_cbranch_execnz .LBB120_15
; %bb.16:
	s_or_b32 exec_lo, exec_lo, s0
.LBB120_17:
	s_or_b32 exec_lo, exec_lo, s1
.LBB120_18:
	v_mbcnt_lo_u32_b32 v14, -1, 0
	v_or_b32_e32 v6, 32, v14
	v_cmp_gt_i32_e32 vcc_lo, 32, v6
	v_cndmask_b32_e32 v6, v14, v6, vcc_lo
	v_lshlrev_b32_e32 v13, 2, v6
	ds_bpermute_b32 v6, v13, v10
	ds_bpermute_b32 v7, v13, v11
	ds_bpermute_b32 v12, v13, v8
	ds_bpermute_b32 v13, v13, v9
	s_waitcnt lgkmcnt(2)
	v_add_f64 v[6:7], v[10:11], v[6:7]
	v_xor_b32_e32 v10, 16, v14
	s_waitcnt lgkmcnt(0)
	v_add_f64 v[8:9], v[8:9], v[12:13]
	v_cmp_gt_i32_e32 vcc_lo, 32, v10
	v_cndmask_b32_e32 v10, v14, v10, vcc_lo
	v_lshlrev_b32_e32 v13, 2, v10
	ds_bpermute_b32 v10, v13, v6
	ds_bpermute_b32 v11, v13, v7
	ds_bpermute_b32 v12, v13, v8
	ds_bpermute_b32 v13, v13, v9
	s_waitcnt lgkmcnt(2)
	v_add_f64 v[6:7], v[6:7], v[10:11]
	v_xor_b32_e32 v10, 8, v14
	s_waitcnt lgkmcnt(0)
	v_add_f64 v[8:9], v[8:9], v[12:13]
	;; [unrolled: 12-line block ×4, first 2 shown]
	v_cmp_gt_i32_e32 vcc_lo, 32, v10
	v_cndmask_b32_e32 v10, v14, v10, vcc_lo
	v_lshlrev_b32_e32 v13, 2, v10
	ds_bpermute_b32 v10, v13, v6
	ds_bpermute_b32 v11, v13, v7
	ds_bpermute_b32 v12, v13, v8
	ds_bpermute_b32 v13, v13, v9
	s_waitcnt lgkmcnt(2)
	v_add_f64 v[6:7], v[6:7], v[10:11]
	s_waitcnt lgkmcnt(0)
	v_add_f64 v[10:11], v[8:9], v[12:13]
	v_xor_b32_e32 v8, 1, v14
	v_cmp_gt_i32_e32 vcc_lo, 32, v8
	v_cndmask_b32_e32 v8, v14, v8, vcc_lo
	v_cmp_eq_u32_e32 vcc_lo, 63, v0
	v_lshlrev_b32_e32 v13, 2, v8
	ds_bpermute_b32 v8, v13, v6
	ds_bpermute_b32 v9, v13, v7
	;; [unrolled: 1-line block ×4, first 2 shown]
	s_and_b32 exec_lo, exec_lo, vcc_lo
	s_cbranch_execz .LBB120_23
; %bb.19:
	s_waitcnt lgkmcnt(2)
	v_add_f64 v[8:9], v[6:7], v[8:9]
	s_waitcnt lgkmcnt(0)
	v_add_f64 v[6:7], v[10:11], v[12:13]
	s_load_dwordx2 s[0:1], s[4:5], 0x38
	s_mov_b32 s2, exec_lo
	v_cmpx_eq_f64_e32 0, v[3:4]
	s_xor_b32 s2, exec_lo, s2
	s_cbranch_execz .LBB120_21
; %bb.20:
	v_lshlrev_b32_e32 v0, 1, v5
	v_mul_f64 v[3:4], v[1:2], v[8:9]
	v_mul_f64 v[5:6], v[1:2], v[6:7]
                                        ; implicit-def: $vgpr8_vgpr9
	v_ashrrev_i32_e32 v1, 31, v0
	v_lshlrev_b64 v[0:1], 3, v[0:1]
	s_waitcnt lgkmcnt(0)
	v_add_co_u32 v0, vcc_lo, s0, v0
	v_add_co_ci_u32_e64 v1, null, s1, v1, vcc_lo
	global_store_dwordx4 v[0:1], v[3:6], off
                                        ; implicit-def: $vgpr5
                                        ; implicit-def: $vgpr1_vgpr2
                                        ; implicit-def: $vgpr3_vgpr4
                                        ; implicit-def: $vgpr6_vgpr7
.LBB120_21:
	s_andn2_saveexec_b32 s2, s2
	s_cbranch_execz .LBB120_23
; %bb.22:
	v_lshlrev_b32_e32 v10, 1, v5
	v_mul_f64 v[8:9], v[1:2], v[8:9]
	v_mul_f64 v[5:6], v[1:2], v[6:7]
	v_ashrrev_i32_e32 v11, 31, v10
	v_lshlrev_b64 v[10:11], 3, v[10:11]
	s_waitcnt lgkmcnt(0)
	v_add_co_u32 v14, vcc_lo, s0, v10
	v_add_co_ci_u32_e64 v15, null, s1, v11, vcc_lo
	global_load_dwordx4 v[10:13], v[14:15], off
	s_waitcnt vmcnt(0)
	v_fma_f64 v[0:1], v[3:4], v[10:11], v[8:9]
	v_fma_f64 v[2:3], v[3:4], v[12:13], v[5:6]
	global_store_dwordx4 v[14:15], v[0:3], off
.LBB120_23:
	s_endpgm
	.section	.rodata,"a",@progbits
	.p2align	6, 0x0
	.amdhsa_kernel _ZN9rocsparseL19gebsrmvn_2xn_kernelILj128ELj10ELj64EdEEvi20rocsparse_direction_NS_24const_host_device_scalarIT2_EEPKiS6_PKS3_S8_S4_PS3_21rocsparse_index_base_b
		.amdhsa_group_segment_fixed_size 0
		.amdhsa_private_segment_fixed_size 0
		.amdhsa_kernarg_size 72
		.amdhsa_user_sgpr_count 6
		.amdhsa_user_sgpr_private_segment_buffer 1
		.amdhsa_user_sgpr_dispatch_ptr 0
		.amdhsa_user_sgpr_queue_ptr 0
		.amdhsa_user_sgpr_kernarg_segment_ptr 1
		.amdhsa_user_sgpr_dispatch_id 0
		.amdhsa_user_sgpr_flat_scratch_init 0
		.amdhsa_user_sgpr_private_segment_size 0
		.amdhsa_wavefront_size32 1
		.amdhsa_uses_dynamic_stack 0
		.amdhsa_system_sgpr_private_segment_wavefront_offset 0
		.amdhsa_system_sgpr_workgroup_id_x 1
		.amdhsa_system_sgpr_workgroup_id_y 0
		.amdhsa_system_sgpr_workgroup_id_z 0
		.amdhsa_system_sgpr_workgroup_info 0
		.amdhsa_system_vgpr_workitem_id 0
		.amdhsa_next_free_vgpr 78
		.amdhsa_next_free_sgpr 16
		.amdhsa_reserve_vcc 1
		.amdhsa_reserve_flat_scratch 0
		.amdhsa_float_round_mode_32 0
		.amdhsa_float_round_mode_16_64 0
		.amdhsa_float_denorm_mode_32 3
		.amdhsa_float_denorm_mode_16_64 3
		.amdhsa_dx10_clamp 1
		.amdhsa_ieee_mode 1
		.amdhsa_fp16_overflow 0
		.amdhsa_workgroup_processor_mode 1
		.amdhsa_memory_ordered 1
		.amdhsa_forward_progress 1
		.amdhsa_shared_vgpr_count 0
		.amdhsa_exception_fp_ieee_invalid_op 0
		.amdhsa_exception_fp_denorm_src 0
		.amdhsa_exception_fp_ieee_div_zero 0
		.amdhsa_exception_fp_ieee_overflow 0
		.amdhsa_exception_fp_ieee_underflow 0
		.amdhsa_exception_fp_ieee_inexact 0
		.amdhsa_exception_int_div_zero 0
	.end_amdhsa_kernel
	.section	.text._ZN9rocsparseL19gebsrmvn_2xn_kernelILj128ELj10ELj64EdEEvi20rocsparse_direction_NS_24const_host_device_scalarIT2_EEPKiS6_PKS3_S8_S4_PS3_21rocsparse_index_base_b,"axG",@progbits,_ZN9rocsparseL19gebsrmvn_2xn_kernelILj128ELj10ELj64EdEEvi20rocsparse_direction_NS_24const_host_device_scalarIT2_EEPKiS6_PKS3_S8_S4_PS3_21rocsparse_index_base_b,comdat
.Lfunc_end120:
	.size	_ZN9rocsparseL19gebsrmvn_2xn_kernelILj128ELj10ELj64EdEEvi20rocsparse_direction_NS_24const_host_device_scalarIT2_EEPKiS6_PKS3_S8_S4_PS3_21rocsparse_index_base_b, .Lfunc_end120-_ZN9rocsparseL19gebsrmvn_2xn_kernelILj128ELj10ELj64EdEEvi20rocsparse_direction_NS_24const_host_device_scalarIT2_EEPKiS6_PKS3_S8_S4_PS3_21rocsparse_index_base_b
                                        ; -- End function
	.set _ZN9rocsparseL19gebsrmvn_2xn_kernelILj128ELj10ELj64EdEEvi20rocsparse_direction_NS_24const_host_device_scalarIT2_EEPKiS6_PKS3_S8_S4_PS3_21rocsparse_index_base_b.num_vgpr, 78
	.set _ZN9rocsparseL19gebsrmvn_2xn_kernelILj128ELj10ELj64EdEEvi20rocsparse_direction_NS_24const_host_device_scalarIT2_EEPKiS6_PKS3_S8_S4_PS3_21rocsparse_index_base_b.num_agpr, 0
	.set _ZN9rocsparseL19gebsrmvn_2xn_kernelILj128ELj10ELj64EdEEvi20rocsparse_direction_NS_24const_host_device_scalarIT2_EEPKiS6_PKS3_S8_S4_PS3_21rocsparse_index_base_b.numbered_sgpr, 16
	.set _ZN9rocsparseL19gebsrmvn_2xn_kernelILj128ELj10ELj64EdEEvi20rocsparse_direction_NS_24const_host_device_scalarIT2_EEPKiS6_PKS3_S8_S4_PS3_21rocsparse_index_base_b.num_named_barrier, 0
	.set _ZN9rocsparseL19gebsrmvn_2xn_kernelILj128ELj10ELj64EdEEvi20rocsparse_direction_NS_24const_host_device_scalarIT2_EEPKiS6_PKS3_S8_S4_PS3_21rocsparse_index_base_b.private_seg_size, 0
	.set _ZN9rocsparseL19gebsrmvn_2xn_kernelILj128ELj10ELj64EdEEvi20rocsparse_direction_NS_24const_host_device_scalarIT2_EEPKiS6_PKS3_S8_S4_PS3_21rocsparse_index_base_b.uses_vcc, 1
	.set _ZN9rocsparseL19gebsrmvn_2xn_kernelILj128ELj10ELj64EdEEvi20rocsparse_direction_NS_24const_host_device_scalarIT2_EEPKiS6_PKS3_S8_S4_PS3_21rocsparse_index_base_b.uses_flat_scratch, 0
	.set _ZN9rocsparseL19gebsrmvn_2xn_kernelILj128ELj10ELj64EdEEvi20rocsparse_direction_NS_24const_host_device_scalarIT2_EEPKiS6_PKS3_S8_S4_PS3_21rocsparse_index_base_b.has_dyn_sized_stack, 0
	.set _ZN9rocsparseL19gebsrmvn_2xn_kernelILj128ELj10ELj64EdEEvi20rocsparse_direction_NS_24const_host_device_scalarIT2_EEPKiS6_PKS3_S8_S4_PS3_21rocsparse_index_base_b.has_recursion, 0
	.set _ZN9rocsparseL19gebsrmvn_2xn_kernelILj128ELj10ELj64EdEEvi20rocsparse_direction_NS_24const_host_device_scalarIT2_EEPKiS6_PKS3_S8_S4_PS3_21rocsparse_index_base_b.has_indirect_call, 0
	.section	.AMDGPU.csdata,"",@progbits
; Kernel info:
; codeLenInByte = 2936
; TotalNumSgprs: 18
; NumVgprs: 78
; ScratchSize: 0
; MemoryBound: 0
; FloatMode: 240
; IeeeMode: 1
; LDSByteSize: 0 bytes/workgroup (compile time only)
; SGPRBlocks: 0
; VGPRBlocks: 9
; NumSGPRsForWavesPerEU: 18
; NumVGPRsForWavesPerEU: 78
; Occupancy: 12
; WaveLimiterHint : 1
; COMPUTE_PGM_RSRC2:SCRATCH_EN: 0
; COMPUTE_PGM_RSRC2:USER_SGPR: 6
; COMPUTE_PGM_RSRC2:TRAP_HANDLER: 0
; COMPUTE_PGM_RSRC2:TGID_X_EN: 1
; COMPUTE_PGM_RSRC2:TGID_Y_EN: 0
; COMPUTE_PGM_RSRC2:TGID_Z_EN: 0
; COMPUTE_PGM_RSRC2:TIDIG_COMP_CNT: 0
	.section	.text._ZN9rocsparseL19gebsrmvn_2xn_kernelILj128ELj11ELj4EdEEvi20rocsparse_direction_NS_24const_host_device_scalarIT2_EEPKiS6_PKS3_S8_S4_PS3_21rocsparse_index_base_b,"axG",@progbits,_ZN9rocsparseL19gebsrmvn_2xn_kernelILj128ELj11ELj4EdEEvi20rocsparse_direction_NS_24const_host_device_scalarIT2_EEPKiS6_PKS3_S8_S4_PS3_21rocsparse_index_base_b,comdat
	.globl	_ZN9rocsparseL19gebsrmvn_2xn_kernelILj128ELj11ELj4EdEEvi20rocsparse_direction_NS_24const_host_device_scalarIT2_EEPKiS6_PKS3_S8_S4_PS3_21rocsparse_index_base_b ; -- Begin function _ZN9rocsparseL19gebsrmvn_2xn_kernelILj128ELj11ELj4EdEEvi20rocsparse_direction_NS_24const_host_device_scalarIT2_EEPKiS6_PKS3_S8_S4_PS3_21rocsparse_index_base_b
	.p2align	8
	.type	_ZN9rocsparseL19gebsrmvn_2xn_kernelILj128ELj11ELj4EdEEvi20rocsparse_direction_NS_24const_host_device_scalarIT2_EEPKiS6_PKS3_S8_S4_PS3_21rocsparse_index_base_b,@function
_ZN9rocsparseL19gebsrmvn_2xn_kernelILj128ELj11ELj4EdEEvi20rocsparse_direction_NS_24const_host_device_scalarIT2_EEPKiS6_PKS3_S8_S4_PS3_21rocsparse_index_base_b: ; @_ZN9rocsparseL19gebsrmvn_2xn_kernelILj128ELj11ELj4EdEEvi20rocsparse_direction_NS_24const_host_device_scalarIT2_EEPKiS6_PKS3_S8_S4_PS3_21rocsparse_index_base_b
; %bb.0:
	s_clause 0x2
	s_load_dwordx2 s[2:3], s[4:5], 0x40
	s_load_dwordx2 s[8:9], s[4:5], 0x8
	;; [unrolled: 1-line block ×3, first 2 shown]
	s_waitcnt lgkmcnt(0)
	s_bitcmp1_b32 s3, 0
	v_mov_b32_e32 v1, s8
	v_mov_b32_e32 v2, s9
	s_cselect_b32 s3, -1, 0
	s_and_b32 vcc_lo, exec_lo, s3
	s_xor_b32 s3, s3, -1
	s_cbranch_vccnz .LBB121_2
; %bb.1:
	v_mov_b32_e32 v1, s8
	v_mov_b32_e32 v2, s9
	flat_load_dwordx2 v[1:2], v[1:2]
.LBB121_2:
	v_mov_b32_e32 v4, s1
	v_mov_b32_e32 v3, s0
	s_andn2_b32 vcc_lo, exec_lo, s3
	s_cbranch_vccnz .LBB121_4
; %bb.3:
	v_mov_b32_e32 v4, s1
	v_mov_b32_e32 v3, s0
	flat_load_dwordx2 v[3:4], v[3:4]
.LBB121_4:
	s_waitcnt vmcnt(0) lgkmcnt(0)
	v_cmp_neq_f64_e32 vcc_lo, 0, v[1:2]
	v_cmp_neq_f64_e64 s0, 1.0, v[3:4]
	s_or_b32 s0, vcc_lo, s0
	s_and_saveexec_b32 s1, s0
	s_cbranch_execz .LBB121_23
; %bb.5:
	s_load_dwordx2 s[0:1], s[4:5], 0x0
	v_lshrrev_b32_e32 v5, 2, v0
	v_lshl_or_b32 v5, s6, 5, v5
	s_waitcnt lgkmcnt(0)
	v_cmp_gt_i32_e32 vcc_lo, s0, v5
	s_and_b32 exec_lo, exec_lo, vcc_lo
	s_cbranch_execz .LBB121_23
; %bb.6:
	s_load_dwordx8 s[8:15], s[4:5], 0x10
	v_ashrrev_i32_e32 v6, 31, v5
	v_and_b32_e32 v0, 3, v0
	s_cmp_lg_u32 s1, 0
	v_lshlrev_b64 v[6:7], 2, v[5:6]
	s_waitcnt lgkmcnt(0)
	v_add_co_u32 v6, vcc_lo, s8, v6
	v_add_co_ci_u32_e64 v7, null, s9, v7, vcc_lo
	global_load_dwordx2 v[6:7], v[6:7], off
	s_waitcnt vmcnt(0)
	v_subrev_nc_u32_e32 v6, s2, v6
	v_subrev_nc_u32_e32 v16, s2, v7
	v_add_nc_u32_e32 v6, v6, v0
	v_cmp_lt_i32_e64 s0, v6, v16
	s_cbranch_scc0 .LBB121_12
; %bb.7:
	v_mov_b32_e32 v8, 0
	v_mov_b32_e32 v10, 0
	;; [unrolled: 1-line block ×4, first 2 shown]
	s_and_saveexec_b32 s1, s0
	s_cbranch_execz .LBB121_11
; %bb.8:
	v_mad_u64_u32 v[7:8], null, v6, 22, 20
	v_mov_b32_e32 v8, 0
	v_mov_b32_e32 v10, 0
	;; [unrolled: 1-line block ×6, first 2 shown]
	s_mov_b32 s3, 0
.LBB121_9:                              ; =>This Inner Loop Header: Depth=1
	v_ashrrev_i32_e32 v15, 31, v14
	v_subrev_nc_u32_e32 v12, 20, v7
	v_mov_b32_e32 v46, v13
	v_lshlrev_b64 v[17:18], 2, v[14:15]
	v_add_nc_u32_e32 v14, 4, v14
	v_add_co_u32 v17, vcc_lo, s10, v17
	v_add_co_ci_u32_e64 v18, null, s11, v18, vcc_lo
	global_load_dword v15, v[17:18], off
	v_lshlrev_b64 v[17:18], 3, v[12:13]
	v_subrev_nc_u32_e32 v12, 18, v7
	v_lshlrev_b64 v[19:20], 3, v[12:13]
	v_add_co_u32 v17, vcc_lo, s12, v17
	v_add_co_ci_u32_e64 v18, null, s13, v18, vcc_lo
	v_add_co_u32 v21, vcc_lo, s12, v19
	v_add_co_ci_u32_e64 v22, null, s13, v20, vcc_lo
	s_clause 0x1
	global_load_dwordx4 v[17:20], v[17:18], off
	global_load_dwordx4 v[21:24], v[21:22], off
	s_waitcnt vmcnt(2)
	v_subrev_nc_u32_e32 v12, s2, v15
	v_mul_lo_u32 v45, v12, 11
	v_lshlrev_b64 v[25:26], 3, v[45:46]
	v_add_nc_u32_e32 v12, 1, v45
	v_lshlrev_b64 v[27:28], 3, v[12:13]
	v_add_co_u32 v25, vcc_lo, s14, v25
	v_add_co_ci_u32_e64 v26, null, s15, v26, vcc_lo
	v_add_nc_u32_e32 v12, -16, v7
	global_load_dwordx2 v[46:47], v[25:26], off
	v_add_co_u32 v25, vcc_lo, s14, v27
	v_add_co_ci_u32_e64 v26, null, s15, v28, vcc_lo
	v_lshlrev_b64 v[29:30], 3, v[12:13]
	v_add_nc_u32_e32 v12, 2, v45
	global_load_dwordx2 v[48:49], v[25:26], off
	v_lshlrev_b64 v[27:28], 3, v[12:13]
	v_add_co_u32 v25, vcc_lo, s12, v29
	v_add_co_ci_u32_e64 v26, null, s13, v30, vcc_lo
	v_add_nc_u32_e32 v12, -14, v7
	v_add_co_u32 v31, vcc_lo, s14, v27
	v_add_co_ci_u32_e64 v32, null, s15, v28, vcc_lo
	global_load_dwordx4 v[25:28], v[25:26], off
	global_load_dwordx2 v[50:51], v[31:32], off
	v_lshlrev_b64 v[29:30], 3, v[12:13]
	v_add_nc_u32_e32 v12, 3, v45
	v_lshlrev_b64 v[31:32], 3, v[12:13]
	v_add_co_u32 v29, vcc_lo, s12, v29
	v_add_co_ci_u32_e64 v30, null, s13, v30, vcc_lo
	v_add_nc_u32_e32 v12, -12, v7
	v_add_co_u32 v33, vcc_lo, s14, v31
	v_add_co_ci_u32_e64 v34, null, s15, v32, vcc_lo
	global_load_dwordx4 v[29:32], v[29:30], off
	global_load_dwordx2 v[52:53], v[33:34], off
	v_lshlrev_b64 v[35:36], 3, v[12:13]
	v_add_nc_u32_e32 v12, 4, v45
	;; [unrolled: 10-line block ×5, first 2 shown]
	v_add_co_u32 v58, vcc_lo, s12, v58
	v_lshlrev_b64 v[62:63], 3, v[12:13]
	v_add_co_ci_u32_e64 v59, null, s13, v59, vcc_lo
	v_add_nc_u32_e32 v12, -4, v7
	s_waitcnt vmcnt(11)
	v_fma_f64 v[8:9], v[17:18], v[46:47], v[8:9]
	v_fma_f64 v[10:11], v[19:20], v[46:47], v[10:11]
	global_load_dwordx4 v[17:20], v[58:59], off
	v_add_co_u32 v58, vcc_lo, s14, v62
	v_add_co_ci_u32_e64 v59, null, s15, v63, vcc_lo
	v_lshlrev_b64 v[46:47], 3, v[12:13]
	v_add_nc_u32_e32 v12, 8, v45
	global_load_dwordx2 v[58:59], v[58:59], off
	v_lshlrev_b64 v[62:63], 3, v[12:13]
	v_add_nc_u32_e32 v12, -2, v7
	v_add_co_u32 v46, vcc_lo, s12, v46
	v_add_co_ci_u32_e64 v47, null, s13, v47, vcc_lo
	s_waitcnt vmcnt(12)
	v_fma_f64 v[64:65], v[21:22], v[48:49], v[8:9]
	v_lshlrev_b64 v[21:22], 3, v[12:13]
	v_fma_f64 v[9:10], v[23:24], v[48:49], v[10:11]
	v_add_co_u32 v48, vcc_lo, s14, v62
	v_add_co_ci_u32_e64 v49, null, s15, v63, vcc_lo
	v_add_co_u32 v62, vcc_lo, s12, v21
	v_add_co_ci_u32_e64 v63, null, s13, v22, vcc_lo
	global_load_dwordx4 v[21:24], v[46:47], off
	global_load_dwordx2 v[46:47], v[48:49], off
	v_add_nc_u32_e32 v12, 9, v45
	v_mov_b32_e32 v8, v13
	v_lshlrev_b64 v[11:12], 3, v[12:13]
	s_waitcnt vmcnt(12)
	v_fma_f64 v[48:49], v[25:26], v[50:51], v[64:65]
	v_add_co_u32 v11, vcc_lo, s14, v11
	v_add_co_ci_u32_e64 v12, null, s15, v12, vcc_lo
	v_fma_f64 v[50:51], v[27:28], v[50:51], v[9:10]
	global_load_dwordx4 v[25:28], v[62:63], off
	global_load_dwordx2 v[62:63], v[11:12], off
	v_add_nc_u32_e32 v12, 10, v45
	v_lshlrev_b64 v[8:9], 3, v[7:8]
	v_add_nc_u32_e32 v7, 0x58, v7
	v_lshlrev_b64 v[10:11], 3, v[12:13]
	v_add_co_u32 v8, vcc_lo, s12, v8
	v_add_co_ci_u32_e64 v9, null, s13, v9, vcc_lo
	v_add_co_u32 v64, vcc_lo, s14, v10
	v_add_co_ci_u32_e64 v65, null, s15, v11, vcc_lo
	global_load_dwordx4 v[8:11], v[8:9], off
	global_load_dwordx2 v[64:65], v[64:65], off
	s_waitcnt vmcnt(14)
	v_fma_f64 v[29:30], v[29:30], v[52:53], v[48:49]
	v_fma_f64 v[31:32], v[31:32], v[52:53], v[50:51]
	v_cmp_ge_i32_e32 vcc_lo, v14, v16
	s_or_b32 s3, vcc_lo, s3
	s_waitcnt vmcnt(12)
	v_fma_f64 v[29:30], v[33:34], v[54:55], v[29:30]
	v_fma_f64 v[31:32], v[35:36], v[54:55], v[31:32]
	s_waitcnt vmcnt(10)
	v_fma_f64 v[29:30], v[37:38], v[56:57], v[29:30]
	v_fma_f64 v[31:32], v[39:40], v[56:57], v[31:32]
	;; [unrolled: 3-line block ×7, first 2 shown]
	s_andn2_b32 exec_lo, exec_lo, s3
	s_cbranch_execnz .LBB121_9
; %bb.10:
	s_or_b32 exec_lo, exec_lo, s3
.LBB121_11:
	s_or_b32 exec_lo, exec_lo, s1
	s_cbranch_execz .LBB121_13
	s_branch .LBB121_18
.LBB121_12:
                                        ; implicit-def: $vgpr8_vgpr9
                                        ; implicit-def: $vgpr10_vgpr11
.LBB121_13:
	v_mov_b32_e32 v8, 0
	v_mov_b32_e32 v10, 0
	;; [unrolled: 1-line block ×4, first 2 shown]
	s_and_saveexec_b32 s1, s0
	s_cbranch_execz .LBB121_17
; %bb.14:
	v_mad_u64_u32 v[12:13], null, v6, 22, 21
	v_mov_b32_e32 v8, 0
	v_mov_b32_e32 v10, 0
	v_mov_b32_e32 v9, 0
	v_mov_b32_e32 v11, 0
	v_mov_b32_e32 v15, 0
	s_mov_b32 s0, 0
.LBB121_15:                             ; =>This Inner Loop Header: Depth=1
	v_ashrrev_i32_e32 v7, 31, v6
	v_subrev_nc_u32_e32 v14, 21, v12
	v_add_nc_u32_e32 v17, -10, v12
	v_mov_b32_e32 v18, v15
	v_mov_b32_e32 v13, v15
	v_lshlrev_b64 v[19:20], 2, v[6:7]
	v_lshlrev_b64 v[23:24], 3, v[14:15]
	v_mov_b32_e32 v22, v15
	v_lshlrev_b64 v[17:18], 3, v[17:18]
	v_lshlrev_b64 v[13:14], 3, v[12:13]
	v_add_nc_u32_e32 v6, 4, v6
	v_add_co_u32 v19, vcc_lo, s10, v19
	v_add_co_ci_u32_e64 v20, null, s11, v20, vcc_lo
	v_add_co_u32 v23, vcc_lo, s12, v23
	v_add_co_ci_u32_e64 v24, null, s13, v24, vcc_lo
	global_load_dword v7, v[19:20], off
	v_add_co_u32 v17, vcc_lo, s12, v17
	v_add_co_ci_u32_e64 v18, null, s13, v18, vcc_lo
	v_add_co_u32 v25, vcc_lo, s12, v13
	v_add_co_ci_u32_e64 v26, null, s13, v14, vcc_lo
	s_waitcnt vmcnt(0)
	v_subrev_nc_u32_e32 v7, s2, v7
	v_mul_lo_u32 v21, v7, 11
	v_add_nc_u32_e32 v14, 1, v21
	v_lshlrev_b64 v[19:20], 3, v[21:22]
	v_lshlrev_b64 v[27:28], 3, v[14:15]
	v_add_nc_u32_e32 v14, -9, v12
	v_add_co_u32 v19, vcc_lo, s14, v19
	v_add_co_ci_u32_e64 v20, null, s15, v20, vcc_lo
	v_lshlrev_b64 v[29:30], 3, v[14:15]
	v_subrev_nc_u32_e32 v14, 19, v12
	v_add_co_u32 v27, vcc_lo, s14, v27
	v_add_co_ci_u32_e64 v28, null, s15, v28, vcc_lo
	v_lshlrev_b64 v[31:32], 3, v[14:15]
	v_add_nc_u32_e32 v14, 2, v21
	v_add_co_u32 v29, vcc_lo, s12, v29
	v_add_co_ci_u32_e64 v30, null, s13, v30, vcc_lo
	v_lshlrev_b64 v[33:34], 3, v[14:15]
	v_add_nc_u32_e32 v14, -8, v12
	v_add_co_u32 v31, vcc_lo, s12, v31
	v_add_co_ci_u32_e64 v32, null, s13, v32, vcc_lo
	v_lshlrev_b64 v[35:36], 3, v[14:15]
	v_subrev_nc_u32_e32 v14, 18, v12
	v_add_co_u32 v33, vcc_lo, s14, v33
	v_add_co_ci_u32_e64 v34, null, s15, v34, vcc_lo
	v_lshlrev_b64 v[37:38], 3, v[14:15]
	v_add_nc_u32_e32 v14, 3, v21
	v_add_co_u32 v35, vcc_lo, s12, v35
	v_add_co_ci_u32_e64 v36, null, s13, v36, vcc_lo
	;; [unrolled: 12-line block ×3, first 2 shown]
	v_lshlrev_b64 v[45:46], 3, v[14:15]
	v_add_nc_u32_e32 v14, -6, v12
	v_add_co_u32 v43, vcc_lo, s12, v43
	v_add_co_ci_u32_e64 v44, null, s13, v44, vcc_lo
	v_lshlrev_b64 v[47:48], 3, v[14:15]
	v_add_nc_u32_e32 v14, -16, v12
	v_add_co_u32 v45, vcc_lo, s14, v45
	v_add_co_ci_u32_e64 v46, null, s15, v46, vcc_lo
	v_lshlrev_b64 v[49:50], 3, v[14:15]
	v_add_nc_u32_e32 v14, 5, v21
	v_add_co_u32 v47, vcc_lo, s12, v47
	v_add_co_ci_u32_e64 v48, null, s13, v48, vcc_lo
	v_lshlrev_b64 v[51:52], 3, v[14:15]
	v_add_nc_u32_e32 v14, -5, v12
	v_add_co_u32 v49, vcc_lo, s12, v49
	v_add_co_ci_u32_e64 v50, null, s13, v50, vcc_lo
	v_lshlrev_b64 v[53:54], 3, v[14:15]
	v_add_nc_u32_e32 v14, -15, v12
	v_add_co_u32 v51, vcc_lo, s14, v51
	v_add_co_ci_u32_e64 v52, null, s15, v52, vcc_lo
	v_lshlrev_b64 v[55:56], 3, v[14:15]
	v_add_nc_u32_e32 v14, 6, v21
	v_add_co_u32 v53, vcc_lo, s12, v53
	v_add_co_ci_u32_e64 v54, null, s13, v54, vcc_lo
	;; [unrolled: 12-line block ×3, first 2 shown]
	v_lshlrev_b64 v[13:14], 3, v[14:15]
	v_add_co_u32 v61, vcc_lo, s12, v61
	v_add_co_ci_u32_e64 v62, null, s13, v62, vcc_lo
	v_add_co_u32 v63, vcc_lo, s14, v13
	v_add_co_ci_u32_e64 v64, null, s15, v14, vcc_lo
	global_load_dwordx2 v[13:14], v[17:18], off
	global_load_dwordx2 v[65:66], v[19:20], off
	global_load_dwordx4 v[17:20], v[23:24], off
	global_load_dwordx2 v[22:23], v[27:28], off
	s_clause 0x1
	global_load_dwordx2 v[27:28], v[29:30], off
	global_load_dwordx2 v[29:30], v[31:32], off
	;; [unrolled: 1-line block ×3, first 2 shown]
	s_clause 0x1
	global_load_dwordx2 v[35:36], v[35:36], off
	global_load_dwordx2 v[37:38], v[37:38], off
	s_waitcnt vmcnt(6)
	v_fma_f64 v[7:8], v[17:18], v[65:66], v[8:9]
	v_fma_f64 v[10:11], v[13:14], v[65:66], v[10:11]
	v_add_nc_u32_e32 v14, -3, v12
	v_lshlrev_b64 v[17:18], 3, v[14:15]
	v_add_nc_u32_e32 v14, -13, v12
	v_add_co_u32 v17, vcc_lo, s12, v17
	v_add_co_ci_u32_e64 v18, null, s13, v18, vcc_lo
	s_waitcnt vmcnt(5)
	v_fma_f64 v[7:8], v[19:20], v[22:23], v[7:8]
	v_lshlrev_b64 v[19:20], 3, v[14:15]
	v_add_nc_u32_e32 v14, 8, v21
	s_waitcnt vmcnt(4)
	v_fma_f64 v[9:10], v[27:28], v[22:23], v[10:11]
	v_lshlrev_b64 v[31:32], 3, v[14:15]
	v_add_nc_u32_e32 v14, -2, v12
	v_add_co_u32 v19, vcc_lo, s12, v19
	v_add_co_ci_u32_e64 v20, null, s13, v20, vcc_lo
	v_lshlrev_b64 v[22:23], 3, v[14:15]
	v_add_nc_u32_e32 v14, -12, v12
	v_add_co_u32 v27, vcc_lo, s14, v31
	v_add_co_ci_u32_e64 v28, null, s15, v32, vcc_lo
	v_lshlrev_b64 v[13:14], 3, v[14:15]
	v_add_co_u32 v22, vcc_lo, s12, v22
	v_add_co_ci_u32_e64 v23, null, s13, v23, vcc_lo
	s_waitcnt vmcnt(2)
	v_fma_f64 v[7:8], v[29:30], v[33:34], v[7:8]
	v_add_co_u32 v31, vcc_lo, s12, v13
	v_add_co_ci_u32_e64 v32, null, s13, v14, vcc_lo
	v_add_nc_u32_e32 v14, 9, v21
	s_waitcnt vmcnt(1)
	v_fma_f64 v[9:10], v[35:36], v[33:34], v[9:10]
	v_lshlrev_b64 v[29:30], 3, v[14:15]
	v_add_nc_u32_e32 v14, -1, v12
	v_lshlrev_b64 v[33:34], 3, v[14:15]
	v_add_nc_u32_e32 v14, -11, v12
	v_add_co_u32 v29, vcc_lo, s14, v29
	v_add_co_ci_u32_e64 v30, null, s15, v30, vcc_lo
	v_lshlrev_b64 v[35:36], 3, v[14:15]
	v_add_nc_u32_e32 v14, 10, v21
	v_add_co_u32 v33, vcc_lo, s12, v33
	v_add_co_ci_u32_e64 v34, null, s13, v34, vcc_lo
	v_lshlrev_b64 v[13:14], 3, v[14:15]
	v_add_co_u32 v35, vcc_lo, s12, v35
	v_add_co_ci_u32_e64 v36, null, s13, v36, vcc_lo
	v_add_nc_u32_e32 v12, 0x58, v12
	v_add_co_u32 v13, vcc_lo, s14, v13
	v_add_co_ci_u32_e64 v14, null, s15, v14, vcc_lo
	global_load_dwordx2 v[39:40], v[39:40], off
	s_clause 0x1
	global_load_dwordx2 v[41:42], v[41:42], off
	global_load_dwordx2 v[43:44], v[43:44], off
	global_load_dwordx2 v[45:46], v[45:46], off
	s_clause 0x1
	global_load_dwordx2 v[47:48], v[47:48], off
	global_load_dwordx2 v[49:50], v[49:50], off
	;; [unrolled: 4-line block ×7, first 2 shown]
	global_load_dwordx2 v[33:34], v[35:36], off
	global_load_dwordx2 v[13:14], v[13:14], off
	v_cmp_ge_i32_e32 vcc_lo, v6, v16
	s_or_b32 s0, vcc_lo, s0
	s_waitcnt vmcnt(22)
	v_fma_f64 v[7:8], v[37:38], v[39:40], v[7:8]
	s_waitcnt vmcnt(21)
	v_fma_f64 v[9:10], v[41:42], v[39:40], v[9:10]
	;; [unrolled: 2-line block ×15, first 2 shown]
	v_fma_f64 v[10:11], v[25:26], v[13:14], v[10:11]
	s_andn2_b32 exec_lo, exec_lo, s0
	s_cbranch_execnz .LBB121_15
; %bb.16:
	s_or_b32 exec_lo, exec_lo, s0
.LBB121_17:
	s_or_b32 exec_lo, exec_lo, s1
.LBB121_18:
	v_mbcnt_lo_u32_b32 v14, -1, 0
	v_xor_b32_e32 v6, 2, v14
	v_cmp_gt_i32_e32 vcc_lo, 32, v6
	v_cndmask_b32_e32 v6, v14, v6, vcc_lo
	v_lshlrev_b32_e32 v13, 2, v6
	ds_bpermute_b32 v6, v13, v8
	ds_bpermute_b32 v7, v13, v9
	;; [unrolled: 1-line block ×4, first 2 shown]
	s_waitcnt lgkmcnt(2)
	v_add_f64 v[6:7], v[8:9], v[6:7]
	v_xor_b32_e32 v8, 1, v14
	s_waitcnt lgkmcnt(0)
	v_add_f64 v[10:11], v[10:11], v[12:13]
	v_cmp_gt_i32_e32 vcc_lo, 32, v8
	v_cndmask_b32_e32 v8, v14, v8, vcc_lo
	v_cmp_eq_u32_e32 vcc_lo, 3, v0
	v_lshlrev_b32_e32 v13, 2, v8
	ds_bpermute_b32 v8, v13, v6
	ds_bpermute_b32 v9, v13, v7
	;; [unrolled: 1-line block ×4, first 2 shown]
	s_and_b32 exec_lo, exec_lo, vcc_lo
	s_cbranch_execz .LBB121_23
; %bb.19:
	s_waitcnt lgkmcnt(2)
	v_add_f64 v[8:9], v[6:7], v[8:9]
	s_waitcnt lgkmcnt(0)
	v_add_f64 v[6:7], v[10:11], v[12:13]
	s_load_dwordx2 s[0:1], s[4:5], 0x38
	s_mov_b32 s2, exec_lo
	v_cmpx_eq_f64_e32 0, v[3:4]
	s_xor_b32 s2, exec_lo, s2
	s_cbranch_execz .LBB121_21
; %bb.20:
	v_lshlrev_b32_e32 v0, 1, v5
	v_mul_f64 v[3:4], v[1:2], v[8:9]
	v_mul_f64 v[5:6], v[1:2], v[6:7]
                                        ; implicit-def: $vgpr8_vgpr9
	v_ashrrev_i32_e32 v1, 31, v0
	v_lshlrev_b64 v[0:1], 3, v[0:1]
	s_waitcnt lgkmcnt(0)
	v_add_co_u32 v0, vcc_lo, s0, v0
	v_add_co_ci_u32_e64 v1, null, s1, v1, vcc_lo
	global_store_dwordx4 v[0:1], v[3:6], off
                                        ; implicit-def: $vgpr5
                                        ; implicit-def: $vgpr1_vgpr2
                                        ; implicit-def: $vgpr3_vgpr4
                                        ; implicit-def: $vgpr6_vgpr7
.LBB121_21:
	s_andn2_saveexec_b32 s2, s2
	s_cbranch_execz .LBB121_23
; %bb.22:
	v_lshlrev_b32_e32 v10, 1, v5
	v_mul_f64 v[8:9], v[1:2], v[8:9]
	v_mul_f64 v[5:6], v[1:2], v[6:7]
	v_ashrrev_i32_e32 v11, 31, v10
	v_lshlrev_b64 v[10:11], 3, v[10:11]
	s_waitcnt lgkmcnt(0)
	v_add_co_u32 v14, vcc_lo, s0, v10
	v_add_co_ci_u32_e64 v15, null, s1, v11, vcc_lo
	global_load_dwordx4 v[10:13], v[14:15], off
	s_waitcnt vmcnt(0)
	v_fma_f64 v[0:1], v[3:4], v[10:11], v[8:9]
	v_fma_f64 v[2:3], v[3:4], v[12:13], v[5:6]
	global_store_dwordx4 v[14:15], v[0:3], off
.LBB121_23:
	s_endpgm
	.section	.rodata,"a",@progbits
	.p2align	6, 0x0
	.amdhsa_kernel _ZN9rocsparseL19gebsrmvn_2xn_kernelILj128ELj11ELj4EdEEvi20rocsparse_direction_NS_24const_host_device_scalarIT2_EEPKiS6_PKS3_S8_S4_PS3_21rocsparse_index_base_b
		.amdhsa_group_segment_fixed_size 0
		.amdhsa_private_segment_fixed_size 0
		.amdhsa_kernarg_size 72
		.amdhsa_user_sgpr_count 6
		.amdhsa_user_sgpr_private_segment_buffer 1
		.amdhsa_user_sgpr_dispatch_ptr 0
		.amdhsa_user_sgpr_queue_ptr 0
		.amdhsa_user_sgpr_kernarg_segment_ptr 1
		.amdhsa_user_sgpr_dispatch_id 0
		.amdhsa_user_sgpr_flat_scratch_init 0
		.amdhsa_user_sgpr_private_segment_size 0
		.amdhsa_wavefront_size32 1
		.amdhsa_uses_dynamic_stack 0
		.amdhsa_system_sgpr_private_segment_wavefront_offset 0
		.amdhsa_system_sgpr_workgroup_id_x 1
		.amdhsa_system_sgpr_workgroup_id_y 0
		.amdhsa_system_sgpr_workgroup_id_z 0
		.amdhsa_system_sgpr_workgroup_info 0
		.amdhsa_system_vgpr_workitem_id 0
		.amdhsa_next_free_vgpr 67
		.amdhsa_next_free_sgpr 16
		.amdhsa_reserve_vcc 1
		.amdhsa_reserve_flat_scratch 0
		.amdhsa_float_round_mode_32 0
		.amdhsa_float_round_mode_16_64 0
		.amdhsa_float_denorm_mode_32 3
		.amdhsa_float_denorm_mode_16_64 3
		.amdhsa_dx10_clamp 1
		.amdhsa_ieee_mode 1
		.amdhsa_fp16_overflow 0
		.amdhsa_workgroup_processor_mode 1
		.amdhsa_memory_ordered 1
		.amdhsa_forward_progress 1
		.amdhsa_shared_vgpr_count 0
		.amdhsa_exception_fp_ieee_invalid_op 0
		.amdhsa_exception_fp_denorm_src 0
		.amdhsa_exception_fp_ieee_div_zero 0
		.amdhsa_exception_fp_ieee_overflow 0
		.amdhsa_exception_fp_ieee_underflow 0
		.amdhsa_exception_fp_ieee_inexact 0
		.amdhsa_exception_int_div_zero 0
	.end_amdhsa_kernel
	.section	.text._ZN9rocsparseL19gebsrmvn_2xn_kernelILj128ELj11ELj4EdEEvi20rocsparse_direction_NS_24const_host_device_scalarIT2_EEPKiS6_PKS3_S8_S4_PS3_21rocsparse_index_base_b,"axG",@progbits,_ZN9rocsparseL19gebsrmvn_2xn_kernelILj128ELj11ELj4EdEEvi20rocsparse_direction_NS_24const_host_device_scalarIT2_EEPKiS6_PKS3_S8_S4_PS3_21rocsparse_index_base_b,comdat
.Lfunc_end121:
	.size	_ZN9rocsparseL19gebsrmvn_2xn_kernelILj128ELj11ELj4EdEEvi20rocsparse_direction_NS_24const_host_device_scalarIT2_EEPKiS6_PKS3_S8_S4_PS3_21rocsparse_index_base_b, .Lfunc_end121-_ZN9rocsparseL19gebsrmvn_2xn_kernelILj128ELj11ELj4EdEEvi20rocsparse_direction_NS_24const_host_device_scalarIT2_EEPKiS6_PKS3_S8_S4_PS3_21rocsparse_index_base_b
                                        ; -- End function
	.set _ZN9rocsparseL19gebsrmvn_2xn_kernelILj128ELj11ELj4EdEEvi20rocsparse_direction_NS_24const_host_device_scalarIT2_EEPKiS6_PKS3_S8_S4_PS3_21rocsparse_index_base_b.num_vgpr, 67
	.set _ZN9rocsparseL19gebsrmvn_2xn_kernelILj128ELj11ELj4EdEEvi20rocsparse_direction_NS_24const_host_device_scalarIT2_EEPKiS6_PKS3_S8_S4_PS3_21rocsparse_index_base_b.num_agpr, 0
	.set _ZN9rocsparseL19gebsrmvn_2xn_kernelILj128ELj11ELj4EdEEvi20rocsparse_direction_NS_24const_host_device_scalarIT2_EEPKiS6_PKS3_S8_S4_PS3_21rocsparse_index_base_b.numbered_sgpr, 16
	.set _ZN9rocsparseL19gebsrmvn_2xn_kernelILj128ELj11ELj4EdEEvi20rocsparse_direction_NS_24const_host_device_scalarIT2_EEPKiS6_PKS3_S8_S4_PS3_21rocsparse_index_base_b.num_named_barrier, 0
	.set _ZN9rocsparseL19gebsrmvn_2xn_kernelILj128ELj11ELj4EdEEvi20rocsparse_direction_NS_24const_host_device_scalarIT2_EEPKiS6_PKS3_S8_S4_PS3_21rocsparse_index_base_b.private_seg_size, 0
	.set _ZN9rocsparseL19gebsrmvn_2xn_kernelILj128ELj11ELj4EdEEvi20rocsparse_direction_NS_24const_host_device_scalarIT2_EEPKiS6_PKS3_S8_S4_PS3_21rocsparse_index_base_b.uses_vcc, 1
	.set _ZN9rocsparseL19gebsrmvn_2xn_kernelILj128ELj11ELj4EdEEvi20rocsparse_direction_NS_24const_host_device_scalarIT2_EEPKiS6_PKS3_S8_S4_PS3_21rocsparse_index_base_b.uses_flat_scratch, 0
	.set _ZN9rocsparseL19gebsrmvn_2xn_kernelILj128ELj11ELj4EdEEvi20rocsparse_direction_NS_24const_host_device_scalarIT2_EEPKiS6_PKS3_S8_S4_PS3_21rocsparse_index_base_b.has_dyn_sized_stack, 0
	.set _ZN9rocsparseL19gebsrmvn_2xn_kernelILj128ELj11ELj4EdEEvi20rocsparse_direction_NS_24const_host_device_scalarIT2_EEPKiS6_PKS3_S8_S4_PS3_21rocsparse_index_base_b.has_recursion, 0
	.set _ZN9rocsparseL19gebsrmvn_2xn_kernelILj128ELj11ELj4EdEEvi20rocsparse_direction_NS_24const_host_device_scalarIT2_EEPKiS6_PKS3_S8_S4_PS3_21rocsparse_index_base_b.has_indirect_call, 0
	.section	.AMDGPU.csdata,"",@progbits
; Kernel info:
; codeLenInByte = 3368
; TotalNumSgprs: 18
; NumVgprs: 67
; ScratchSize: 0
; MemoryBound: 0
; FloatMode: 240
; IeeeMode: 1
; LDSByteSize: 0 bytes/workgroup (compile time only)
; SGPRBlocks: 0
; VGPRBlocks: 8
; NumSGPRsForWavesPerEU: 18
; NumVGPRsForWavesPerEU: 67
; Occupancy: 12
; WaveLimiterHint : 1
; COMPUTE_PGM_RSRC2:SCRATCH_EN: 0
; COMPUTE_PGM_RSRC2:USER_SGPR: 6
; COMPUTE_PGM_RSRC2:TRAP_HANDLER: 0
; COMPUTE_PGM_RSRC2:TGID_X_EN: 1
; COMPUTE_PGM_RSRC2:TGID_Y_EN: 0
; COMPUTE_PGM_RSRC2:TGID_Z_EN: 0
; COMPUTE_PGM_RSRC2:TIDIG_COMP_CNT: 0
	.section	.text._ZN9rocsparseL19gebsrmvn_2xn_kernelILj128ELj11ELj8EdEEvi20rocsparse_direction_NS_24const_host_device_scalarIT2_EEPKiS6_PKS3_S8_S4_PS3_21rocsparse_index_base_b,"axG",@progbits,_ZN9rocsparseL19gebsrmvn_2xn_kernelILj128ELj11ELj8EdEEvi20rocsparse_direction_NS_24const_host_device_scalarIT2_EEPKiS6_PKS3_S8_S4_PS3_21rocsparse_index_base_b,comdat
	.globl	_ZN9rocsparseL19gebsrmvn_2xn_kernelILj128ELj11ELj8EdEEvi20rocsparse_direction_NS_24const_host_device_scalarIT2_EEPKiS6_PKS3_S8_S4_PS3_21rocsparse_index_base_b ; -- Begin function _ZN9rocsparseL19gebsrmvn_2xn_kernelILj128ELj11ELj8EdEEvi20rocsparse_direction_NS_24const_host_device_scalarIT2_EEPKiS6_PKS3_S8_S4_PS3_21rocsparse_index_base_b
	.p2align	8
	.type	_ZN9rocsparseL19gebsrmvn_2xn_kernelILj128ELj11ELj8EdEEvi20rocsparse_direction_NS_24const_host_device_scalarIT2_EEPKiS6_PKS3_S8_S4_PS3_21rocsparse_index_base_b,@function
_ZN9rocsparseL19gebsrmvn_2xn_kernelILj128ELj11ELj8EdEEvi20rocsparse_direction_NS_24const_host_device_scalarIT2_EEPKiS6_PKS3_S8_S4_PS3_21rocsparse_index_base_b: ; @_ZN9rocsparseL19gebsrmvn_2xn_kernelILj128ELj11ELj8EdEEvi20rocsparse_direction_NS_24const_host_device_scalarIT2_EEPKiS6_PKS3_S8_S4_PS3_21rocsparse_index_base_b
; %bb.0:
	s_clause 0x2
	s_load_dwordx2 s[2:3], s[4:5], 0x40
	s_load_dwordx2 s[8:9], s[4:5], 0x8
	;; [unrolled: 1-line block ×3, first 2 shown]
	s_waitcnt lgkmcnt(0)
	s_bitcmp1_b32 s3, 0
	v_mov_b32_e32 v1, s8
	v_mov_b32_e32 v2, s9
	s_cselect_b32 s3, -1, 0
	s_and_b32 vcc_lo, exec_lo, s3
	s_xor_b32 s3, s3, -1
	s_cbranch_vccnz .LBB122_2
; %bb.1:
	v_mov_b32_e32 v1, s8
	v_mov_b32_e32 v2, s9
	flat_load_dwordx2 v[1:2], v[1:2]
.LBB122_2:
	v_mov_b32_e32 v4, s1
	v_mov_b32_e32 v3, s0
	s_andn2_b32 vcc_lo, exec_lo, s3
	s_cbranch_vccnz .LBB122_4
; %bb.3:
	v_mov_b32_e32 v4, s1
	v_mov_b32_e32 v3, s0
	flat_load_dwordx2 v[3:4], v[3:4]
.LBB122_4:
	s_waitcnt vmcnt(0) lgkmcnt(0)
	v_cmp_neq_f64_e32 vcc_lo, 0, v[1:2]
	v_cmp_neq_f64_e64 s0, 1.0, v[3:4]
	s_or_b32 s0, vcc_lo, s0
	s_and_saveexec_b32 s1, s0
	s_cbranch_execz .LBB122_23
; %bb.5:
	s_load_dwordx2 s[0:1], s[4:5], 0x0
	v_lshrrev_b32_e32 v5, 3, v0
	v_lshl_or_b32 v5, s6, 4, v5
	s_waitcnt lgkmcnt(0)
	v_cmp_gt_i32_e32 vcc_lo, s0, v5
	s_and_b32 exec_lo, exec_lo, vcc_lo
	s_cbranch_execz .LBB122_23
; %bb.6:
	s_load_dwordx8 s[8:15], s[4:5], 0x10
	v_ashrrev_i32_e32 v6, 31, v5
	v_and_b32_e32 v0, 7, v0
	s_cmp_lg_u32 s1, 0
	v_lshlrev_b64 v[6:7], 2, v[5:6]
	s_waitcnt lgkmcnt(0)
	v_add_co_u32 v6, vcc_lo, s8, v6
	v_add_co_ci_u32_e64 v7, null, s9, v7, vcc_lo
	global_load_dwordx2 v[6:7], v[6:7], off
	s_waitcnt vmcnt(0)
	v_subrev_nc_u32_e32 v6, s2, v6
	v_subrev_nc_u32_e32 v16, s2, v7
	v_add_nc_u32_e32 v6, v6, v0
	v_cmp_lt_i32_e64 s0, v6, v16
	s_cbranch_scc0 .LBB122_12
; %bb.7:
	v_mov_b32_e32 v8, 0
	v_mov_b32_e32 v10, 0
	;; [unrolled: 1-line block ×4, first 2 shown]
	s_and_saveexec_b32 s1, s0
	s_cbranch_execz .LBB122_11
; %bb.8:
	v_mad_u64_u32 v[7:8], null, v6, 22, 20
	v_mov_b32_e32 v8, 0
	v_mov_b32_e32 v10, 0
	;; [unrolled: 1-line block ×6, first 2 shown]
	s_mov_b32 s3, 0
.LBB122_9:                              ; =>This Inner Loop Header: Depth=1
	v_ashrrev_i32_e32 v15, 31, v14
	v_subrev_nc_u32_e32 v12, 20, v7
	v_mov_b32_e32 v46, v13
	v_lshlrev_b64 v[17:18], 2, v[14:15]
	v_add_nc_u32_e32 v14, 8, v14
	v_add_co_u32 v17, vcc_lo, s10, v17
	v_add_co_ci_u32_e64 v18, null, s11, v18, vcc_lo
	global_load_dword v15, v[17:18], off
	v_lshlrev_b64 v[17:18], 3, v[12:13]
	v_subrev_nc_u32_e32 v12, 18, v7
	v_lshlrev_b64 v[19:20], 3, v[12:13]
	v_add_co_u32 v17, vcc_lo, s12, v17
	v_add_co_ci_u32_e64 v18, null, s13, v18, vcc_lo
	v_add_co_u32 v21, vcc_lo, s12, v19
	v_add_co_ci_u32_e64 v22, null, s13, v20, vcc_lo
	s_clause 0x1
	global_load_dwordx4 v[17:20], v[17:18], off
	global_load_dwordx4 v[21:24], v[21:22], off
	s_waitcnt vmcnt(2)
	v_subrev_nc_u32_e32 v12, s2, v15
	v_mul_lo_u32 v45, v12, 11
	v_lshlrev_b64 v[25:26], 3, v[45:46]
	v_add_nc_u32_e32 v12, 1, v45
	v_lshlrev_b64 v[27:28], 3, v[12:13]
	v_add_co_u32 v25, vcc_lo, s14, v25
	v_add_co_ci_u32_e64 v26, null, s15, v26, vcc_lo
	v_add_nc_u32_e32 v12, -16, v7
	global_load_dwordx2 v[46:47], v[25:26], off
	v_add_co_u32 v25, vcc_lo, s14, v27
	v_add_co_ci_u32_e64 v26, null, s15, v28, vcc_lo
	v_lshlrev_b64 v[29:30], 3, v[12:13]
	v_add_nc_u32_e32 v12, 2, v45
	global_load_dwordx2 v[48:49], v[25:26], off
	v_lshlrev_b64 v[27:28], 3, v[12:13]
	v_add_co_u32 v25, vcc_lo, s12, v29
	v_add_co_ci_u32_e64 v26, null, s13, v30, vcc_lo
	v_add_nc_u32_e32 v12, -14, v7
	v_add_co_u32 v31, vcc_lo, s14, v27
	v_add_co_ci_u32_e64 v32, null, s15, v28, vcc_lo
	global_load_dwordx4 v[25:28], v[25:26], off
	global_load_dwordx2 v[50:51], v[31:32], off
	v_lshlrev_b64 v[29:30], 3, v[12:13]
	v_add_nc_u32_e32 v12, 3, v45
	v_lshlrev_b64 v[31:32], 3, v[12:13]
	v_add_co_u32 v29, vcc_lo, s12, v29
	v_add_co_ci_u32_e64 v30, null, s13, v30, vcc_lo
	v_add_nc_u32_e32 v12, -12, v7
	v_add_co_u32 v33, vcc_lo, s14, v31
	v_add_co_ci_u32_e64 v34, null, s15, v32, vcc_lo
	global_load_dwordx4 v[29:32], v[29:30], off
	global_load_dwordx2 v[52:53], v[33:34], off
	v_lshlrev_b64 v[35:36], 3, v[12:13]
	v_add_nc_u32_e32 v12, 4, v45
	;; [unrolled: 10-line block ×5, first 2 shown]
	v_add_co_u32 v58, vcc_lo, s12, v58
	v_lshlrev_b64 v[62:63], 3, v[12:13]
	v_add_co_ci_u32_e64 v59, null, s13, v59, vcc_lo
	v_add_nc_u32_e32 v12, -4, v7
	s_waitcnt vmcnt(11)
	v_fma_f64 v[8:9], v[17:18], v[46:47], v[8:9]
	v_fma_f64 v[10:11], v[19:20], v[46:47], v[10:11]
	global_load_dwordx4 v[17:20], v[58:59], off
	v_add_co_u32 v58, vcc_lo, s14, v62
	v_add_co_ci_u32_e64 v59, null, s15, v63, vcc_lo
	v_lshlrev_b64 v[46:47], 3, v[12:13]
	v_add_nc_u32_e32 v12, 8, v45
	global_load_dwordx2 v[58:59], v[58:59], off
	v_lshlrev_b64 v[62:63], 3, v[12:13]
	v_add_nc_u32_e32 v12, -2, v7
	v_add_co_u32 v46, vcc_lo, s12, v46
	v_add_co_ci_u32_e64 v47, null, s13, v47, vcc_lo
	s_waitcnt vmcnt(12)
	v_fma_f64 v[64:65], v[21:22], v[48:49], v[8:9]
	v_lshlrev_b64 v[21:22], 3, v[12:13]
	v_fma_f64 v[9:10], v[23:24], v[48:49], v[10:11]
	v_add_co_u32 v48, vcc_lo, s14, v62
	v_add_co_ci_u32_e64 v49, null, s15, v63, vcc_lo
	v_add_co_u32 v62, vcc_lo, s12, v21
	v_add_co_ci_u32_e64 v63, null, s13, v22, vcc_lo
	global_load_dwordx4 v[21:24], v[46:47], off
	global_load_dwordx2 v[46:47], v[48:49], off
	v_add_nc_u32_e32 v12, 9, v45
	v_mov_b32_e32 v8, v13
	v_lshlrev_b64 v[11:12], 3, v[12:13]
	s_waitcnt vmcnt(12)
	v_fma_f64 v[48:49], v[25:26], v[50:51], v[64:65]
	v_add_co_u32 v11, vcc_lo, s14, v11
	v_add_co_ci_u32_e64 v12, null, s15, v12, vcc_lo
	v_fma_f64 v[50:51], v[27:28], v[50:51], v[9:10]
	global_load_dwordx4 v[25:28], v[62:63], off
	global_load_dwordx2 v[62:63], v[11:12], off
	v_add_nc_u32_e32 v12, 10, v45
	v_lshlrev_b64 v[8:9], 3, v[7:8]
	v_add_nc_u32_e32 v7, 0xb0, v7
	v_lshlrev_b64 v[10:11], 3, v[12:13]
	v_add_co_u32 v8, vcc_lo, s12, v8
	v_add_co_ci_u32_e64 v9, null, s13, v9, vcc_lo
	v_add_co_u32 v64, vcc_lo, s14, v10
	v_add_co_ci_u32_e64 v65, null, s15, v11, vcc_lo
	global_load_dwordx4 v[8:11], v[8:9], off
	global_load_dwordx2 v[64:65], v[64:65], off
	s_waitcnt vmcnt(14)
	v_fma_f64 v[29:30], v[29:30], v[52:53], v[48:49]
	v_fma_f64 v[31:32], v[31:32], v[52:53], v[50:51]
	v_cmp_ge_i32_e32 vcc_lo, v14, v16
	s_or_b32 s3, vcc_lo, s3
	s_waitcnt vmcnt(12)
	v_fma_f64 v[29:30], v[33:34], v[54:55], v[29:30]
	v_fma_f64 v[31:32], v[35:36], v[54:55], v[31:32]
	s_waitcnt vmcnt(10)
	v_fma_f64 v[29:30], v[37:38], v[56:57], v[29:30]
	v_fma_f64 v[31:32], v[39:40], v[56:57], v[31:32]
	;; [unrolled: 3-line block ×7, first 2 shown]
	s_andn2_b32 exec_lo, exec_lo, s3
	s_cbranch_execnz .LBB122_9
; %bb.10:
	s_or_b32 exec_lo, exec_lo, s3
.LBB122_11:
	s_or_b32 exec_lo, exec_lo, s1
	s_cbranch_execz .LBB122_13
	s_branch .LBB122_18
.LBB122_12:
                                        ; implicit-def: $vgpr8_vgpr9
                                        ; implicit-def: $vgpr10_vgpr11
.LBB122_13:
	v_mov_b32_e32 v8, 0
	v_mov_b32_e32 v10, 0
	;; [unrolled: 1-line block ×4, first 2 shown]
	s_and_saveexec_b32 s1, s0
	s_cbranch_execz .LBB122_17
; %bb.14:
	v_mad_u64_u32 v[12:13], null, v6, 22, 21
	v_mov_b32_e32 v8, 0
	v_mov_b32_e32 v10, 0
	v_mov_b32_e32 v9, 0
	v_mov_b32_e32 v11, 0
	v_mov_b32_e32 v15, 0
	s_mov_b32 s0, 0
.LBB122_15:                             ; =>This Inner Loop Header: Depth=1
	v_ashrrev_i32_e32 v7, 31, v6
	v_subrev_nc_u32_e32 v14, 21, v12
	v_add_nc_u32_e32 v17, -10, v12
	v_mov_b32_e32 v18, v15
	v_mov_b32_e32 v13, v15
	v_lshlrev_b64 v[19:20], 2, v[6:7]
	v_lshlrev_b64 v[23:24], 3, v[14:15]
	v_mov_b32_e32 v22, v15
	v_lshlrev_b64 v[17:18], 3, v[17:18]
	v_lshlrev_b64 v[13:14], 3, v[12:13]
	v_add_nc_u32_e32 v6, 8, v6
	v_add_co_u32 v19, vcc_lo, s10, v19
	v_add_co_ci_u32_e64 v20, null, s11, v20, vcc_lo
	v_add_co_u32 v23, vcc_lo, s12, v23
	v_add_co_ci_u32_e64 v24, null, s13, v24, vcc_lo
	global_load_dword v7, v[19:20], off
	v_add_co_u32 v17, vcc_lo, s12, v17
	v_add_co_ci_u32_e64 v18, null, s13, v18, vcc_lo
	v_add_co_u32 v25, vcc_lo, s12, v13
	v_add_co_ci_u32_e64 v26, null, s13, v14, vcc_lo
	s_waitcnt vmcnt(0)
	v_subrev_nc_u32_e32 v7, s2, v7
	v_mul_lo_u32 v21, v7, 11
	v_add_nc_u32_e32 v14, 1, v21
	v_lshlrev_b64 v[19:20], 3, v[21:22]
	v_lshlrev_b64 v[27:28], 3, v[14:15]
	v_add_nc_u32_e32 v14, -9, v12
	v_add_co_u32 v19, vcc_lo, s14, v19
	v_add_co_ci_u32_e64 v20, null, s15, v20, vcc_lo
	v_lshlrev_b64 v[29:30], 3, v[14:15]
	v_subrev_nc_u32_e32 v14, 19, v12
	v_add_co_u32 v27, vcc_lo, s14, v27
	v_add_co_ci_u32_e64 v28, null, s15, v28, vcc_lo
	v_lshlrev_b64 v[31:32], 3, v[14:15]
	v_add_nc_u32_e32 v14, 2, v21
	v_add_co_u32 v29, vcc_lo, s12, v29
	v_add_co_ci_u32_e64 v30, null, s13, v30, vcc_lo
	v_lshlrev_b64 v[33:34], 3, v[14:15]
	v_add_nc_u32_e32 v14, -8, v12
	v_add_co_u32 v31, vcc_lo, s12, v31
	v_add_co_ci_u32_e64 v32, null, s13, v32, vcc_lo
	v_lshlrev_b64 v[35:36], 3, v[14:15]
	v_subrev_nc_u32_e32 v14, 18, v12
	v_add_co_u32 v33, vcc_lo, s14, v33
	v_add_co_ci_u32_e64 v34, null, s15, v34, vcc_lo
	v_lshlrev_b64 v[37:38], 3, v[14:15]
	v_add_nc_u32_e32 v14, 3, v21
	v_add_co_u32 v35, vcc_lo, s12, v35
	v_add_co_ci_u32_e64 v36, null, s13, v36, vcc_lo
	;; [unrolled: 12-line block ×3, first 2 shown]
	v_lshlrev_b64 v[45:46], 3, v[14:15]
	v_add_nc_u32_e32 v14, -6, v12
	v_add_co_u32 v43, vcc_lo, s12, v43
	v_add_co_ci_u32_e64 v44, null, s13, v44, vcc_lo
	v_lshlrev_b64 v[47:48], 3, v[14:15]
	v_add_nc_u32_e32 v14, -16, v12
	v_add_co_u32 v45, vcc_lo, s14, v45
	v_add_co_ci_u32_e64 v46, null, s15, v46, vcc_lo
	v_lshlrev_b64 v[49:50], 3, v[14:15]
	v_add_nc_u32_e32 v14, 5, v21
	v_add_co_u32 v47, vcc_lo, s12, v47
	v_add_co_ci_u32_e64 v48, null, s13, v48, vcc_lo
	v_lshlrev_b64 v[51:52], 3, v[14:15]
	v_add_nc_u32_e32 v14, -5, v12
	v_add_co_u32 v49, vcc_lo, s12, v49
	v_add_co_ci_u32_e64 v50, null, s13, v50, vcc_lo
	v_lshlrev_b64 v[53:54], 3, v[14:15]
	v_add_nc_u32_e32 v14, -15, v12
	v_add_co_u32 v51, vcc_lo, s14, v51
	v_add_co_ci_u32_e64 v52, null, s15, v52, vcc_lo
	v_lshlrev_b64 v[55:56], 3, v[14:15]
	v_add_nc_u32_e32 v14, 6, v21
	v_add_co_u32 v53, vcc_lo, s12, v53
	v_add_co_ci_u32_e64 v54, null, s13, v54, vcc_lo
	;; [unrolled: 12-line block ×3, first 2 shown]
	v_lshlrev_b64 v[13:14], 3, v[14:15]
	v_add_co_u32 v61, vcc_lo, s12, v61
	v_add_co_ci_u32_e64 v62, null, s13, v62, vcc_lo
	v_add_co_u32 v63, vcc_lo, s14, v13
	v_add_co_ci_u32_e64 v64, null, s15, v14, vcc_lo
	global_load_dwordx2 v[13:14], v[17:18], off
	global_load_dwordx2 v[65:66], v[19:20], off
	global_load_dwordx4 v[17:20], v[23:24], off
	global_load_dwordx2 v[22:23], v[27:28], off
	s_clause 0x1
	global_load_dwordx2 v[27:28], v[29:30], off
	global_load_dwordx2 v[29:30], v[31:32], off
	;; [unrolled: 1-line block ×3, first 2 shown]
	s_clause 0x1
	global_load_dwordx2 v[35:36], v[35:36], off
	global_load_dwordx2 v[37:38], v[37:38], off
	s_waitcnt vmcnt(6)
	v_fma_f64 v[7:8], v[17:18], v[65:66], v[8:9]
	v_fma_f64 v[10:11], v[13:14], v[65:66], v[10:11]
	v_add_nc_u32_e32 v14, -3, v12
	v_lshlrev_b64 v[17:18], 3, v[14:15]
	v_add_nc_u32_e32 v14, -13, v12
	v_add_co_u32 v17, vcc_lo, s12, v17
	v_add_co_ci_u32_e64 v18, null, s13, v18, vcc_lo
	s_waitcnt vmcnt(5)
	v_fma_f64 v[7:8], v[19:20], v[22:23], v[7:8]
	v_lshlrev_b64 v[19:20], 3, v[14:15]
	v_add_nc_u32_e32 v14, 8, v21
	s_waitcnt vmcnt(4)
	v_fma_f64 v[9:10], v[27:28], v[22:23], v[10:11]
	v_lshlrev_b64 v[31:32], 3, v[14:15]
	v_add_nc_u32_e32 v14, -2, v12
	v_add_co_u32 v19, vcc_lo, s12, v19
	v_add_co_ci_u32_e64 v20, null, s13, v20, vcc_lo
	v_lshlrev_b64 v[22:23], 3, v[14:15]
	v_add_nc_u32_e32 v14, -12, v12
	v_add_co_u32 v27, vcc_lo, s14, v31
	v_add_co_ci_u32_e64 v28, null, s15, v32, vcc_lo
	v_lshlrev_b64 v[13:14], 3, v[14:15]
	v_add_co_u32 v22, vcc_lo, s12, v22
	v_add_co_ci_u32_e64 v23, null, s13, v23, vcc_lo
	s_waitcnt vmcnt(2)
	v_fma_f64 v[7:8], v[29:30], v[33:34], v[7:8]
	v_add_co_u32 v31, vcc_lo, s12, v13
	v_add_co_ci_u32_e64 v32, null, s13, v14, vcc_lo
	v_add_nc_u32_e32 v14, 9, v21
	s_waitcnt vmcnt(1)
	v_fma_f64 v[9:10], v[35:36], v[33:34], v[9:10]
	v_lshlrev_b64 v[29:30], 3, v[14:15]
	v_add_nc_u32_e32 v14, -1, v12
	v_lshlrev_b64 v[33:34], 3, v[14:15]
	v_add_nc_u32_e32 v14, -11, v12
	v_add_co_u32 v29, vcc_lo, s14, v29
	v_add_co_ci_u32_e64 v30, null, s15, v30, vcc_lo
	v_lshlrev_b64 v[35:36], 3, v[14:15]
	v_add_nc_u32_e32 v14, 10, v21
	v_add_co_u32 v33, vcc_lo, s12, v33
	v_add_co_ci_u32_e64 v34, null, s13, v34, vcc_lo
	v_lshlrev_b64 v[13:14], 3, v[14:15]
	v_add_co_u32 v35, vcc_lo, s12, v35
	v_add_co_ci_u32_e64 v36, null, s13, v36, vcc_lo
	v_add_nc_u32_e32 v12, 0xb0, v12
	v_add_co_u32 v13, vcc_lo, s14, v13
	v_add_co_ci_u32_e64 v14, null, s15, v14, vcc_lo
	global_load_dwordx2 v[39:40], v[39:40], off
	s_clause 0x1
	global_load_dwordx2 v[41:42], v[41:42], off
	global_load_dwordx2 v[43:44], v[43:44], off
	global_load_dwordx2 v[45:46], v[45:46], off
	s_clause 0x1
	global_load_dwordx2 v[47:48], v[47:48], off
	global_load_dwordx2 v[49:50], v[49:50], off
	;; [unrolled: 4-line block ×7, first 2 shown]
	global_load_dwordx2 v[33:34], v[35:36], off
	global_load_dwordx2 v[13:14], v[13:14], off
	v_cmp_ge_i32_e32 vcc_lo, v6, v16
	s_or_b32 s0, vcc_lo, s0
	s_waitcnt vmcnt(22)
	v_fma_f64 v[7:8], v[37:38], v[39:40], v[7:8]
	s_waitcnt vmcnt(21)
	v_fma_f64 v[9:10], v[41:42], v[39:40], v[9:10]
	s_waitcnt vmcnt(19)
	v_fma_f64 v[7:8], v[43:44], v[45:46], v[7:8]
	s_waitcnt vmcnt(18)
	v_fma_f64 v[9:10], v[47:48], v[45:46], v[9:10]
	s_waitcnt vmcnt(16)
	v_fma_f64 v[7:8], v[49:50], v[51:52], v[7:8]
	s_waitcnt vmcnt(15)
	v_fma_f64 v[9:10], v[53:54], v[51:52], v[9:10]
	s_waitcnt vmcnt(13)
	v_fma_f64 v[7:8], v[55:56], v[57:58], v[7:8]
	s_waitcnt vmcnt(12)
	v_fma_f64 v[9:10], v[59:60], v[57:58], v[9:10]
	s_waitcnt vmcnt(10)
	v_fma_f64 v[7:8], v[61:62], v[63:64], v[7:8]
	s_waitcnt vmcnt(9)
	v_fma_f64 v[9:10], v[17:18], v[63:64], v[9:10]
	s_waitcnt vmcnt(7)
	v_fma_f64 v[7:8], v[19:20], v[27:28], v[7:8]
	s_waitcnt vmcnt(6)
	v_fma_f64 v[9:10], v[21:22], v[27:28], v[9:10]
	s_waitcnt vmcnt(4)
	v_fma_f64 v[7:8], v[23:24], v[29:30], v[7:8]
	s_waitcnt vmcnt(3)
	v_fma_f64 v[10:11], v[31:32], v[29:30], v[9:10]
	s_waitcnt vmcnt(0)
	v_fma_f64 v[8:9], v[33:34], v[13:14], v[7:8]
	v_fma_f64 v[10:11], v[25:26], v[13:14], v[10:11]
	s_andn2_b32 exec_lo, exec_lo, s0
	s_cbranch_execnz .LBB122_15
; %bb.16:
	s_or_b32 exec_lo, exec_lo, s0
.LBB122_17:
	s_or_b32 exec_lo, exec_lo, s1
.LBB122_18:
	v_mbcnt_lo_u32_b32 v14, -1, 0
	v_xor_b32_e32 v6, 4, v14
	v_cmp_gt_i32_e32 vcc_lo, 32, v6
	v_cndmask_b32_e32 v6, v14, v6, vcc_lo
	v_lshlrev_b32_e32 v13, 2, v6
	ds_bpermute_b32 v6, v13, v8
	ds_bpermute_b32 v7, v13, v9
	;; [unrolled: 1-line block ×4, first 2 shown]
	s_waitcnt lgkmcnt(2)
	v_add_f64 v[6:7], v[8:9], v[6:7]
	s_waitcnt lgkmcnt(0)
	v_add_f64 v[8:9], v[10:11], v[12:13]
	v_xor_b32_e32 v10, 2, v14
	v_cmp_gt_i32_e32 vcc_lo, 32, v10
	v_cndmask_b32_e32 v10, v14, v10, vcc_lo
	v_lshlrev_b32_e32 v13, 2, v10
	ds_bpermute_b32 v10, v13, v6
	ds_bpermute_b32 v11, v13, v7
	;; [unrolled: 1-line block ×4, first 2 shown]
	s_waitcnt lgkmcnt(2)
	v_add_f64 v[6:7], v[6:7], v[10:11]
	s_waitcnt lgkmcnt(0)
	v_add_f64 v[10:11], v[8:9], v[12:13]
	v_xor_b32_e32 v8, 1, v14
	v_cmp_gt_i32_e32 vcc_lo, 32, v8
	v_cndmask_b32_e32 v8, v14, v8, vcc_lo
	v_cmp_eq_u32_e32 vcc_lo, 7, v0
	v_lshlrev_b32_e32 v13, 2, v8
	ds_bpermute_b32 v8, v13, v6
	ds_bpermute_b32 v9, v13, v7
	;; [unrolled: 1-line block ×4, first 2 shown]
	s_and_b32 exec_lo, exec_lo, vcc_lo
	s_cbranch_execz .LBB122_23
; %bb.19:
	s_waitcnt lgkmcnt(2)
	v_add_f64 v[8:9], v[6:7], v[8:9]
	s_waitcnt lgkmcnt(0)
	v_add_f64 v[6:7], v[10:11], v[12:13]
	s_load_dwordx2 s[0:1], s[4:5], 0x38
	s_mov_b32 s2, exec_lo
	v_cmpx_eq_f64_e32 0, v[3:4]
	s_xor_b32 s2, exec_lo, s2
	s_cbranch_execz .LBB122_21
; %bb.20:
	v_lshlrev_b32_e32 v0, 1, v5
	v_mul_f64 v[3:4], v[1:2], v[8:9]
	v_mul_f64 v[5:6], v[1:2], v[6:7]
                                        ; implicit-def: $vgpr8_vgpr9
	v_ashrrev_i32_e32 v1, 31, v0
	v_lshlrev_b64 v[0:1], 3, v[0:1]
	s_waitcnt lgkmcnt(0)
	v_add_co_u32 v0, vcc_lo, s0, v0
	v_add_co_ci_u32_e64 v1, null, s1, v1, vcc_lo
	global_store_dwordx4 v[0:1], v[3:6], off
                                        ; implicit-def: $vgpr5
                                        ; implicit-def: $vgpr1_vgpr2
                                        ; implicit-def: $vgpr3_vgpr4
                                        ; implicit-def: $vgpr6_vgpr7
.LBB122_21:
	s_andn2_saveexec_b32 s2, s2
	s_cbranch_execz .LBB122_23
; %bb.22:
	v_lshlrev_b32_e32 v10, 1, v5
	v_mul_f64 v[8:9], v[1:2], v[8:9]
	v_mul_f64 v[5:6], v[1:2], v[6:7]
	v_ashrrev_i32_e32 v11, 31, v10
	v_lshlrev_b64 v[10:11], 3, v[10:11]
	s_waitcnt lgkmcnt(0)
	v_add_co_u32 v14, vcc_lo, s0, v10
	v_add_co_ci_u32_e64 v15, null, s1, v11, vcc_lo
	global_load_dwordx4 v[10:13], v[14:15], off
	s_waitcnt vmcnt(0)
	v_fma_f64 v[0:1], v[3:4], v[10:11], v[8:9]
	v_fma_f64 v[2:3], v[3:4], v[12:13], v[5:6]
	global_store_dwordx4 v[14:15], v[0:3], off
.LBB122_23:
	s_endpgm
	.section	.rodata,"a",@progbits
	.p2align	6, 0x0
	.amdhsa_kernel _ZN9rocsparseL19gebsrmvn_2xn_kernelILj128ELj11ELj8EdEEvi20rocsparse_direction_NS_24const_host_device_scalarIT2_EEPKiS6_PKS3_S8_S4_PS3_21rocsparse_index_base_b
		.amdhsa_group_segment_fixed_size 0
		.amdhsa_private_segment_fixed_size 0
		.amdhsa_kernarg_size 72
		.amdhsa_user_sgpr_count 6
		.amdhsa_user_sgpr_private_segment_buffer 1
		.amdhsa_user_sgpr_dispatch_ptr 0
		.amdhsa_user_sgpr_queue_ptr 0
		.amdhsa_user_sgpr_kernarg_segment_ptr 1
		.amdhsa_user_sgpr_dispatch_id 0
		.amdhsa_user_sgpr_flat_scratch_init 0
		.amdhsa_user_sgpr_private_segment_size 0
		.amdhsa_wavefront_size32 1
		.amdhsa_uses_dynamic_stack 0
		.amdhsa_system_sgpr_private_segment_wavefront_offset 0
		.amdhsa_system_sgpr_workgroup_id_x 1
		.amdhsa_system_sgpr_workgroup_id_y 0
		.amdhsa_system_sgpr_workgroup_id_z 0
		.amdhsa_system_sgpr_workgroup_info 0
		.amdhsa_system_vgpr_workitem_id 0
		.amdhsa_next_free_vgpr 67
		.amdhsa_next_free_sgpr 16
		.amdhsa_reserve_vcc 1
		.amdhsa_reserve_flat_scratch 0
		.amdhsa_float_round_mode_32 0
		.amdhsa_float_round_mode_16_64 0
		.amdhsa_float_denorm_mode_32 3
		.amdhsa_float_denorm_mode_16_64 3
		.amdhsa_dx10_clamp 1
		.amdhsa_ieee_mode 1
		.amdhsa_fp16_overflow 0
		.amdhsa_workgroup_processor_mode 1
		.amdhsa_memory_ordered 1
		.amdhsa_forward_progress 1
		.amdhsa_shared_vgpr_count 0
		.amdhsa_exception_fp_ieee_invalid_op 0
		.amdhsa_exception_fp_denorm_src 0
		.amdhsa_exception_fp_ieee_div_zero 0
		.amdhsa_exception_fp_ieee_overflow 0
		.amdhsa_exception_fp_ieee_underflow 0
		.amdhsa_exception_fp_ieee_inexact 0
		.amdhsa_exception_int_div_zero 0
	.end_amdhsa_kernel
	.section	.text._ZN9rocsparseL19gebsrmvn_2xn_kernelILj128ELj11ELj8EdEEvi20rocsparse_direction_NS_24const_host_device_scalarIT2_EEPKiS6_PKS3_S8_S4_PS3_21rocsparse_index_base_b,"axG",@progbits,_ZN9rocsparseL19gebsrmvn_2xn_kernelILj128ELj11ELj8EdEEvi20rocsparse_direction_NS_24const_host_device_scalarIT2_EEPKiS6_PKS3_S8_S4_PS3_21rocsparse_index_base_b,comdat
.Lfunc_end122:
	.size	_ZN9rocsparseL19gebsrmvn_2xn_kernelILj128ELj11ELj8EdEEvi20rocsparse_direction_NS_24const_host_device_scalarIT2_EEPKiS6_PKS3_S8_S4_PS3_21rocsparse_index_base_b, .Lfunc_end122-_ZN9rocsparseL19gebsrmvn_2xn_kernelILj128ELj11ELj8EdEEvi20rocsparse_direction_NS_24const_host_device_scalarIT2_EEPKiS6_PKS3_S8_S4_PS3_21rocsparse_index_base_b
                                        ; -- End function
	.set _ZN9rocsparseL19gebsrmvn_2xn_kernelILj128ELj11ELj8EdEEvi20rocsparse_direction_NS_24const_host_device_scalarIT2_EEPKiS6_PKS3_S8_S4_PS3_21rocsparse_index_base_b.num_vgpr, 67
	.set _ZN9rocsparseL19gebsrmvn_2xn_kernelILj128ELj11ELj8EdEEvi20rocsparse_direction_NS_24const_host_device_scalarIT2_EEPKiS6_PKS3_S8_S4_PS3_21rocsparse_index_base_b.num_agpr, 0
	.set _ZN9rocsparseL19gebsrmvn_2xn_kernelILj128ELj11ELj8EdEEvi20rocsparse_direction_NS_24const_host_device_scalarIT2_EEPKiS6_PKS3_S8_S4_PS3_21rocsparse_index_base_b.numbered_sgpr, 16
	.set _ZN9rocsparseL19gebsrmvn_2xn_kernelILj128ELj11ELj8EdEEvi20rocsparse_direction_NS_24const_host_device_scalarIT2_EEPKiS6_PKS3_S8_S4_PS3_21rocsparse_index_base_b.num_named_barrier, 0
	.set _ZN9rocsparseL19gebsrmvn_2xn_kernelILj128ELj11ELj8EdEEvi20rocsparse_direction_NS_24const_host_device_scalarIT2_EEPKiS6_PKS3_S8_S4_PS3_21rocsparse_index_base_b.private_seg_size, 0
	.set _ZN9rocsparseL19gebsrmvn_2xn_kernelILj128ELj11ELj8EdEEvi20rocsparse_direction_NS_24const_host_device_scalarIT2_EEPKiS6_PKS3_S8_S4_PS3_21rocsparse_index_base_b.uses_vcc, 1
	.set _ZN9rocsparseL19gebsrmvn_2xn_kernelILj128ELj11ELj8EdEEvi20rocsparse_direction_NS_24const_host_device_scalarIT2_EEPKiS6_PKS3_S8_S4_PS3_21rocsparse_index_base_b.uses_flat_scratch, 0
	.set _ZN9rocsparseL19gebsrmvn_2xn_kernelILj128ELj11ELj8EdEEvi20rocsparse_direction_NS_24const_host_device_scalarIT2_EEPKiS6_PKS3_S8_S4_PS3_21rocsparse_index_base_b.has_dyn_sized_stack, 0
	.set _ZN9rocsparseL19gebsrmvn_2xn_kernelILj128ELj11ELj8EdEEvi20rocsparse_direction_NS_24const_host_device_scalarIT2_EEPKiS6_PKS3_S8_S4_PS3_21rocsparse_index_base_b.has_recursion, 0
	.set _ZN9rocsparseL19gebsrmvn_2xn_kernelILj128ELj11ELj8EdEEvi20rocsparse_direction_NS_24const_host_device_scalarIT2_EEPKiS6_PKS3_S8_S4_PS3_21rocsparse_index_base_b.has_indirect_call, 0
	.section	.AMDGPU.csdata,"",@progbits
; Kernel info:
; codeLenInByte = 3440
; TotalNumSgprs: 18
; NumVgprs: 67
; ScratchSize: 0
; MemoryBound: 0
; FloatMode: 240
; IeeeMode: 1
; LDSByteSize: 0 bytes/workgroup (compile time only)
; SGPRBlocks: 0
; VGPRBlocks: 8
; NumSGPRsForWavesPerEU: 18
; NumVGPRsForWavesPerEU: 67
; Occupancy: 12
; WaveLimiterHint : 1
; COMPUTE_PGM_RSRC2:SCRATCH_EN: 0
; COMPUTE_PGM_RSRC2:USER_SGPR: 6
; COMPUTE_PGM_RSRC2:TRAP_HANDLER: 0
; COMPUTE_PGM_RSRC2:TGID_X_EN: 1
; COMPUTE_PGM_RSRC2:TGID_Y_EN: 0
; COMPUTE_PGM_RSRC2:TGID_Z_EN: 0
; COMPUTE_PGM_RSRC2:TIDIG_COMP_CNT: 0
	.section	.text._ZN9rocsparseL19gebsrmvn_2xn_kernelILj128ELj11ELj16EdEEvi20rocsparse_direction_NS_24const_host_device_scalarIT2_EEPKiS6_PKS3_S8_S4_PS3_21rocsparse_index_base_b,"axG",@progbits,_ZN9rocsparseL19gebsrmvn_2xn_kernelILj128ELj11ELj16EdEEvi20rocsparse_direction_NS_24const_host_device_scalarIT2_EEPKiS6_PKS3_S8_S4_PS3_21rocsparse_index_base_b,comdat
	.globl	_ZN9rocsparseL19gebsrmvn_2xn_kernelILj128ELj11ELj16EdEEvi20rocsparse_direction_NS_24const_host_device_scalarIT2_EEPKiS6_PKS3_S8_S4_PS3_21rocsparse_index_base_b ; -- Begin function _ZN9rocsparseL19gebsrmvn_2xn_kernelILj128ELj11ELj16EdEEvi20rocsparse_direction_NS_24const_host_device_scalarIT2_EEPKiS6_PKS3_S8_S4_PS3_21rocsparse_index_base_b
	.p2align	8
	.type	_ZN9rocsparseL19gebsrmvn_2xn_kernelILj128ELj11ELj16EdEEvi20rocsparse_direction_NS_24const_host_device_scalarIT2_EEPKiS6_PKS3_S8_S4_PS3_21rocsparse_index_base_b,@function
_ZN9rocsparseL19gebsrmvn_2xn_kernelILj128ELj11ELj16EdEEvi20rocsparse_direction_NS_24const_host_device_scalarIT2_EEPKiS6_PKS3_S8_S4_PS3_21rocsparse_index_base_b: ; @_ZN9rocsparseL19gebsrmvn_2xn_kernelILj128ELj11ELj16EdEEvi20rocsparse_direction_NS_24const_host_device_scalarIT2_EEPKiS6_PKS3_S8_S4_PS3_21rocsparse_index_base_b
; %bb.0:
	s_clause 0x2
	s_load_dwordx2 s[2:3], s[4:5], 0x40
	s_load_dwordx2 s[8:9], s[4:5], 0x8
	;; [unrolled: 1-line block ×3, first 2 shown]
	s_waitcnt lgkmcnt(0)
	s_bitcmp1_b32 s3, 0
	v_mov_b32_e32 v1, s8
	v_mov_b32_e32 v2, s9
	s_cselect_b32 s3, -1, 0
	s_and_b32 vcc_lo, exec_lo, s3
	s_xor_b32 s3, s3, -1
	s_cbranch_vccnz .LBB123_2
; %bb.1:
	v_mov_b32_e32 v1, s8
	v_mov_b32_e32 v2, s9
	flat_load_dwordx2 v[1:2], v[1:2]
.LBB123_2:
	v_mov_b32_e32 v4, s1
	v_mov_b32_e32 v3, s0
	s_andn2_b32 vcc_lo, exec_lo, s3
	s_cbranch_vccnz .LBB123_4
; %bb.3:
	v_mov_b32_e32 v4, s1
	v_mov_b32_e32 v3, s0
	flat_load_dwordx2 v[3:4], v[3:4]
.LBB123_4:
	s_waitcnt vmcnt(0) lgkmcnt(0)
	v_cmp_neq_f64_e32 vcc_lo, 0, v[1:2]
	v_cmp_neq_f64_e64 s0, 1.0, v[3:4]
	s_or_b32 s0, vcc_lo, s0
	s_and_saveexec_b32 s1, s0
	s_cbranch_execz .LBB123_23
; %bb.5:
	s_load_dwordx2 s[0:1], s[4:5], 0x0
	v_lshrrev_b32_e32 v5, 4, v0
	v_lshl_or_b32 v5, s6, 3, v5
	s_waitcnt lgkmcnt(0)
	v_cmp_gt_i32_e32 vcc_lo, s0, v5
	s_and_b32 exec_lo, exec_lo, vcc_lo
	s_cbranch_execz .LBB123_23
; %bb.6:
	s_load_dwordx8 s[8:15], s[4:5], 0x10
	v_ashrrev_i32_e32 v6, 31, v5
	v_and_b32_e32 v0, 15, v0
	s_cmp_lg_u32 s1, 0
	v_lshlrev_b64 v[6:7], 2, v[5:6]
	s_waitcnt lgkmcnt(0)
	v_add_co_u32 v6, vcc_lo, s8, v6
	v_add_co_ci_u32_e64 v7, null, s9, v7, vcc_lo
	global_load_dwordx2 v[6:7], v[6:7], off
	s_waitcnt vmcnt(0)
	v_subrev_nc_u32_e32 v6, s2, v6
	v_subrev_nc_u32_e32 v16, s2, v7
	v_add_nc_u32_e32 v6, v6, v0
	v_cmp_lt_i32_e64 s0, v6, v16
	s_cbranch_scc0 .LBB123_12
; %bb.7:
	v_mov_b32_e32 v8, 0
	v_mov_b32_e32 v10, 0
	;; [unrolled: 1-line block ×4, first 2 shown]
	s_and_saveexec_b32 s1, s0
	s_cbranch_execz .LBB123_11
; %bb.8:
	v_mad_u64_u32 v[7:8], null, v6, 22, 20
	v_mov_b32_e32 v8, 0
	v_mov_b32_e32 v10, 0
	;; [unrolled: 1-line block ×6, first 2 shown]
	s_mov_b32 s3, 0
.LBB123_9:                              ; =>This Inner Loop Header: Depth=1
	v_ashrrev_i32_e32 v15, 31, v14
	v_subrev_nc_u32_e32 v12, 20, v7
	v_mov_b32_e32 v46, v13
	v_lshlrev_b64 v[17:18], 2, v[14:15]
	v_add_nc_u32_e32 v14, 16, v14
	v_add_co_u32 v17, vcc_lo, s10, v17
	v_add_co_ci_u32_e64 v18, null, s11, v18, vcc_lo
	global_load_dword v15, v[17:18], off
	v_lshlrev_b64 v[17:18], 3, v[12:13]
	v_subrev_nc_u32_e32 v12, 18, v7
	v_lshlrev_b64 v[19:20], 3, v[12:13]
	v_add_co_u32 v17, vcc_lo, s12, v17
	v_add_co_ci_u32_e64 v18, null, s13, v18, vcc_lo
	v_add_co_u32 v21, vcc_lo, s12, v19
	v_add_co_ci_u32_e64 v22, null, s13, v20, vcc_lo
	s_clause 0x1
	global_load_dwordx4 v[17:20], v[17:18], off
	global_load_dwordx4 v[21:24], v[21:22], off
	s_waitcnt vmcnt(2)
	v_subrev_nc_u32_e32 v12, s2, v15
	v_mul_lo_u32 v45, v12, 11
	v_lshlrev_b64 v[25:26], 3, v[45:46]
	v_add_nc_u32_e32 v12, 1, v45
	v_lshlrev_b64 v[27:28], 3, v[12:13]
	v_add_co_u32 v25, vcc_lo, s14, v25
	v_add_co_ci_u32_e64 v26, null, s15, v26, vcc_lo
	v_add_nc_u32_e32 v12, -16, v7
	global_load_dwordx2 v[46:47], v[25:26], off
	v_add_co_u32 v25, vcc_lo, s14, v27
	v_add_co_ci_u32_e64 v26, null, s15, v28, vcc_lo
	v_lshlrev_b64 v[29:30], 3, v[12:13]
	v_add_nc_u32_e32 v12, 2, v45
	global_load_dwordx2 v[48:49], v[25:26], off
	v_lshlrev_b64 v[27:28], 3, v[12:13]
	v_add_co_u32 v25, vcc_lo, s12, v29
	v_add_co_ci_u32_e64 v26, null, s13, v30, vcc_lo
	v_add_nc_u32_e32 v12, -14, v7
	v_add_co_u32 v31, vcc_lo, s14, v27
	v_add_co_ci_u32_e64 v32, null, s15, v28, vcc_lo
	global_load_dwordx4 v[25:28], v[25:26], off
	global_load_dwordx2 v[50:51], v[31:32], off
	v_lshlrev_b64 v[29:30], 3, v[12:13]
	v_add_nc_u32_e32 v12, 3, v45
	v_lshlrev_b64 v[31:32], 3, v[12:13]
	v_add_co_u32 v29, vcc_lo, s12, v29
	v_add_co_ci_u32_e64 v30, null, s13, v30, vcc_lo
	v_add_nc_u32_e32 v12, -12, v7
	v_add_co_u32 v33, vcc_lo, s14, v31
	v_add_co_ci_u32_e64 v34, null, s15, v32, vcc_lo
	global_load_dwordx4 v[29:32], v[29:30], off
	global_load_dwordx2 v[52:53], v[33:34], off
	v_lshlrev_b64 v[35:36], 3, v[12:13]
	v_add_nc_u32_e32 v12, 4, v45
	;; [unrolled: 10-line block ×5, first 2 shown]
	v_add_co_u32 v58, vcc_lo, s12, v58
	v_lshlrev_b64 v[62:63], 3, v[12:13]
	v_add_co_ci_u32_e64 v59, null, s13, v59, vcc_lo
	v_add_nc_u32_e32 v12, -4, v7
	s_waitcnt vmcnt(11)
	v_fma_f64 v[8:9], v[17:18], v[46:47], v[8:9]
	v_fma_f64 v[10:11], v[19:20], v[46:47], v[10:11]
	global_load_dwordx4 v[17:20], v[58:59], off
	v_add_co_u32 v58, vcc_lo, s14, v62
	v_add_co_ci_u32_e64 v59, null, s15, v63, vcc_lo
	v_lshlrev_b64 v[46:47], 3, v[12:13]
	v_add_nc_u32_e32 v12, 8, v45
	global_load_dwordx2 v[58:59], v[58:59], off
	v_lshlrev_b64 v[62:63], 3, v[12:13]
	v_add_nc_u32_e32 v12, -2, v7
	v_add_co_u32 v46, vcc_lo, s12, v46
	v_add_co_ci_u32_e64 v47, null, s13, v47, vcc_lo
	s_waitcnt vmcnt(12)
	v_fma_f64 v[64:65], v[21:22], v[48:49], v[8:9]
	v_lshlrev_b64 v[21:22], 3, v[12:13]
	v_fma_f64 v[9:10], v[23:24], v[48:49], v[10:11]
	v_add_co_u32 v48, vcc_lo, s14, v62
	v_add_co_ci_u32_e64 v49, null, s15, v63, vcc_lo
	v_add_co_u32 v62, vcc_lo, s12, v21
	v_add_co_ci_u32_e64 v63, null, s13, v22, vcc_lo
	global_load_dwordx4 v[21:24], v[46:47], off
	global_load_dwordx2 v[46:47], v[48:49], off
	v_add_nc_u32_e32 v12, 9, v45
	v_mov_b32_e32 v8, v13
	v_lshlrev_b64 v[11:12], 3, v[12:13]
	s_waitcnt vmcnt(12)
	v_fma_f64 v[48:49], v[25:26], v[50:51], v[64:65]
	v_add_co_u32 v11, vcc_lo, s14, v11
	v_add_co_ci_u32_e64 v12, null, s15, v12, vcc_lo
	v_fma_f64 v[50:51], v[27:28], v[50:51], v[9:10]
	global_load_dwordx4 v[25:28], v[62:63], off
	global_load_dwordx2 v[62:63], v[11:12], off
	v_add_nc_u32_e32 v12, 10, v45
	v_lshlrev_b64 v[8:9], 3, v[7:8]
	v_add_nc_u32_e32 v7, 0x160, v7
	v_lshlrev_b64 v[10:11], 3, v[12:13]
	v_add_co_u32 v8, vcc_lo, s12, v8
	v_add_co_ci_u32_e64 v9, null, s13, v9, vcc_lo
	v_add_co_u32 v64, vcc_lo, s14, v10
	v_add_co_ci_u32_e64 v65, null, s15, v11, vcc_lo
	global_load_dwordx4 v[8:11], v[8:9], off
	global_load_dwordx2 v[64:65], v[64:65], off
	s_waitcnt vmcnt(14)
	v_fma_f64 v[29:30], v[29:30], v[52:53], v[48:49]
	v_fma_f64 v[31:32], v[31:32], v[52:53], v[50:51]
	v_cmp_ge_i32_e32 vcc_lo, v14, v16
	s_or_b32 s3, vcc_lo, s3
	s_waitcnt vmcnt(12)
	v_fma_f64 v[29:30], v[33:34], v[54:55], v[29:30]
	v_fma_f64 v[31:32], v[35:36], v[54:55], v[31:32]
	s_waitcnt vmcnt(10)
	v_fma_f64 v[29:30], v[37:38], v[56:57], v[29:30]
	v_fma_f64 v[31:32], v[39:40], v[56:57], v[31:32]
	;; [unrolled: 3-line block ×7, first 2 shown]
	s_andn2_b32 exec_lo, exec_lo, s3
	s_cbranch_execnz .LBB123_9
; %bb.10:
	s_or_b32 exec_lo, exec_lo, s3
.LBB123_11:
	s_or_b32 exec_lo, exec_lo, s1
	s_cbranch_execz .LBB123_13
	s_branch .LBB123_18
.LBB123_12:
                                        ; implicit-def: $vgpr8_vgpr9
                                        ; implicit-def: $vgpr10_vgpr11
.LBB123_13:
	v_mov_b32_e32 v8, 0
	v_mov_b32_e32 v10, 0
	;; [unrolled: 1-line block ×4, first 2 shown]
	s_and_saveexec_b32 s1, s0
	s_cbranch_execz .LBB123_17
; %bb.14:
	v_mad_u64_u32 v[12:13], null, v6, 22, 21
	v_mov_b32_e32 v8, 0
	v_mov_b32_e32 v10, 0
	;; [unrolled: 1-line block ×5, first 2 shown]
	s_mov_b32 s0, 0
.LBB123_15:                             ; =>This Inner Loop Header: Depth=1
	v_ashrrev_i32_e32 v7, 31, v6
	v_subrev_nc_u32_e32 v14, 21, v12
	v_add_nc_u32_e32 v17, -10, v12
	v_mov_b32_e32 v18, v15
	v_mov_b32_e32 v13, v15
	v_lshlrev_b64 v[19:20], 2, v[6:7]
	v_lshlrev_b64 v[23:24], 3, v[14:15]
	v_mov_b32_e32 v22, v15
	v_lshlrev_b64 v[17:18], 3, v[17:18]
	v_lshlrev_b64 v[13:14], 3, v[12:13]
	v_add_nc_u32_e32 v6, 16, v6
	v_add_co_u32 v19, vcc_lo, s10, v19
	v_add_co_ci_u32_e64 v20, null, s11, v20, vcc_lo
	v_add_co_u32 v23, vcc_lo, s12, v23
	v_add_co_ci_u32_e64 v24, null, s13, v24, vcc_lo
	global_load_dword v7, v[19:20], off
	v_add_co_u32 v17, vcc_lo, s12, v17
	v_add_co_ci_u32_e64 v18, null, s13, v18, vcc_lo
	v_add_co_u32 v25, vcc_lo, s12, v13
	v_add_co_ci_u32_e64 v26, null, s13, v14, vcc_lo
	s_waitcnt vmcnt(0)
	v_subrev_nc_u32_e32 v7, s2, v7
	v_mul_lo_u32 v21, v7, 11
	v_add_nc_u32_e32 v14, 1, v21
	v_lshlrev_b64 v[19:20], 3, v[21:22]
	v_lshlrev_b64 v[27:28], 3, v[14:15]
	v_add_nc_u32_e32 v14, -9, v12
	v_add_co_u32 v19, vcc_lo, s14, v19
	v_add_co_ci_u32_e64 v20, null, s15, v20, vcc_lo
	v_lshlrev_b64 v[29:30], 3, v[14:15]
	v_subrev_nc_u32_e32 v14, 19, v12
	v_add_co_u32 v27, vcc_lo, s14, v27
	v_add_co_ci_u32_e64 v28, null, s15, v28, vcc_lo
	v_lshlrev_b64 v[31:32], 3, v[14:15]
	v_add_nc_u32_e32 v14, 2, v21
	v_add_co_u32 v29, vcc_lo, s12, v29
	v_add_co_ci_u32_e64 v30, null, s13, v30, vcc_lo
	v_lshlrev_b64 v[33:34], 3, v[14:15]
	v_add_nc_u32_e32 v14, -8, v12
	v_add_co_u32 v31, vcc_lo, s12, v31
	v_add_co_ci_u32_e64 v32, null, s13, v32, vcc_lo
	v_lshlrev_b64 v[35:36], 3, v[14:15]
	v_subrev_nc_u32_e32 v14, 18, v12
	v_add_co_u32 v33, vcc_lo, s14, v33
	v_add_co_ci_u32_e64 v34, null, s15, v34, vcc_lo
	v_lshlrev_b64 v[37:38], 3, v[14:15]
	v_add_nc_u32_e32 v14, 3, v21
	v_add_co_u32 v35, vcc_lo, s12, v35
	v_add_co_ci_u32_e64 v36, null, s13, v36, vcc_lo
	;; [unrolled: 12-line block ×3, first 2 shown]
	v_lshlrev_b64 v[45:46], 3, v[14:15]
	v_add_nc_u32_e32 v14, -6, v12
	v_add_co_u32 v43, vcc_lo, s12, v43
	v_add_co_ci_u32_e64 v44, null, s13, v44, vcc_lo
	v_lshlrev_b64 v[47:48], 3, v[14:15]
	v_add_nc_u32_e32 v14, -16, v12
	v_add_co_u32 v45, vcc_lo, s14, v45
	v_add_co_ci_u32_e64 v46, null, s15, v46, vcc_lo
	v_lshlrev_b64 v[49:50], 3, v[14:15]
	v_add_nc_u32_e32 v14, 5, v21
	v_add_co_u32 v47, vcc_lo, s12, v47
	v_add_co_ci_u32_e64 v48, null, s13, v48, vcc_lo
	v_lshlrev_b64 v[51:52], 3, v[14:15]
	v_add_nc_u32_e32 v14, -5, v12
	v_add_co_u32 v49, vcc_lo, s12, v49
	v_add_co_ci_u32_e64 v50, null, s13, v50, vcc_lo
	v_lshlrev_b64 v[53:54], 3, v[14:15]
	v_add_nc_u32_e32 v14, -15, v12
	v_add_co_u32 v51, vcc_lo, s14, v51
	v_add_co_ci_u32_e64 v52, null, s15, v52, vcc_lo
	v_lshlrev_b64 v[55:56], 3, v[14:15]
	v_add_nc_u32_e32 v14, 6, v21
	v_add_co_u32 v53, vcc_lo, s12, v53
	v_add_co_ci_u32_e64 v54, null, s13, v54, vcc_lo
	;; [unrolled: 12-line block ×3, first 2 shown]
	v_lshlrev_b64 v[13:14], 3, v[14:15]
	v_add_co_u32 v61, vcc_lo, s12, v61
	v_add_co_ci_u32_e64 v62, null, s13, v62, vcc_lo
	v_add_co_u32 v63, vcc_lo, s14, v13
	v_add_co_ci_u32_e64 v64, null, s15, v14, vcc_lo
	global_load_dwordx2 v[13:14], v[17:18], off
	global_load_dwordx2 v[65:66], v[19:20], off
	global_load_dwordx4 v[17:20], v[23:24], off
	global_load_dwordx2 v[22:23], v[27:28], off
	s_clause 0x1
	global_load_dwordx2 v[27:28], v[29:30], off
	global_load_dwordx2 v[29:30], v[31:32], off
	;; [unrolled: 1-line block ×3, first 2 shown]
	s_clause 0x1
	global_load_dwordx2 v[35:36], v[35:36], off
	global_load_dwordx2 v[37:38], v[37:38], off
	s_waitcnt vmcnt(6)
	v_fma_f64 v[7:8], v[17:18], v[65:66], v[8:9]
	v_fma_f64 v[10:11], v[13:14], v[65:66], v[10:11]
	v_add_nc_u32_e32 v14, -3, v12
	v_lshlrev_b64 v[17:18], 3, v[14:15]
	v_add_nc_u32_e32 v14, -13, v12
	v_add_co_u32 v17, vcc_lo, s12, v17
	v_add_co_ci_u32_e64 v18, null, s13, v18, vcc_lo
	s_waitcnt vmcnt(5)
	v_fma_f64 v[7:8], v[19:20], v[22:23], v[7:8]
	v_lshlrev_b64 v[19:20], 3, v[14:15]
	v_add_nc_u32_e32 v14, 8, v21
	s_waitcnt vmcnt(4)
	v_fma_f64 v[9:10], v[27:28], v[22:23], v[10:11]
	v_lshlrev_b64 v[31:32], 3, v[14:15]
	v_add_nc_u32_e32 v14, -2, v12
	v_add_co_u32 v19, vcc_lo, s12, v19
	v_add_co_ci_u32_e64 v20, null, s13, v20, vcc_lo
	v_lshlrev_b64 v[22:23], 3, v[14:15]
	v_add_nc_u32_e32 v14, -12, v12
	v_add_co_u32 v27, vcc_lo, s14, v31
	v_add_co_ci_u32_e64 v28, null, s15, v32, vcc_lo
	v_lshlrev_b64 v[13:14], 3, v[14:15]
	v_add_co_u32 v22, vcc_lo, s12, v22
	v_add_co_ci_u32_e64 v23, null, s13, v23, vcc_lo
	s_waitcnt vmcnt(2)
	v_fma_f64 v[7:8], v[29:30], v[33:34], v[7:8]
	v_add_co_u32 v31, vcc_lo, s12, v13
	v_add_co_ci_u32_e64 v32, null, s13, v14, vcc_lo
	v_add_nc_u32_e32 v14, 9, v21
	s_waitcnt vmcnt(1)
	v_fma_f64 v[9:10], v[35:36], v[33:34], v[9:10]
	v_lshlrev_b64 v[29:30], 3, v[14:15]
	v_add_nc_u32_e32 v14, -1, v12
	v_lshlrev_b64 v[33:34], 3, v[14:15]
	v_add_nc_u32_e32 v14, -11, v12
	v_add_co_u32 v29, vcc_lo, s14, v29
	v_add_co_ci_u32_e64 v30, null, s15, v30, vcc_lo
	v_lshlrev_b64 v[35:36], 3, v[14:15]
	v_add_nc_u32_e32 v14, 10, v21
	v_add_co_u32 v33, vcc_lo, s12, v33
	v_add_co_ci_u32_e64 v34, null, s13, v34, vcc_lo
	v_lshlrev_b64 v[13:14], 3, v[14:15]
	v_add_co_u32 v35, vcc_lo, s12, v35
	v_add_co_ci_u32_e64 v36, null, s13, v36, vcc_lo
	v_add_nc_u32_e32 v12, 0x160, v12
	v_add_co_u32 v13, vcc_lo, s14, v13
	v_add_co_ci_u32_e64 v14, null, s15, v14, vcc_lo
	global_load_dwordx2 v[39:40], v[39:40], off
	s_clause 0x1
	global_load_dwordx2 v[41:42], v[41:42], off
	global_load_dwordx2 v[43:44], v[43:44], off
	global_load_dwordx2 v[45:46], v[45:46], off
	s_clause 0x1
	global_load_dwordx2 v[47:48], v[47:48], off
	global_load_dwordx2 v[49:50], v[49:50], off
	;; [unrolled: 4-line block ×7, first 2 shown]
	global_load_dwordx2 v[33:34], v[35:36], off
	global_load_dwordx2 v[13:14], v[13:14], off
	v_cmp_ge_i32_e32 vcc_lo, v6, v16
	s_or_b32 s0, vcc_lo, s0
	s_waitcnt vmcnt(22)
	v_fma_f64 v[7:8], v[37:38], v[39:40], v[7:8]
	s_waitcnt vmcnt(21)
	v_fma_f64 v[9:10], v[41:42], v[39:40], v[9:10]
	;; [unrolled: 2-line block ×15, first 2 shown]
	v_fma_f64 v[10:11], v[25:26], v[13:14], v[10:11]
	s_andn2_b32 exec_lo, exec_lo, s0
	s_cbranch_execnz .LBB123_15
; %bb.16:
	s_or_b32 exec_lo, exec_lo, s0
.LBB123_17:
	s_or_b32 exec_lo, exec_lo, s1
.LBB123_18:
	v_mbcnt_lo_u32_b32 v14, -1, 0
	v_xor_b32_e32 v6, 8, v14
	v_cmp_gt_i32_e32 vcc_lo, 32, v6
	v_cndmask_b32_e32 v6, v14, v6, vcc_lo
	v_lshlrev_b32_e32 v13, 2, v6
	ds_bpermute_b32 v6, v13, v8
	ds_bpermute_b32 v7, v13, v9
	;; [unrolled: 1-line block ×4, first 2 shown]
	s_waitcnt lgkmcnt(2)
	v_add_f64 v[6:7], v[8:9], v[6:7]
	s_waitcnt lgkmcnt(0)
	v_add_f64 v[8:9], v[10:11], v[12:13]
	v_xor_b32_e32 v10, 4, v14
	v_cmp_gt_i32_e32 vcc_lo, 32, v10
	v_cndmask_b32_e32 v10, v14, v10, vcc_lo
	v_lshlrev_b32_e32 v13, 2, v10
	ds_bpermute_b32 v10, v13, v6
	ds_bpermute_b32 v11, v13, v7
	;; [unrolled: 1-line block ×4, first 2 shown]
	s_waitcnt lgkmcnt(2)
	v_add_f64 v[6:7], v[6:7], v[10:11]
	v_xor_b32_e32 v10, 2, v14
	s_waitcnt lgkmcnt(0)
	v_add_f64 v[8:9], v[8:9], v[12:13]
	v_cmp_gt_i32_e32 vcc_lo, 32, v10
	v_cndmask_b32_e32 v10, v14, v10, vcc_lo
	v_lshlrev_b32_e32 v13, 2, v10
	ds_bpermute_b32 v10, v13, v6
	ds_bpermute_b32 v11, v13, v7
	;; [unrolled: 1-line block ×4, first 2 shown]
	s_waitcnt lgkmcnt(2)
	v_add_f64 v[6:7], v[6:7], v[10:11]
	s_waitcnt lgkmcnt(0)
	v_add_f64 v[10:11], v[8:9], v[12:13]
	v_xor_b32_e32 v8, 1, v14
	v_cmp_gt_i32_e32 vcc_lo, 32, v8
	v_cndmask_b32_e32 v8, v14, v8, vcc_lo
	v_cmp_eq_u32_e32 vcc_lo, 15, v0
	v_lshlrev_b32_e32 v13, 2, v8
	ds_bpermute_b32 v8, v13, v6
	ds_bpermute_b32 v9, v13, v7
	;; [unrolled: 1-line block ×4, first 2 shown]
	s_and_b32 exec_lo, exec_lo, vcc_lo
	s_cbranch_execz .LBB123_23
; %bb.19:
	s_waitcnt lgkmcnt(2)
	v_add_f64 v[8:9], v[6:7], v[8:9]
	s_waitcnt lgkmcnt(0)
	v_add_f64 v[6:7], v[10:11], v[12:13]
	s_load_dwordx2 s[0:1], s[4:5], 0x38
	s_mov_b32 s2, exec_lo
	v_cmpx_eq_f64_e32 0, v[3:4]
	s_xor_b32 s2, exec_lo, s2
	s_cbranch_execz .LBB123_21
; %bb.20:
	v_lshlrev_b32_e32 v0, 1, v5
	v_mul_f64 v[3:4], v[1:2], v[8:9]
	v_mul_f64 v[5:6], v[1:2], v[6:7]
                                        ; implicit-def: $vgpr8_vgpr9
	v_ashrrev_i32_e32 v1, 31, v0
	v_lshlrev_b64 v[0:1], 3, v[0:1]
	s_waitcnt lgkmcnt(0)
	v_add_co_u32 v0, vcc_lo, s0, v0
	v_add_co_ci_u32_e64 v1, null, s1, v1, vcc_lo
	global_store_dwordx4 v[0:1], v[3:6], off
                                        ; implicit-def: $vgpr5
                                        ; implicit-def: $vgpr1_vgpr2
                                        ; implicit-def: $vgpr3_vgpr4
                                        ; implicit-def: $vgpr6_vgpr7
.LBB123_21:
	s_andn2_saveexec_b32 s2, s2
	s_cbranch_execz .LBB123_23
; %bb.22:
	v_lshlrev_b32_e32 v10, 1, v5
	v_mul_f64 v[8:9], v[1:2], v[8:9]
	v_mul_f64 v[5:6], v[1:2], v[6:7]
	v_ashrrev_i32_e32 v11, 31, v10
	v_lshlrev_b64 v[10:11], 3, v[10:11]
	s_waitcnt lgkmcnt(0)
	v_add_co_u32 v14, vcc_lo, s0, v10
	v_add_co_ci_u32_e64 v15, null, s1, v11, vcc_lo
	global_load_dwordx4 v[10:13], v[14:15], off
	s_waitcnt vmcnt(0)
	v_fma_f64 v[0:1], v[3:4], v[10:11], v[8:9]
	v_fma_f64 v[2:3], v[3:4], v[12:13], v[5:6]
	global_store_dwordx4 v[14:15], v[0:3], off
.LBB123_23:
	s_endpgm
	.section	.rodata,"a",@progbits
	.p2align	6, 0x0
	.amdhsa_kernel _ZN9rocsparseL19gebsrmvn_2xn_kernelILj128ELj11ELj16EdEEvi20rocsparse_direction_NS_24const_host_device_scalarIT2_EEPKiS6_PKS3_S8_S4_PS3_21rocsparse_index_base_b
		.amdhsa_group_segment_fixed_size 0
		.amdhsa_private_segment_fixed_size 0
		.amdhsa_kernarg_size 72
		.amdhsa_user_sgpr_count 6
		.amdhsa_user_sgpr_private_segment_buffer 1
		.amdhsa_user_sgpr_dispatch_ptr 0
		.amdhsa_user_sgpr_queue_ptr 0
		.amdhsa_user_sgpr_kernarg_segment_ptr 1
		.amdhsa_user_sgpr_dispatch_id 0
		.amdhsa_user_sgpr_flat_scratch_init 0
		.amdhsa_user_sgpr_private_segment_size 0
		.amdhsa_wavefront_size32 1
		.amdhsa_uses_dynamic_stack 0
		.amdhsa_system_sgpr_private_segment_wavefront_offset 0
		.amdhsa_system_sgpr_workgroup_id_x 1
		.amdhsa_system_sgpr_workgroup_id_y 0
		.amdhsa_system_sgpr_workgroup_id_z 0
		.amdhsa_system_sgpr_workgroup_info 0
		.amdhsa_system_vgpr_workitem_id 0
		.amdhsa_next_free_vgpr 67
		.amdhsa_next_free_sgpr 16
		.amdhsa_reserve_vcc 1
		.amdhsa_reserve_flat_scratch 0
		.amdhsa_float_round_mode_32 0
		.amdhsa_float_round_mode_16_64 0
		.amdhsa_float_denorm_mode_32 3
		.amdhsa_float_denorm_mode_16_64 3
		.amdhsa_dx10_clamp 1
		.amdhsa_ieee_mode 1
		.amdhsa_fp16_overflow 0
		.amdhsa_workgroup_processor_mode 1
		.amdhsa_memory_ordered 1
		.amdhsa_forward_progress 1
		.amdhsa_shared_vgpr_count 0
		.amdhsa_exception_fp_ieee_invalid_op 0
		.amdhsa_exception_fp_denorm_src 0
		.amdhsa_exception_fp_ieee_div_zero 0
		.amdhsa_exception_fp_ieee_overflow 0
		.amdhsa_exception_fp_ieee_underflow 0
		.amdhsa_exception_fp_ieee_inexact 0
		.amdhsa_exception_int_div_zero 0
	.end_amdhsa_kernel
	.section	.text._ZN9rocsparseL19gebsrmvn_2xn_kernelILj128ELj11ELj16EdEEvi20rocsparse_direction_NS_24const_host_device_scalarIT2_EEPKiS6_PKS3_S8_S4_PS3_21rocsparse_index_base_b,"axG",@progbits,_ZN9rocsparseL19gebsrmvn_2xn_kernelILj128ELj11ELj16EdEEvi20rocsparse_direction_NS_24const_host_device_scalarIT2_EEPKiS6_PKS3_S8_S4_PS3_21rocsparse_index_base_b,comdat
.Lfunc_end123:
	.size	_ZN9rocsparseL19gebsrmvn_2xn_kernelILj128ELj11ELj16EdEEvi20rocsparse_direction_NS_24const_host_device_scalarIT2_EEPKiS6_PKS3_S8_S4_PS3_21rocsparse_index_base_b, .Lfunc_end123-_ZN9rocsparseL19gebsrmvn_2xn_kernelILj128ELj11ELj16EdEEvi20rocsparse_direction_NS_24const_host_device_scalarIT2_EEPKiS6_PKS3_S8_S4_PS3_21rocsparse_index_base_b
                                        ; -- End function
	.set _ZN9rocsparseL19gebsrmvn_2xn_kernelILj128ELj11ELj16EdEEvi20rocsparse_direction_NS_24const_host_device_scalarIT2_EEPKiS6_PKS3_S8_S4_PS3_21rocsparse_index_base_b.num_vgpr, 67
	.set _ZN9rocsparseL19gebsrmvn_2xn_kernelILj128ELj11ELj16EdEEvi20rocsparse_direction_NS_24const_host_device_scalarIT2_EEPKiS6_PKS3_S8_S4_PS3_21rocsparse_index_base_b.num_agpr, 0
	.set _ZN9rocsparseL19gebsrmvn_2xn_kernelILj128ELj11ELj16EdEEvi20rocsparse_direction_NS_24const_host_device_scalarIT2_EEPKiS6_PKS3_S8_S4_PS3_21rocsparse_index_base_b.numbered_sgpr, 16
	.set _ZN9rocsparseL19gebsrmvn_2xn_kernelILj128ELj11ELj16EdEEvi20rocsparse_direction_NS_24const_host_device_scalarIT2_EEPKiS6_PKS3_S8_S4_PS3_21rocsparse_index_base_b.num_named_barrier, 0
	.set _ZN9rocsparseL19gebsrmvn_2xn_kernelILj128ELj11ELj16EdEEvi20rocsparse_direction_NS_24const_host_device_scalarIT2_EEPKiS6_PKS3_S8_S4_PS3_21rocsparse_index_base_b.private_seg_size, 0
	.set _ZN9rocsparseL19gebsrmvn_2xn_kernelILj128ELj11ELj16EdEEvi20rocsparse_direction_NS_24const_host_device_scalarIT2_EEPKiS6_PKS3_S8_S4_PS3_21rocsparse_index_base_b.uses_vcc, 1
	.set _ZN9rocsparseL19gebsrmvn_2xn_kernelILj128ELj11ELj16EdEEvi20rocsparse_direction_NS_24const_host_device_scalarIT2_EEPKiS6_PKS3_S8_S4_PS3_21rocsparse_index_base_b.uses_flat_scratch, 0
	.set _ZN9rocsparseL19gebsrmvn_2xn_kernelILj128ELj11ELj16EdEEvi20rocsparse_direction_NS_24const_host_device_scalarIT2_EEPKiS6_PKS3_S8_S4_PS3_21rocsparse_index_base_b.has_dyn_sized_stack, 0
	.set _ZN9rocsparseL19gebsrmvn_2xn_kernelILj128ELj11ELj16EdEEvi20rocsparse_direction_NS_24const_host_device_scalarIT2_EEPKiS6_PKS3_S8_S4_PS3_21rocsparse_index_base_b.has_recursion, 0
	.set _ZN9rocsparseL19gebsrmvn_2xn_kernelILj128ELj11ELj16EdEEvi20rocsparse_direction_NS_24const_host_device_scalarIT2_EEPKiS6_PKS3_S8_S4_PS3_21rocsparse_index_base_b.has_indirect_call, 0
	.section	.AMDGPU.csdata,"",@progbits
; Kernel info:
; codeLenInByte = 3512
; TotalNumSgprs: 18
; NumVgprs: 67
; ScratchSize: 0
; MemoryBound: 0
; FloatMode: 240
; IeeeMode: 1
; LDSByteSize: 0 bytes/workgroup (compile time only)
; SGPRBlocks: 0
; VGPRBlocks: 8
; NumSGPRsForWavesPerEU: 18
; NumVGPRsForWavesPerEU: 67
; Occupancy: 12
; WaveLimiterHint : 1
; COMPUTE_PGM_RSRC2:SCRATCH_EN: 0
; COMPUTE_PGM_RSRC2:USER_SGPR: 6
; COMPUTE_PGM_RSRC2:TRAP_HANDLER: 0
; COMPUTE_PGM_RSRC2:TGID_X_EN: 1
; COMPUTE_PGM_RSRC2:TGID_Y_EN: 0
; COMPUTE_PGM_RSRC2:TGID_Z_EN: 0
; COMPUTE_PGM_RSRC2:TIDIG_COMP_CNT: 0
	.section	.text._ZN9rocsparseL19gebsrmvn_2xn_kernelILj128ELj11ELj32EdEEvi20rocsparse_direction_NS_24const_host_device_scalarIT2_EEPKiS6_PKS3_S8_S4_PS3_21rocsparse_index_base_b,"axG",@progbits,_ZN9rocsparseL19gebsrmvn_2xn_kernelILj128ELj11ELj32EdEEvi20rocsparse_direction_NS_24const_host_device_scalarIT2_EEPKiS6_PKS3_S8_S4_PS3_21rocsparse_index_base_b,comdat
	.globl	_ZN9rocsparseL19gebsrmvn_2xn_kernelILj128ELj11ELj32EdEEvi20rocsparse_direction_NS_24const_host_device_scalarIT2_EEPKiS6_PKS3_S8_S4_PS3_21rocsparse_index_base_b ; -- Begin function _ZN9rocsparseL19gebsrmvn_2xn_kernelILj128ELj11ELj32EdEEvi20rocsparse_direction_NS_24const_host_device_scalarIT2_EEPKiS6_PKS3_S8_S4_PS3_21rocsparse_index_base_b
	.p2align	8
	.type	_ZN9rocsparseL19gebsrmvn_2xn_kernelILj128ELj11ELj32EdEEvi20rocsparse_direction_NS_24const_host_device_scalarIT2_EEPKiS6_PKS3_S8_S4_PS3_21rocsparse_index_base_b,@function
_ZN9rocsparseL19gebsrmvn_2xn_kernelILj128ELj11ELj32EdEEvi20rocsparse_direction_NS_24const_host_device_scalarIT2_EEPKiS6_PKS3_S8_S4_PS3_21rocsparse_index_base_b: ; @_ZN9rocsparseL19gebsrmvn_2xn_kernelILj128ELj11ELj32EdEEvi20rocsparse_direction_NS_24const_host_device_scalarIT2_EEPKiS6_PKS3_S8_S4_PS3_21rocsparse_index_base_b
; %bb.0:
	s_clause 0x2
	s_load_dwordx2 s[2:3], s[4:5], 0x40
	s_load_dwordx2 s[8:9], s[4:5], 0x8
	;; [unrolled: 1-line block ×3, first 2 shown]
	s_waitcnt lgkmcnt(0)
	s_bitcmp1_b32 s3, 0
	v_mov_b32_e32 v1, s8
	v_mov_b32_e32 v2, s9
	s_cselect_b32 s3, -1, 0
	s_and_b32 vcc_lo, exec_lo, s3
	s_xor_b32 s3, s3, -1
	s_cbranch_vccnz .LBB124_2
; %bb.1:
	v_mov_b32_e32 v1, s8
	v_mov_b32_e32 v2, s9
	flat_load_dwordx2 v[1:2], v[1:2]
.LBB124_2:
	v_mov_b32_e32 v4, s1
	v_mov_b32_e32 v3, s0
	s_andn2_b32 vcc_lo, exec_lo, s3
	s_cbranch_vccnz .LBB124_4
; %bb.3:
	v_mov_b32_e32 v4, s1
	v_mov_b32_e32 v3, s0
	flat_load_dwordx2 v[3:4], v[3:4]
.LBB124_4:
	s_waitcnt vmcnt(0) lgkmcnt(0)
	v_cmp_neq_f64_e32 vcc_lo, 0, v[1:2]
	v_cmp_neq_f64_e64 s0, 1.0, v[3:4]
	s_or_b32 s0, vcc_lo, s0
	s_and_saveexec_b32 s1, s0
	s_cbranch_execz .LBB124_23
; %bb.5:
	s_load_dwordx2 s[0:1], s[4:5], 0x0
	v_lshrrev_b32_e32 v5, 5, v0
	v_lshl_or_b32 v5, s6, 2, v5
	s_waitcnt lgkmcnt(0)
	v_cmp_gt_i32_e32 vcc_lo, s0, v5
	s_and_b32 exec_lo, exec_lo, vcc_lo
	s_cbranch_execz .LBB124_23
; %bb.6:
	s_load_dwordx8 s[8:15], s[4:5], 0x10
	v_ashrrev_i32_e32 v6, 31, v5
	v_and_b32_e32 v0, 31, v0
	s_cmp_lg_u32 s1, 0
	v_lshlrev_b64 v[6:7], 2, v[5:6]
	s_waitcnt lgkmcnt(0)
	v_add_co_u32 v6, vcc_lo, s8, v6
	v_add_co_ci_u32_e64 v7, null, s9, v7, vcc_lo
	global_load_dwordx2 v[6:7], v[6:7], off
	s_waitcnt vmcnt(0)
	v_subrev_nc_u32_e32 v6, s2, v6
	v_subrev_nc_u32_e32 v16, s2, v7
	v_add_nc_u32_e32 v6, v6, v0
	v_cmp_lt_i32_e64 s0, v6, v16
	s_cbranch_scc0 .LBB124_12
; %bb.7:
	v_mov_b32_e32 v8, 0
	v_mov_b32_e32 v10, 0
	;; [unrolled: 1-line block ×4, first 2 shown]
	s_and_saveexec_b32 s1, s0
	s_cbranch_execz .LBB124_11
; %bb.8:
	v_mad_u64_u32 v[7:8], null, v6, 22, 20
	v_mov_b32_e32 v8, 0
	v_mov_b32_e32 v10, 0
	;; [unrolled: 1-line block ×6, first 2 shown]
	s_mov_b32 s3, 0
.LBB124_9:                              ; =>This Inner Loop Header: Depth=1
	v_ashrrev_i32_e32 v15, 31, v14
	v_subrev_nc_u32_e32 v12, 20, v7
	v_mov_b32_e32 v46, v13
	v_lshlrev_b64 v[17:18], 2, v[14:15]
	v_add_nc_u32_e32 v14, 32, v14
	v_add_co_u32 v17, vcc_lo, s10, v17
	v_add_co_ci_u32_e64 v18, null, s11, v18, vcc_lo
	global_load_dword v15, v[17:18], off
	v_lshlrev_b64 v[17:18], 3, v[12:13]
	v_subrev_nc_u32_e32 v12, 18, v7
	v_lshlrev_b64 v[19:20], 3, v[12:13]
	v_add_co_u32 v17, vcc_lo, s12, v17
	v_add_co_ci_u32_e64 v18, null, s13, v18, vcc_lo
	v_add_co_u32 v21, vcc_lo, s12, v19
	v_add_co_ci_u32_e64 v22, null, s13, v20, vcc_lo
	s_clause 0x1
	global_load_dwordx4 v[17:20], v[17:18], off
	global_load_dwordx4 v[21:24], v[21:22], off
	s_waitcnt vmcnt(2)
	v_subrev_nc_u32_e32 v12, s2, v15
	v_mul_lo_u32 v45, v12, 11
	v_lshlrev_b64 v[25:26], 3, v[45:46]
	v_add_nc_u32_e32 v12, 1, v45
	v_lshlrev_b64 v[27:28], 3, v[12:13]
	v_add_co_u32 v25, vcc_lo, s14, v25
	v_add_co_ci_u32_e64 v26, null, s15, v26, vcc_lo
	v_add_nc_u32_e32 v12, -16, v7
	global_load_dwordx2 v[46:47], v[25:26], off
	v_add_co_u32 v25, vcc_lo, s14, v27
	v_add_co_ci_u32_e64 v26, null, s15, v28, vcc_lo
	v_lshlrev_b64 v[29:30], 3, v[12:13]
	v_add_nc_u32_e32 v12, 2, v45
	global_load_dwordx2 v[48:49], v[25:26], off
	v_lshlrev_b64 v[27:28], 3, v[12:13]
	v_add_co_u32 v25, vcc_lo, s12, v29
	v_add_co_ci_u32_e64 v26, null, s13, v30, vcc_lo
	v_add_nc_u32_e32 v12, -14, v7
	v_add_co_u32 v31, vcc_lo, s14, v27
	v_add_co_ci_u32_e64 v32, null, s15, v28, vcc_lo
	global_load_dwordx4 v[25:28], v[25:26], off
	global_load_dwordx2 v[50:51], v[31:32], off
	v_lshlrev_b64 v[29:30], 3, v[12:13]
	v_add_nc_u32_e32 v12, 3, v45
	v_lshlrev_b64 v[31:32], 3, v[12:13]
	v_add_co_u32 v29, vcc_lo, s12, v29
	v_add_co_ci_u32_e64 v30, null, s13, v30, vcc_lo
	v_add_nc_u32_e32 v12, -12, v7
	v_add_co_u32 v33, vcc_lo, s14, v31
	v_add_co_ci_u32_e64 v34, null, s15, v32, vcc_lo
	global_load_dwordx4 v[29:32], v[29:30], off
	global_load_dwordx2 v[52:53], v[33:34], off
	v_lshlrev_b64 v[35:36], 3, v[12:13]
	v_add_nc_u32_e32 v12, 4, v45
	;; [unrolled: 10-line block ×5, first 2 shown]
	v_add_co_u32 v58, vcc_lo, s12, v58
	v_lshlrev_b64 v[62:63], 3, v[12:13]
	v_add_co_ci_u32_e64 v59, null, s13, v59, vcc_lo
	v_add_nc_u32_e32 v12, -4, v7
	s_waitcnt vmcnt(11)
	v_fma_f64 v[8:9], v[17:18], v[46:47], v[8:9]
	v_fma_f64 v[10:11], v[19:20], v[46:47], v[10:11]
	global_load_dwordx4 v[17:20], v[58:59], off
	v_add_co_u32 v58, vcc_lo, s14, v62
	v_add_co_ci_u32_e64 v59, null, s15, v63, vcc_lo
	v_lshlrev_b64 v[46:47], 3, v[12:13]
	v_add_nc_u32_e32 v12, 8, v45
	global_load_dwordx2 v[58:59], v[58:59], off
	v_lshlrev_b64 v[62:63], 3, v[12:13]
	v_add_nc_u32_e32 v12, -2, v7
	v_add_co_u32 v46, vcc_lo, s12, v46
	v_add_co_ci_u32_e64 v47, null, s13, v47, vcc_lo
	s_waitcnt vmcnt(12)
	v_fma_f64 v[64:65], v[21:22], v[48:49], v[8:9]
	v_lshlrev_b64 v[21:22], 3, v[12:13]
	v_fma_f64 v[9:10], v[23:24], v[48:49], v[10:11]
	v_add_co_u32 v48, vcc_lo, s14, v62
	v_add_co_ci_u32_e64 v49, null, s15, v63, vcc_lo
	v_add_co_u32 v62, vcc_lo, s12, v21
	v_add_co_ci_u32_e64 v63, null, s13, v22, vcc_lo
	global_load_dwordx4 v[21:24], v[46:47], off
	global_load_dwordx2 v[46:47], v[48:49], off
	v_add_nc_u32_e32 v12, 9, v45
	v_mov_b32_e32 v8, v13
	v_lshlrev_b64 v[11:12], 3, v[12:13]
	s_waitcnt vmcnt(12)
	v_fma_f64 v[48:49], v[25:26], v[50:51], v[64:65]
	v_add_co_u32 v11, vcc_lo, s14, v11
	v_add_co_ci_u32_e64 v12, null, s15, v12, vcc_lo
	v_fma_f64 v[50:51], v[27:28], v[50:51], v[9:10]
	global_load_dwordx4 v[25:28], v[62:63], off
	global_load_dwordx2 v[62:63], v[11:12], off
	v_add_nc_u32_e32 v12, 10, v45
	v_lshlrev_b64 v[8:9], 3, v[7:8]
	v_add_nc_u32_e32 v7, 0x2c0, v7
	v_lshlrev_b64 v[10:11], 3, v[12:13]
	v_add_co_u32 v8, vcc_lo, s12, v8
	v_add_co_ci_u32_e64 v9, null, s13, v9, vcc_lo
	v_add_co_u32 v64, vcc_lo, s14, v10
	v_add_co_ci_u32_e64 v65, null, s15, v11, vcc_lo
	global_load_dwordx4 v[8:11], v[8:9], off
	global_load_dwordx2 v[64:65], v[64:65], off
	s_waitcnt vmcnt(14)
	v_fma_f64 v[29:30], v[29:30], v[52:53], v[48:49]
	v_fma_f64 v[31:32], v[31:32], v[52:53], v[50:51]
	v_cmp_ge_i32_e32 vcc_lo, v14, v16
	s_or_b32 s3, vcc_lo, s3
	s_waitcnt vmcnt(12)
	v_fma_f64 v[29:30], v[33:34], v[54:55], v[29:30]
	v_fma_f64 v[31:32], v[35:36], v[54:55], v[31:32]
	s_waitcnt vmcnt(10)
	v_fma_f64 v[29:30], v[37:38], v[56:57], v[29:30]
	v_fma_f64 v[31:32], v[39:40], v[56:57], v[31:32]
	s_waitcnt vmcnt(8)
	v_fma_f64 v[29:30], v[41:42], v[60:61], v[29:30]
	v_fma_f64 v[31:32], v[43:44], v[60:61], v[31:32]
	s_waitcnt vmcnt(6)
	v_fma_f64 v[17:18], v[17:18], v[58:59], v[29:30]
	v_fma_f64 v[19:20], v[19:20], v[58:59], v[31:32]
	s_waitcnt vmcnt(4)
	v_fma_f64 v[17:18], v[21:22], v[46:47], v[17:18]
	v_fma_f64 v[19:20], v[23:24], v[46:47], v[19:20]
	s_waitcnt vmcnt(2)
	v_fma_f64 v[17:18], v[25:26], v[62:63], v[17:18]
	v_fma_f64 v[19:20], v[27:28], v[62:63], v[19:20]
	s_waitcnt vmcnt(0)
	v_fma_f64 v[8:9], v[8:9], v[64:65], v[17:18]
	v_fma_f64 v[10:11], v[10:11], v[64:65], v[19:20]
	s_andn2_b32 exec_lo, exec_lo, s3
	s_cbranch_execnz .LBB124_9
; %bb.10:
	s_or_b32 exec_lo, exec_lo, s3
.LBB124_11:
	s_or_b32 exec_lo, exec_lo, s1
	s_cbranch_execz .LBB124_13
	s_branch .LBB124_18
.LBB124_12:
                                        ; implicit-def: $vgpr8_vgpr9
                                        ; implicit-def: $vgpr10_vgpr11
.LBB124_13:
	v_mov_b32_e32 v8, 0
	v_mov_b32_e32 v10, 0
	;; [unrolled: 1-line block ×4, first 2 shown]
	s_and_saveexec_b32 s1, s0
	s_cbranch_execz .LBB124_17
; %bb.14:
	v_mad_u64_u32 v[12:13], null, v6, 22, 21
	v_mov_b32_e32 v8, 0
	v_mov_b32_e32 v10, 0
	;; [unrolled: 1-line block ×5, first 2 shown]
	s_mov_b32 s0, 0
.LBB124_15:                             ; =>This Inner Loop Header: Depth=1
	v_ashrrev_i32_e32 v7, 31, v6
	v_subrev_nc_u32_e32 v14, 21, v12
	v_add_nc_u32_e32 v17, -10, v12
	v_mov_b32_e32 v18, v15
	v_mov_b32_e32 v13, v15
	v_lshlrev_b64 v[19:20], 2, v[6:7]
	v_lshlrev_b64 v[23:24], 3, v[14:15]
	v_mov_b32_e32 v22, v15
	v_lshlrev_b64 v[17:18], 3, v[17:18]
	v_lshlrev_b64 v[13:14], 3, v[12:13]
	v_add_nc_u32_e32 v6, 32, v6
	v_add_co_u32 v19, vcc_lo, s10, v19
	v_add_co_ci_u32_e64 v20, null, s11, v20, vcc_lo
	v_add_co_u32 v23, vcc_lo, s12, v23
	v_add_co_ci_u32_e64 v24, null, s13, v24, vcc_lo
	global_load_dword v7, v[19:20], off
	v_add_co_u32 v17, vcc_lo, s12, v17
	v_add_co_ci_u32_e64 v18, null, s13, v18, vcc_lo
	v_add_co_u32 v25, vcc_lo, s12, v13
	v_add_co_ci_u32_e64 v26, null, s13, v14, vcc_lo
	s_waitcnt vmcnt(0)
	v_subrev_nc_u32_e32 v7, s2, v7
	v_mul_lo_u32 v21, v7, 11
	v_add_nc_u32_e32 v14, 1, v21
	v_lshlrev_b64 v[19:20], 3, v[21:22]
	v_lshlrev_b64 v[27:28], 3, v[14:15]
	v_add_nc_u32_e32 v14, -9, v12
	v_add_co_u32 v19, vcc_lo, s14, v19
	v_add_co_ci_u32_e64 v20, null, s15, v20, vcc_lo
	v_lshlrev_b64 v[29:30], 3, v[14:15]
	v_subrev_nc_u32_e32 v14, 19, v12
	v_add_co_u32 v27, vcc_lo, s14, v27
	v_add_co_ci_u32_e64 v28, null, s15, v28, vcc_lo
	v_lshlrev_b64 v[31:32], 3, v[14:15]
	v_add_nc_u32_e32 v14, 2, v21
	v_add_co_u32 v29, vcc_lo, s12, v29
	v_add_co_ci_u32_e64 v30, null, s13, v30, vcc_lo
	v_lshlrev_b64 v[33:34], 3, v[14:15]
	v_add_nc_u32_e32 v14, -8, v12
	v_add_co_u32 v31, vcc_lo, s12, v31
	v_add_co_ci_u32_e64 v32, null, s13, v32, vcc_lo
	v_lshlrev_b64 v[35:36], 3, v[14:15]
	v_subrev_nc_u32_e32 v14, 18, v12
	v_add_co_u32 v33, vcc_lo, s14, v33
	v_add_co_ci_u32_e64 v34, null, s15, v34, vcc_lo
	v_lshlrev_b64 v[37:38], 3, v[14:15]
	v_add_nc_u32_e32 v14, 3, v21
	v_add_co_u32 v35, vcc_lo, s12, v35
	v_add_co_ci_u32_e64 v36, null, s13, v36, vcc_lo
	v_lshlrev_b64 v[39:40], 3, v[14:15]
	v_add_nc_u32_e32 v14, -7, v12
	v_add_co_u32 v37, vcc_lo, s12, v37
	v_add_co_ci_u32_e64 v38, null, s13, v38, vcc_lo
	v_lshlrev_b64 v[41:42], 3, v[14:15]
	v_subrev_nc_u32_e32 v14, 17, v12
	v_add_co_u32 v39, vcc_lo, s14, v39
	v_add_co_ci_u32_e64 v40, null, s15, v40, vcc_lo
	v_lshlrev_b64 v[43:44], 3, v[14:15]
	v_add_nc_u32_e32 v14, 4, v21
	v_add_co_u32 v41, vcc_lo, s12, v41
	v_add_co_ci_u32_e64 v42, null, s13, v42, vcc_lo
	v_lshlrev_b64 v[45:46], 3, v[14:15]
	v_add_nc_u32_e32 v14, -6, v12
	v_add_co_u32 v43, vcc_lo, s12, v43
	v_add_co_ci_u32_e64 v44, null, s13, v44, vcc_lo
	v_lshlrev_b64 v[47:48], 3, v[14:15]
	v_add_nc_u32_e32 v14, -16, v12
	v_add_co_u32 v45, vcc_lo, s14, v45
	v_add_co_ci_u32_e64 v46, null, s15, v46, vcc_lo
	v_lshlrev_b64 v[49:50], 3, v[14:15]
	v_add_nc_u32_e32 v14, 5, v21
	v_add_co_u32 v47, vcc_lo, s12, v47
	v_add_co_ci_u32_e64 v48, null, s13, v48, vcc_lo
	v_lshlrev_b64 v[51:52], 3, v[14:15]
	v_add_nc_u32_e32 v14, -5, v12
	v_add_co_u32 v49, vcc_lo, s12, v49
	v_add_co_ci_u32_e64 v50, null, s13, v50, vcc_lo
	v_lshlrev_b64 v[53:54], 3, v[14:15]
	v_add_nc_u32_e32 v14, -15, v12
	v_add_co_u32 v51, vcc_lo, s14, v51
	v_add_co_ci_u32_e64 v52, null, s15, v52, vcc_lo
	v_lshlrev_b64 v[55:56], 3, v[14:15]
	v_add_nc_u32_e32 v14, 6, v21
	v_add_co_u32 v53, vcc_lo, s12, v53
	v_add_co_ci_u32_e64 v54, null, s13, v54, vcc_lo
	;; [unrolled: 12-line block ×3, first 2 shown]
	v_lshlrev_b64 v[13:14], 3, v[14:15]
	v_add_co_u32 v61, vcc_lo, s12, v61
	v_add_co_ci_u32_e64 v62, null, s13, v62, vcc_lo
	v_add_co_u32 v63, vcc_lo, s14, v13
	v_add_co_ci_u32_e64 v64, null, s15, v14, vcc_lo
	global_load_dwordx2 v[13:14], v[17:18], off
	global_load_dwordx2 v[65:66], v[19:20], off
	global_load_dwordx4 v[17:20], v[23:24], off
	global_load_dwordx2 v[22:23], v[27:28], off
	s_clause 0x1
	global_load_dwordx2 v[27:28], v[29:30], off
	global_load_dwordx2 v[29:30], v[31:32], off
	global_load_dwordx2 v[33:34], v[33:34], off
	s_clause 0x1
	global_load_dwordx2 v[35:36], v[35:36], off
	global_load_dwordx2 v[37:38], v[37:38], off
	s_waitcnt vmcnt(6)
	v_fma_f64 v[7:8], v[17:18], v[65:66], v[8:9]
	v_fma_f64 v[10:11], v[13:14], v[65:66], v[10:11]
	v_add_nc_u32_e32 v14, -3, v12
	v_lshlrev_b64 v[17:18], 3, v[14:15]
	v_add_nc_u32_e32 v14, -13, v12
	v_add_co_u32 v17, vcc_lo, s12, v17
	v_add_co_ci_u32_e64 v18, null, s13, v18, vcc_lo
	s_waitcnt vmcnt(5)
	v_fma_f64 v[7:8], v[19:20], v[22:23], v[7:8]
	v_lshlrev_b64 v[19:20], 3, v[14:15]
	v_add_nc_u32_e32 v14, 8, v21
	s_waitcnt vmcnt(4)
	v_fma_f64 v[9:10], v[27:28], v[22:23], v[10:11]
	v_lshlrev_b64 v[31:32], 3, v[14:15]
	v_add_nc_u32_e32 v14, -2, v12
	v_add_co_u32 v19, vcc_lo, s12, v19
	v_add_co_ci_u32_e64 v20, null, s13, v20, vcc_lo
	v_lshlrev_b64 v[22:23], 3, v[14:15]
	v_add_nc_u32_e32 v14, -12, v12
	v_add_co_u32 v27, vcc_lo, s14, v31
	v_add_co_ci_u32_e64 v28, null, s15, v32, vcc_lo
	v_lshlrev_b64 v[13:14], 3, v[14:15]
	v_add_co_u32 v22, vcc_lo, s12, v22
	v_add_co_ci_u32_e64 v23, null, s13, v23, vcc_lo
	s_waitcnt vmcnt(2)
	v_fma_f64 v[7:8], v[29:30], v[33:34], v[7:8]
	v_add_co_u32 v31, vcc_lo, s12, v13
	v_add_co_ci_u32_e64 v32, null, s13, v14, vcc_lo
	v_add_nc_u32_e32 v14, 9, v21
	s_waitcnt vmcnt(1)
	v_fma_f64 v[9:10], v[35:36], v[33:34], v[9:10]
	v_lshlrev_b64 v[29:30], 3, v[14:15]
	v_add_nc_u32_e32 v14, -1, v12
	v_lshlrev_b64 v[33:34], 3, v[14:15]
	v_add_nc_u32_e32 v14, -11, v12
	v_add_co_u32 v29, vcc_lo, s14, v29
	v_add_co_ci_u32_e64 v30, null, s15, v30, vcc_lo
	v_lshlrev_b64 v[35:36], 3, v[14:15]
	v_add_nc_u32_e32 v14, 10, v21
	v_add_co_u32 v33, vcc_lo, s12, v33
	v_add_co_ci_u32_e64 v34, null, s13, v34, vcc_lo
	v_lshlrev_b64 v[13:14], 3, v[14:15]
	v_add_co_u32 v35, vcc_lo, s12, v35
	v_add_co_ci_u32_e64 v36, null, s13, v36, vcc_lo
	v_add_nc_u32_e32 v12, 0x2c0, v12
	v_add_co_u32 v13, vcc_lo, s14, v13
	v_add_co_ci_u32_e64 v14, null, s15, v14, vcc_lo
	global_load_dwordx2 v[39:40], v[39:40], off
	s_clause 0x1
	global_load_dwordx2 v[41:42], v[41:42], off
	global_load_dwordx2 v[43:44], v[43:44], off
	global_load_dwordx2 v[45:46], v[45:46], off
	s_clause 0x1
	global_load_dwordx2 v[47:48], v[47:48], off
	global_load_dwordx2 v[49:50], v[49:50], off
	;; [unrolled: 4-line block ×7, first 2 shown]
	global_load_dwordx2 v[33:34], v[35:36], off
	global_load_dwordx2 v[13:14], v[13:14], off
	v_cmp_ge_i32_e32 vcc_lo, v6, v16
	s_or_b32 s0, vcc_lo, s0
	s_waitcnt vmcnt(22)
	v_fma_f64 v[7:8], v[37:38], v[39:40], v[7:8]
	s_waitcnt vmcnt(21)
	v_fma_f64 v[9:10], v[41:42], v[39:40], v[9:10]
	;; [unrolled: 2-line block ×15, first 2 shown]
	v_fma_f64 v[10:11], v[25:26], v[13:14], v[10:11]
	s_andn2_b32 exec_lo, exec_lo, s0
	s_cbranch_execnz .LBB124_15
; %bb.16:
	s_or_b32 exec_lo, exec_lo, s0
.LBB124_17:
	s_or_b32 exec_lo, exec_lo, s1
.LBB124_18:
	v_mbcnt_lo_u32_b32 v14, -1, 0
	v_xor_b32_e32 v6, 16, v14
	v_cmp_gt_i32_e32 vcc_lo, 32, v6
	v_cndmask_b32_e32 v6, v14, v6, vcc_lo
	v_lshlrev_b32_e32 v13, 2, v6
	ds_bpermute_b32 v6, v13, v8
	ds_bpermute_b32 v7, v13, v9
	;; [unrolled: 1-line block ×4, first 2 shown]
	s_waitcnt lgkmcnt(2)
	v_add_f64 v[6:7], v[8:9], v[6:7]
	s_waitcnt lgkmcnt(0)
	v_add_f64 v[8:9], v[10:11], v[12:13]
	v_xor_b32_e32 v10, 8, v14
	v_cmp_gt_i32_e32 vcc_lo, 32, v10
	v_cndmask_b32_e32 v10, v14, v10, vcc_lo
	v_lshlrev_b32_e32 v13, 2, v10
	ds_bpermute_b32 v10, v13, v6
	ds_bpermute_b32 v11, v13, v7
	;; [unrolled: 1-line block ×4, first 2 shown]
	s_waitcnt lgkmcnt(2)
	v_add_f64 v[6:7], v[6:7], v[10:11]
	v_xor_b32_e32 v10, 4, v14
	s_waitcnt lgkmcnt(0)
	v_add_f64 v[8:9], v[8:9], v[12:13]
	v_cmp_gt_i32_e32 vcc_lo, 32, v10
	v_cndmask_b32_e32 v10, v14, v10, vcc_lo
	v_lshlrev_b32_e32 v13, 2, v10
	ds_bpermute_b32 v10, v13, v6
	ds_bpermute_b32 v11, v13, v7
	;; [unrolled: 1-line block ×4, first 2 shown]
	s_waitcnt lgkmcnt(2)
	v_add_f64 v[6:7], v[6:7], v[10:11]
	v_xor_b32_e32 v10, 2, v14
	s_waitcnt lgkmcnt(0)
	v_add_f64 v[8:9], v[8:9], v[12:13]
	v_cmp_gt_i32_e32 vcc_lo, 32, v10
	v_cndmask_b32_e32 v10, v14, v10, vcc_lo
	v_lshlrev_b32_e32 v13, 2, v10
	ds_bpermute_b32 v10, v13, v6
	ds_bpermute_b32 v11, v13, v7
	;; [unrolled: 1-line block ×4, first 2 shown]
	s_waitcnt lgkmcnt(2)
	v_add_f64 v[6:7], v[6:7], v[10:11]
	s_waitcnt lgkmcnt(0)
	v_add_f64 v[10:11], v[8:9], v[12:13]
	v_xor_b32_e32 v8, 1, v14
	v_cmp_gt_i32_e32 vcc_lo, 32, v8
	v_cndmask_b32_e32 v8, v14, v8, vcc_lo
	v_cmp_eq_u32_e32 vcc_lo, 31, v0
	v_lshlrev_b32_e32 v13, 2, v8
	ds_bpermute_b32 v8, v13, v6
	ds_bpermute_b32 v9, v13, v7
	;; [unrolled: 1-line block ×4, first 2 shown]
	s_and_b32 exec_lo, exec_lo, vcc_lo
	s_cbranch_execz .LBB124_23
; %bb.19:
	s_waitcnt lgkmcnt(2)
	v_add_f64 v[8:9], v[6:7], v[8:9]
	s_waitcnt lgkmcnt(0)
	v_add_f64 v[6:7], v[10:11], v[12:13]
	s_load_dwordx2 s[0:1], s[4:5], 0x38
	s_mov_b32 s2, exec_lo
	v_cmpx_eq_f64_e32 0, v[3:4]
	s_xor_b32 s2, exec_lo, s2
	s_cbranch_execz .LBB124_21
; %bb.20:
	v_lshlrev_b32_e32 v0, 1, v5
	v_mul_f64 v[3:4], v[1:2], v[8:9]
	v_mul_f64 v[5:6], v[1:2], v[6:7]
                                        ; implicit-def: $vgpr8_vgpr9
	v_ashrrev_i32_e32 v1, 31, v0
	v_lshlrev_b64 v[0:1], 3, v[0:1]
	s_waitcnt lgkmcnt(0)
	v_add_co_u32 v0, vcc_lo, s0, v0
	v_add_co_ci_u32_e64 v1, null, s1, v1, vcc_lo
	global_store_dwordx4 v[0:1], v[3:6], off
                                        ; implicit-def: $vgpr5
                                        ; implicit-def: $vgpr1_vgpr2
                                        ; implicit-def: $vgpr3_vgpr4
                                        ; implicit-def: $vgpr6_vgpr7
.LBB124_21:
	s_andn2_saveexec_b32 s2, s2
	s_cbranch_execz .LBB124_23
; %bb.22:
	v_lshlrev_b32_e32 v10, 1, v5
	v_mul_f64 v[8:9], v[1:2], v[8:9]
	v_mul_f64 v[5:6], v[1:2], v[6:7]
	v_ashrrev_i32_e32 v11, 31, v10
	v_lshlrev_b64 v[10:11], 3, v[10:11]
	s_waitcnt lgkmcnt(0)
	v_add_co_u32 v14, vcc_lo, s0, v10
	v_add_co_ci_u32_e64 v15, null, s1, v11, vcc_lo
	global_load_dwordx4 v[10:13], v[14:15], off
	s_waitcnt vmcnt(0)
	v_fma_f64 v[0:1], v[3:4], v[10:11], v[8:9]
	v_fma_f64 v[2:3], v[3:4], v[12:13], v[5:6]
	global_store_dwordx4 v[14:15], v[0:3], off
.LBB124_23:
	s_endpgm
	.section	.rodata,"a",@progbits
	.p2align	6, 0x0
	.amdhsa_kernel _ZN9rocsparseL19gebsrmvn_2xn_kernelILj128ELj11ELj32EdEEvi20rocsparse_direction_NS_24const_host_device_scalarIT2_EEPKiS6_PKS3_S8_S4_PS3_21rocsparse_index_base_b
		.amdhsa_group_segment_fixed_size 0
		.amdhsa_private_segment_fixed_size 0
		.amdhsa_kernarg_size 72
		.amdhsa_user_sgpr_count 6
		.amdhsa_user_sgpr_private_segment_buffer 1
		.amdhsa_user_sgpr_dispatch_ptr 0
		.amdhsa_user_sgpr_queue_ptr 0
		.amdhsa_user_sgpr_kernarg_segment_ptr 1
		.amdhsa_user_sgpr_dispatch_id 0
		.amdhsa_user_sgpr_flat_scratch_init 0
		.amdhsa_user_sgpr_private_segment_size 0
		.amdhsa_wavefront_size32 1
		.amdhsa_uses_dynamic_stack 0
		.amdhsa_system_sgpr_private_segment_wavefront_offset 0
		.amdhsa_system_sgpr_workgroup_id_x 1
		.amdhsa_system_sgpr_workgroup_id_y 0
		.amdhsa_system_sgpr_workgroup_id_z 0
		.amdhsa_system_sgpr_workgroup_info 0
		.amdhsa_system_vgpr_workitem_id 0
		.amdhsa_next_free_vgpr 67
		.amdhsa_next_free_sgpr 16
		.amdhsa_reserve_vcc 1
		.amdhsa_reserve_flat_scratch 0
		.amdhsa_float_round_mode_32 0
		.amdhsa_float_round_mode_16_64 0
		.amdhsa_float_denorm_mode_32 3
		.amdhsa_float_denorm_mode_16_64 3
		.amdhsa_dx10_clamp 1
		.amdhsa_ieee_mode 1
		.amdhsa_fp16_overflow 0
		.amdhsa_workgroup_processor_mode 1
		.amdhsa_memory_ordered 1
		.amdhsa_forward_progress 1
		.amdhsa_shared_vgpr_count 0
		.amdhsa_exception_fp_ieee_invalid_op 0
		.amdhsa_exception_fp_denorm_src 0
		.amdhsa_exception_fp_ieee_div_zero 0
		.amdhsa_exception_fp_ieee_overflow 0
		.amdhsa_exception_fp_ieee_underflow 0
		.amdhsa_exception_fp_ieee_inexact 0
		.amdhsa_exception_int_div_zero 0
	.end_amdhsa_kernel
	.section	.text._ZN9rocsparseL19gebsrmvn_2xn_kernelILj128ELj11ELj32EdEEvi20rocsparse_direction_NS_24const_host_device_scalarIT2_EEPKiS6_PKS3_S8_S4_PS3_21rocsparse_index_base_b,"axG",@progbits,_ZN9rocsparseL19gebsrmvn_2xn_kernelILj128ELj11ELj32EdEEvi20rocsparse_direction_NS_24const_host_device_scalarIT2_EEPKiS6_PKS3_S8_S4_PS3_21rocsparse_index_base_b,comdat
.Lfunc_end124:
	.size	_ZN9rocsparseL19gebsrmvn_2xn_kernelILj128ELj11ELj32EdEEvi20rocsparse_direction_NS_24const_host_device_scalarIT2_EEPKiS6_PKS3_S8_S4_PS3_21rocsparse_index_base_b, .Lfunc_end124-_ZN9rocsparseL19gebsrmvn_2xn_kernelILj128ELj11ELj32EdEEvi20rocsparse_direction_NS_24const_host_device_scalarIT2_EEPKiS6_PKS3_S8_S4_PS3_21rocsparse_index_base_b
                                        ; -- End function
	.set _ZN9rocsparseL19gebsrmvn_2xn_kernelILj128ELj11ELj32EdEEvi20rocsparse_direction_NS_24const_host_device_scalarIT2_EEPKiS6_PKS3_S8_S4_PS3_21rocsparse_index_base_b.num_vgpr, 67
	.set _ZN9rocsparseL19gebsrmvn_2xn_kernelILj128ELj11ELj32EdEEvi20rocsparse_direction_NS_24const_host_device_scalarIT2_EEPKiS6_PKS3_S8_S4_PS3_21rocsparse_index_base_b.num_agpr, 0
	.set _ZN9rocsparseL19gebsrmvn_2xn_kernelILj128ELj11ELj32EdEEvi20rocsparse_direction_NS_24const_host_device_scalarIT2_EEPKiS6_PKS3_S8_S4_PS3_21rocsparse_index_base_b.numbered_sgpr, 16
	.set _ZN9rocsparseL19gebsrmvn_2xn_kernelILj128ELj11ELj32EdEEvi20rocsparse_direction_NS_24const_host_device_scalarIT2_EEPKiS6_PKS3_S8_S4_PS3_21rocsparse_index_base_b.num_named_barrier, 0
	.set _ZN9rocsparseL19gebsrmvn_2xn_kernelILj128ELj11ELj32EdEEvi20rocsparse_direction_NS_24const_host_device_scalarIT2_EEPKiS6_PKS3_S8_S4_PS3_21rocsparse_index_base_b.private_seg_size, 0
	.set _ZN9rocsparseL19gebsrmvn_2xn_kernelILj128ELj11ELj32EdEEvi20rocsparse_direction_NS_24const_host_device_scalarIT2_EEPKiS6_PKS3_S8_S4_PS3_21rocsparse_index_base_b.uses_vcc, 1
	.set _ZN9rocsparseL19gebsrmvn_2xn_kernelILj128ELj11ELj32EdEEvi20rocsparse_direction_NS_24const_host_device_scalarIT2_EEPKiS6_PKS3_S8_S4_PS3_21rocsparse_index_base_b.uses_flat_scratch, 0
	.set _ZN9rocsparseL19gebsrmvn_2xn_kernelILj128ELj11ELj32EdEEvi20rocsparse_direction_NS_24const_host_device_scalarIT2_EEPKiS6_PKS3_S8_S4_PS3_21rocsparse_index_base_b.has_dyn_sized_stack, 0
	.set _ZN9rocsparseL19gebsrmvn_2xn_kernelILj128ELj11ELj32EdEEvi20rocsparse_direction_NS_24const_host_device_scalarIT2_EEPKiS6_PKS3_S8_S4_PS3_21rocsparse_index_base_b.has_recursion, 0
	.set _ZN9rocsparseL19gebsrmvn_2xn_kernelILj128ELj11ELj32EdEEvi20rocsparse_direction_NS_24const_host_device_scalarIT2_EEPKiS6_PKS3_S8_S4_PS3_21rocsparse_index_base_b.has_indirect_call, 0
	.section	.AMDGPU.csdata,"",@progbits
; Kernel info:
; codeLenInByte = 3584
; TotalNumSgprs: 18
; NumVgprs: 67
; ScratchSize: 0
; MemoryBound: 0
; FloatMode: 240
; IeeeMode: 1
; LDSByteSize: 0 bytes/workgroup (compile time only)
; SGPRBlocks: 0
; VGPRBlocks: 8
; NumSGPRsForWavesPerEU: 18
; NumVGPRsForWavesPerEU: 67
; Occupancy: 12
; WaveLimiterHint : 1
; COMPUTE_PGM_RSRC2:SCRATCH_EN: 0
; COMPUTE_PGM_RSRC2:USER_SGPR: 6
; COMPUTE_PGM_RSRC2:TRAP_HANDLER: 0
; COMPUTE_PGM_RSRC2:TGID_X_EN: 1
; COMPUTE_PGM_RSRC2:TGID_Y_EN: 0
; COMPUTE_PGM_RSRC2:TGID_Z_EN: 0
; COMPUTE_PGM_RSRC2:TIDIG_COMP_CNT: 0
	.section	.text._ZN9rocsparseL19gebsrmvn_2xn_kernelILj128ELj11ELj64EdEEvi20rocsparse_direction_NS_24const_host_device_scalarIT2_EEPKiS6_PKS3_S8_S4_PS3_21rocsparse_index_base_b,"axG",@progbits,_ZN9rocsparseL19gebsrmvn_2xn_kernelILj128ELj11ELj64EdEEvi20rocsparse_direction_NS_24const_host_device_scalarIT2_EEPKiS6_PKS3_S8_S4_PS3_21rocsparse_index_base_b,comdat
	.globl	_ZN9rocsparseL19gebsrmvn_2xn_kernelILj128ELj11ELj64EdEEvi20rocsparse_direction_NS_24const_host_device_scalarIT2_EEPKiS6_PKS3_S8_S4_PS3_21rocsparse_index_base_b ; -- Begin function _ZN9rocsparseL19gebsrmvn_2xn_kernelILj128ELj11ELj64EdEEvi20rocsparse_direction_NS_24const_host_device_scalarIT2_EEPKiS6_PKS3_S8_S4_PS3_21rocsparse_index_base_b
	.p2align	8
	.type	_ZN9rocsparseL19gebsrmvn_2xn_kernelILj128ELj11ELj64EdEEvi20rocsparse_direction_NS_24const_host_device_scalarIT2_EEPKiS6_PKS3_S8_S4_PS3_21rocsparse_index_base_b,@function
_ZN9rocsparseL19gebsrmvn_2xn_kernelILj128ELj11ELj64EdEEvi20rocsparse_direction_NS_24const_host_device_scalarIT2_EEPKiS6_PKS3_S8_S4_PS3_21rocsparse_index_base_b: ; @_ZN9rocsparseL19gebsrmvn_2xn_kernelILj128ELj11ELj64EdEEvi20rocsparse_direction_NS_24const_host_device_scalarIT2_EEPKiS6_PKS3_S8_S4_PS3_21rocsparse_index_base_b
; %bb.0:
	s_clause 0x2
	s_load_dwordx2 s[2:3], s[4:5], 0x40
	s_load_dwordx2 s[8:9], s[4:5], 0x8
	;; [unrolled: 1-line block ×3, first 2 shown]
	s_waitcnt lgkmcnt(0)
	s_bitcmp1_b32 s3, 0
	v_mov_b32_e32 v1, s8
	v_mov_b32_e32 v2, s9
	s_cselect_b32 s3, -1, 0
	s_and_b32 vcc_lo, exec_lo, s3
	s_xor_b32 s3, s3, -1
	s_cbranch_vccnz .LBB125_2
; %bb.1:
	v_mov_b32_e32 v1, s8
	v_mov_b32_e32 v2, s9
	flat_load_dwordx2 v[1:2], v[1:2]
.LBB125_2:
	v_mov_b32_e32 v4, s1
	v_mov_b32_e32 v3, s0
	s_andn2_b32 vcc_lo, exec_lo, s3
	s_cbranch_vccnz .LBB125_4
; %bb.3:
	v_mov_b32_e32 v4, s1
	v_mov_b32_e32 v3, s0
	flat_load_dwordx2 v[3:4], v[3:4]
.LBB125_4:
	s_waitcnt vmcnt(0) lgkmcnt(0)
	v_cmp_neq_f64_e32 vcc_lo, 0, v[1:2]
	v_cmp_neq_f64_e64 s0, 1.0, v[3:4]
	s_or_b32 s0, vcc_lo, s0
	s_and_saveexec_b32 s1, s0
	s_cbranch_execz .LBB125_23
; %bb.5:
	s_load_dwordx2 s[0:1], s[4:5], 0x0
	v_lshrrev_b32_e32 v5, 6, v0
	v_lshl_or_b32 v5, s6, 1, v5
	s_waitcnt lgkmcnt(0)
	v_cmp_gt_i32_e32 vcc_lo, s0, v5
	s_and_b32 exec_lo, exec_lo, vcc_lo
	s_cbranch_execz .LBB125_23
; %bb.6:
	s_load_dwordx8 s[8:15], s[4:5], 0x10
	v_ashrrev_i32_e32 v6, 31, v5
	v_and_b32_e32 v0, 63, v0
	s_cmp_lg_u32 s1, 0
	v_lshlrev_b64 v[6:7], 2, v[5:6]
	s_waitcnt lgkmcnt(0)
	v_add_co_u32 v6, vcc_lo, s8, v6
	v_add_co_ci_u32_e64 v7, null, s9, v7, vcc_lo
	global_load_dwordx2 v[6:7], v[6:7], off
	s_waitcnt vmcnt(0)
	v_subrev_nc_u32_e32 v6, s2, v6
	v_subrev_nc_u32_e32 v16, s2, v7
	v_add_nc_u32_e32 v6, v6, v0
	v_cmp_lt_i32_e64 s0, v6, v16
	s_cbranch_scc0 .LBB125_12
; %bb.7:
	v_mov_b32_e32 v8, 0
	v_mov_b32_e32 v10, 0
	;; [unrolled: 1-line block ×4, first 2 shown]
	s_and_saveexec_b32 s1, s0
	s_cbranch_execz .LBB125_11
; %bb.8:
	v_mad_u64_u32 v[7:8], null, v6, 22, 20
	v_mov_b32_e32 v8, 0
	v_mov_b32_e32 v10, 0
	;; [unrolled: 1-line block ×6, first 2 shown]
	s_mov_b32 s3, 0
.LBB125_9:                              ; =>This Inner Loop Header: Depth=1
	v_ashrrev_i32_e32 v15, 31, v14
	v_subrev_nc_u32_e32 v12, 20, v7
	v_mov_b32_e32 v46, v13
	v_lshlrev_b64 v[17:18], 2, v[14:15]
	v_add_nc_u32_e32 v14, 64, v14
	v_add_co_u32 v17, vcc_lo, s10, v17
	v_add_co_ci_u32_e64 v18, null, s11, v18, vcc_lo
	global_load_dword v15, v[17:18], off
	v_lshlrev_b64 v[17:18], 3, v[12:13]
	v_subrev_nc_u32_e32 v12, 18, v7
	v_lshlrev_b64 v[19:20], 3, v[12:13]
	v_add_co_u32 v17, vcc_lo, s12, v17
	v_add_co_ci_u32_e64 v18, null, s13, v18, vcc_lo
	v_add_co_u32 v21, vcc_lo, s12, v19
	v_add_co_ci_u32_e64 v22, null, s13, v20, vcc_lo
	s_clause 0x1
	global_load_dwordx4 v[17:20], v[17:18], off
	global_load_dwordx4 v[21:24], v[21:22], off
	s_waitcnt vmcnt(2)
	v_subrev_nc_u32_e32 v12, s2, v15
	v_mul_lo_u32 v45, v12, 11
	v_lshlrev_b64 v[25:26], 3, v[45:46]
	v_add_nc_u32_e32 v12, 1, v45
	v_lshlrev_b64 v[27:28], 3, v[12:13]
	v_add_co_u32 v25, vcc_lo, s14, v25
	v_add_co_ci_u32_e64 v26, null, s15, v26, vcc_lo
	v_add_nc_u32_e32 v12, -16, v7
	global_load_dwordx2 v[46:47], v[25:26], off
	v_add_co_u32 v25, vcc_lo, s14, v27
	v_add_co_ci_u32_e64 v26, null, s15, v28, vcc_lo
	v_lshlrev_b64 v[29:30], 3, v[12:13]
	v_add_nc_u32_e32 v12, 2, v45
	global_load_dwordx2 v[48:49], v[25:26], off
	v_lshlrev_b64 v[27:28], 3, v[12:13]
	v_add_co_u32 v25, vcc_lo, s12, v29
	v_add_co_ci_u32_e64 v26, null, s13, v30, vcc_lo
	v_add_nc_u32_e32 v12, -14, v7
	v_add_co_u32 v31, vcc_lo, s14, v27
	v_add_co_ci_u32_e64 v32, null, s15, v28, vcc_lo
	global_load_dwordx4 v[25:28], v[25:26], off
	global_load_dwordx2 v[50:51], v[31:32], off
	v_lshlrev_b64 v[29:30], 3, v[12:13]
	v_add_nc_u32_e32 v12, 3, v45
	v_lshlrev_b64 v[31:32], 3, v[12:13]
	v_add_co_u32 v29, vcc_lo, s12, v29
	v_add_co_ci_u32_e64 v30, null, s13, v30, vcc_lo
	v_add_nc_u32_e32 v12, -12, v7
	v_add_co_u32 v33, vcc_lo, s14, v31
	v_add_co_ci_u32_e64 v34, null, s15, v32, vcc_lo
	global_load_dwordx4 v[29:32], v[29:30], off
	global_load_dwordx2 v[52:53], v[33:34], off
	v_lshlrev_b64 v[35:36], 3, v[12:13]
	v_add_nc_u32_e32 v12, 4, v45
	;; [unrolled: 10-line block ×5, first 2 shown]
	v_add_co_u32 v58, vcc_lo, s12, v58
	v_lshlrev_b64 v[62:63], 3, v[12:13]
	v_add_co_ci_u32_e64 v59, null, s13, v59, vcc_lo
	v_add_nc_u32_e32 v12, -4, v7
	s_waitcnt vmcnt(11)
	v_fma_f64 v[8:9], v[17:18], v[46:47], v[8:9]
	v_fma_f64 v[10:11], v[19:20], v[46:47], v[10:11]
	global_load_dwordx4 v[17:20], v[58:59], off
	v_add_co_u32 v58, vcc_lo, s14, v62
	v_add_co_ci_u32_e64 v59, null, s15, v63, vcc_lo
	v_lshlrev_b64 v[46:47], 3, v[12:13]
	v_add_nc_u32_e32 v12, 8, v45
	global_load_dwordx2 v[58:59], v[58:59], off
	v_lshlrev_b64 v[62:63], 3, v[12:13]
	v_add_nc_u32_e32 v12, -2, v7
	v_add_co_u32 v46, vcc_lo, s12, v46
	v_add_co_ci_u32_e64 v47, null, s13, v47, vcc_lo
	s_waitcnt vmcnt(12)
	v_fma_f64 v[64:65], v[21:22], v[48:49], v[8:9]
	v_lshlrev_b64 v[21:22], 3, v[12:13]
	v_fma_f64 v[9:10], v[23:24], v[48:49], v[10:11]
	v_add_co_u32 v48, vcc_lo, s14, v62
	v_add_co_ci_u32_e64 v49, null, s15, v63, vcc_lo
	v_add_co_u32 v62, vcc_lo, s12, v21
	v_add_co_ci_u32_e64 v63, null, s13, v22, vcc_lo
	global_load_dwordx4 v[21:24], v[46:47], off
	global_load_dwordx2 v[46:47], v[48:49], off
	v_add_nc_u32_e32 v12, 9, v45
	v_mov_b32_e32 v8, v13
	v_lshlrev_b64 v[11:12], 3, v[12:13]
	s_waitcnt vmcnt(12)
	v_fma_f64 v[48:49], v[25:26], v[50:51], v[64:65]
	v_add_co_u32 v11, vcc_lo, s14, v11
	v_add_co_ci_u32_e64 v12, null, s15, v12, vcc_lo
	v_fma_f64 v[50:51], v[27:28], v[50:51], v[9:10]
	global_load_dwordx4 v[25:28], v[62:63], off
	global_load_dwordx2 v[62:63], v[11:12], off
	v_add_nc_u32_e32 v12, 10, v45
	v_lshlrev_b64 v[8:9], 3, v[7:8]
	v_add_nc_u32_e32 v7, 0x580, v7
	v_lshlrev_b64 v[10:11], 3, v[12:13]
	v_add_co_u32 v8, vcc_lo, s12, v8
	v_add_co_ci_u32_e64 v9, null, s13, v9, vcc_lo
	v_add_co_u32 v64, vcc_lo, s14, v10
	v_add_co_ci_u32_e64 v65, null, s15, v11, vcc_lo
	global_load_dwordx4 v[8:11], v[8:9], off
	global_load_dwordx2 v[64:65], v[64:65], off
	s_waitcnt vmcnt(14)
	v_fma_f64 v[29:30], v[29:30], v[52:53], v[48:49]
	v_fma_f64 v[31:32], v[31:32], v[52:53], v[50:51]
	v_cmp_ge_i32_e32 vcc_lo, v14, v16
	s_or_b32 s3, vcc_lo, s3
	s_waitcnt vmcnt(12)
	v_fma_f64 v[29:30], v[33:34], v[54:55], v[29:30]
	v_fma_f64 v[31:32], v[35:36], v[54:55], v[31:32]
	s_waitcnt vmcnt(10)
	v_fma_f64 v[29:30], v[37:38], v[56:57], v[29:30]
	v_fma_f64 v[31:32], v[39:40], v[56:57], v[31:32]
	s_waitcnt vmcnt(8)
	v_fma_f64 v[29:30], v[41:42], v[60:61], v[29:30]
	v_fma_f64 v[31:32], v[43:44], v[60:61], v[31:32]
	s_waitcnt vmcnt(6)
	v_fma_f64 v[17:18], v[17:18], v[58:59], v[29:30]
	v_fma_f64 v[19:20], v[19:20], v[58:59], v[31:32]
	s_waitcnt vmcnt(4)
	v_fma_f64 v[17:18], v[21:22], v[46:47], v[17:18]
	v_fma_f64 v[19:20], v[23:24], v[46:47], v[19:20]
	s_waitcnt vmcnt(2)
	v_fma_f64 v[17:18], v[25:26], v[62:63], v[17:18]
	v_fma_f64 v[19:20], v[27:28], v[62:63], v[19:20]
	s_waitcnt vmcnt(0)
	v_fma_f64 v[8:9], v[8:9], v[64:65], v[17:18]
	v_fma_f64 v[10:11], v[10:11], v[64:65], v[19:20]
	s_andn2_b32 exec_lo, exec_lo, s3
	s_cbranch_execnz .LBB125_9
; %bb.10:
	s_or_b32 exec_lo, exec_lo, s3
.LBB125_11:
	s_or_b32 exec_lo, exec_lo, s1
	s_cbranch_execz .LBB125_13
	s_branch .LBB125_18
.LBB125_12:
                                        ; implicit-def: $vgpr8_vgpr9
                                        ; implicit-def: $vgpr10_vgpr11
.LBB125_13:
	v_mov_b32_e32 v8, 0
	v_mov_b32_e32 v10, 0
	;; [unrolled: 1-line block ×4, first 2 shown]
	s_and_saveexec_b32 s1, s0
	s_cbranch_execz .LBB125_17
; %bb.14:
	v_mad_u64_u32 v[12:13], null, v6, 22, 21
	v_mov_b32_e32 v8, 0
	v_mov_b32_e32 v10, 0
	;; [unrolled: 1-line block ×5, first 2 shown]
	s_mov_b32 s0, 0
.LBB125_15:                             ; =>This Inner Loop Header: Depth=1
	v_ashrrev_i32_e32 v7, 31, v6
	v_subrev_nc_u32_e32 v14, 21, v12
	v_add_nc_u32_e32 v17, -10, v12
	v_mov_b32_e32 v18, v15
	v_mov_b32_e32 v13, v15
	v_lshlrev_b64 v[19:20], 2, v[6:7]
	v_lshlrev_b64 v[23:24], 3, v[14:15]
	v_mov_b32_e32 v22, v15
	v_lshlrev_b64 v[17:18], 3, v[17:18]
	v_lshlrev_b64 v[13:14], 3, v[12:13]
	v_add_nc_u32_e32 v6, 64, v6
	v_add_co_u32 v19, vcc_lo, s10, v19
	v_add_co_ci_u32_e64 v20, null, s11, v20, vcc_lo
	v_add_co_u32 v23, vcc_lo, s12, v23
	v_add_co_ci_u32_e64 v24, null, s13, v24, vcc_lo
	global_load_dword v7, v[19:20], off
	v_add_co_u32 v17, vcc_lo, s12, v17
	v_add_co_ci_u32_e64 v18, null, s13, v18, vcc_lo
	v_add_co_u32 v25, vcc_lo, s12, v13
	v_add_co_ci_u32_e64 v26, null, s13, v14, vcc_lo
	s_waitcnt vmcnt(0)
	v_subrev_nc_u32_e32 v7, s2, v7
	v_mul_lo_u32 v21, v7, 11
	v_add_nc_u32_e32 v14, 1, v21
	v_lshlrev_b64 v[19:20], 3, v[21:22]
	v_lshlrev_b64 v[27:28], 3, v[14:15]
	v_add_nc_u32_e32 v14, -9, v12
	v_add_co_u32 v19, vcc_lo, s14, v19
	v_add_co_ci_u32_e64 v20, null, s15, v20, vcc_lo
	v_lshlrev_b64 v[29:30], 3, v[14:15]
	v_subrev_nc_u32_e32 v14, 19, v12
	v_add_co_u32 v27, vcc_lo, s14, v27
	v_add_co_ci_u32_e64 v28, null, s15, v28, vcc_lo
	v_lshlrev_b64 v[31:32], 3, v[14:15]
	v_add_nc_u32_e32 v14, 2, v21
	v_add_co_u32 v29, vcc_lo, s12, v29
	v_add_co_ci_u32_e64 v30, null, s13, v30, vcc_lo
	v_lshlrev_b64 v[33:34], 3, v[14:15]
	v_add_nc_u32_e32 v14, -8, v12
	v_add_co_u32 v31, vcc_lo, s12, v31
	v_add_co_ci_u32_e64 v32, null, s13, v32, vcc_lo
	v_lshlrev_b64 v[35:36], 3, v[14:15]
	v_subrev_nc_u32_e32 v14, 18, v12
	v_add_co_u32 v33, vcc_lo, s14, v33
	v_add_co_ci_u32_e64 v34, null, s15, v34, vcc_lo
	v_lshlrev_b64 v[37:38], 3, v[14:15]
	v_add_nc_u32_e32 v14, 3, v21
	v_add_co_u32 v35, vcc_lo, s12, v35
	v_add_co_ci_u32_e64 v36, null, s13, v36, vcc_lo
	;; [unrolled: 12-line block ×3, first 2 shown]
	v_lshlrev_b64 v[45:46], 3, v[14:15]
	v_add_nc_u32_e32 v14, -6, v12
	v_add_co_u32 v43, vcc_lo, s12, v43
	v_add_co_ci_u32_e64 v44, null, s13, v44, vcc_lo
	v_lshlrev_b64 v[47:48], 3, v[14:15]
	v_add_nc_u32_e32 v14, -16, v12
	v_add_co_u32 v45, vcc_lo, s14, v45
	v_add_co_ci_u32_e64 v46, null, s15, v46, vcc_lo
	v_lshlrev_b64 v[49:50], 3, v[14:15]
	v_add_nc_u32_e32 v14, 5, v21
	v_add_co_u32 v47, vcc_lo, s12, v47
	v_add_co_ci_u32_e64 v48, null, s13, v48, vcc_lo
	v_lshlrev_b64 v[51:52], 3, v[14:15]
	v_add_nc_u32_e32 v14, -5, v12
	v_add_co_u32 v49, vcc_lo, s12, v49
	v_add_co_ci_u32_e64 v50, null, s13, v50, vcc_lo
	v_lshlrev_b64 v[53:54], 3, v[14:15]
	v_add_nc_u32_e32 v14, -15, v12
	v_add_co_u32 v51, vcc_lo, s14, v51
	v_add_co_ci_u32_e64 v52, null, s15, v52, vcc_lo
	v_lshlrev_b64 v[55:56], 3, v[14:15]
	v_add_nc_u32_e32 v14, 6, v21
	v_add_co_u32 v53, vcc_lo, s12, v53
	v_add_co_ci_u32_e64 v54, null, s13, v54, vcc_lo
	;; [unrolled: 12-line block ×3, first 2 shown]
	v_lshlrev_b64 v[13:14], 3, v[14:15]
	v_add_co_u32 v61, vcc_lo, s12, v61
	v_add_co_ci_u32_e64 v62, null, s13, v62, vcc_lo
	v_add_co_u32 v63, vcc_lo, s14, v13
	v_add_co_ci_u32_e64 v64, null, s15, v14, vcc_lo
	global_load_dwordx2 v[13:14], v[17:18], off
	global_load_dwordx2 v[65:66], v[19:20], off
	global_load_dwordx4 v[17:20], v[23:24], off
	global_load_dwordx2 v[22:23], v[27:28], off
	s_clause 0x1
	global_load_dwordx2 v[27:28], v[29:30], off
	global_load_dwordx2 v[29:30], v[31:32], off
	;; [unrolled: 1-line block ×3, first 2 shown]
	s_clause 0x1
	global_load_dwordx2 v[35:36], v[35:36], off
	global_load_dwordx2 v[37:38], v[37:38], off
	s_waitcnt vmcnt(6)
	v_fma_f64 v[7:8], v[17:18], v[65:66], v[8:9]
	v_fma_f64 v[10:11], v[13:14], v[65:66], v[10:11]
	v_add_nc_u32_e32 v14, -3, v12
	v_lshlrev_b64 v[17:18], 3, v[14:15]
	v_add_nc_u32_e32 v14, -13, v12
	v_add_co_u32 v17, vcc_lo, s12, v17
	v_add_co_ci_u32_e64 v18, null, s13, v18, vcc_lo
	s_waitcnt vmcnt(5)
	v_fma_f64 v[7:8], v[19:20], v[22:23], v[7:8]
	v_lshlrev_b64 v[19:20], 3, v[14:15]
	v_add_nc_u32_e32 v14, 8, v21
	s_waitcnt vmcnt(4)
	v_fma_f64 v[9:10], v[27:28], v[22:23], v[10:11]
	v_lshlrev_b64 v[31:32], 3, v[14:15]
	v_add_nc_u32_e32 v14, -2, v12
	v_add_co_u32 v19, vcc_lo, s12, v19
	v_add_co_ci_u32_e64 v20, null, s13, v20, vcc_lo
	v_lshlrev_b64 v[22:23], 3, v[14:15]
	v_add_nc_u32_e32 v14, -12, v12
	v_add_co_u32 v27, vcc_lo, s14, v31
	v_add_co_ci_u32_e64 v28, null, s15, v32, vcc_lo
	v_lshlrev_b64 v[13:14], 3, v[14:15]
	v_add_co_u32 v22, vcc_lo, s12, v22
	v_add_co_ci_u32_e64 v23, null, s13, v23, vcc_lo
	s_waitcnt vmcnt(2)
	v_fma_f64 v[7:8], v[29:30], v[33:34], v[7:8]
	v_add_co_u32 v31, vcc_lo, s12, v13
	v_add_co_ci_u32_e64 v32, null, s13, v14, vcc_lo
	v_add_nc_u32_e32 v14, 9, v21
	s_waitcnt vmcnt(1)
	v_fma_f64 v[9:10], v[35:36], v[33:34], v[9:10]
	v_lshlrev_b64 v[29:30], 3, v[14:15]
	v_add_nc_u32_e32 v14, -1, v12
	v_lshlrev_b64 v[33:34], 3, v[14:15]
	v_add_nc_u32_e32 v14, -11, v12
	v_add_co_u32 v29, vcc_lo, s14, v29
	v_add_co_ci_u32_e64 v30, null, s15, v30, vcc_lo
	v_lshlrev_b64 v[35:36], 3, v[14:15]
	v_add_nc_u32_e32 v14, 10, v21
	v_add_co_u32 v33, vcc_lo, s12, v33
	v_add_co_ci_u32_e64 v34, null, s13, v34, vcc_lo
	v_lshlrev_b64 v[13:14], 3, v[14:15]
	v_add_co_u32 v35, vcc_lo, s12, v35
	v_add_co_ci_u32_e64 v36, null, s13, v36, vcc_lo
	v_add_nc_u32_e32 v12, 0x580, v12
	v_add_co_u32 v13, vcc_lo, s14, v13
	v_add_co_ci_u32_e64 v14, null, s15, v14, vcc_lo
	global_load_dwordx2 v[39:40], v[39:40], off
	s_clause 0x1
	global_load_dwordx2 v[41:42], v[41:42], off
	global_load_dwordx2 v[43:44], v[43:44], off
	global_load_dwordx2 v[45:46], v[45:46], off
	s_clause 0x1
	global_load_dwordx2 v[47:48], v[47:48], off
	global_load_dwordx2 v[49:50], v[49:50], off
	;; [unrolled: 4-line block ×7, first 2 shown]
	global_load_dwordx2 v[33:34], v[35:36], off
	global_load_dwordx2 v[13:14], v[13:14], off
	v_cmp_ge_i32_e32 vcc_lo, v6, v16
	s_or_b32 s0, vcc_lo, s0
	s_waitcnt vmcnt(22)
	v_fma_f64 v[7:8], v[37:38], v[39:40], v[7:8]
	s_waitcnt vmcnt(21)
	v_fma_f64 v[9:10], v[41:42], v[39:40], v[9:10]
	s_waitcnt vmcnt(19)
	v_fma_f64 v[7:8], v[43:44], v[45:46], v[7:8]
	s_waitcnt vmcnt(18)
	v_fma_f64 v[9:10], v[47:48], v[45:46], v[9:10]
	s_waitcnt vmcnt(16)
	v_fma_f64 v[7:8], v[49:50], v[51:52], v[7:8]
	s_waitcnt vmcnt(15)
	v_fma_f64 v[9:10], v[53:54], v[51:52], v[9:10]
	s_waitcnt vmcnt(13)
	v_fma_f64 v[7:8], v[55:56], v[57:58], v[7:8]
	s_waitcnt vmcnt(12)
	v_fma_f64 v[9:10], v[59:60], v[57:58], v[9:10]
	s_waitcnt vmcnt(10)
	v_fma_f64 v[7:8], v[61:62], v[63:64], v[7:8]
	s_waitcnt vmcnt(9)
	v_fma_f64 v[9:10], v[17:18], v[63:64], v[9:10]
	s_waitcnt vmcnt(7)
	v_fma_f64 v[7:8], v[19:20], v[27:28], v[7:8]
	s_waitcnt vmcnt(6)
	v_fma_f64 v[9:10], v[21:22], v[27:28], v[9:10]
	s_waitcnt vmcnt(4)
	v_fma_f64 v[7:8], v[23:24], v[29:30], v[7:8]
	s_waitcnt vmcnt(3)
	v_fma_f64 v[10:11], v[31:32], v[29:30], v[9:10]
	s_waitcnt vmcnt(0)
	v_fma_f64 v[8:9], v[33:34], v[13:14], v[7:8]
	v_fma_f64 v[10:11], v[25:26], v[13:14], v[10:11]
	s_andn2_b32 exec_lo, exec_lo, s0
	s_cbranch_execnz .LBB125_15
; %bb.16:
	s_or_b32 exec_lo, exec_lo, s0
.LBB125_17:
	s_or_b32 exec_lo, exec_lo, s1
.LBB125_18:
	v_mbcnt_lo_u32_b32 v14, -1, 0
	v_or_b32_e32 v6, 32, v14
	v_cmp_gt_i32_e32 vcc_lo, 32, v6
	v_cndmask_b32_e32 v6, v14, v6, vcc_lo
	v_lshlrev_b32_e32 v13, 2, v6
	ds_bpermute_b32 v6, v13, v8
	ds_bpermute_b32 v7, v13, v9
	;; [unrolled: 1-line block ×4, first 2 shown]
	s_waitcnt lgkmcnt(2)
	v_add_f64 v[6:7], v[8:9], v[6:7]
	s_waitcnt lgkmcnt(0)
	v_add_f64 v[8:9], v[10:11], v[12:13]
	v_xor_b32_e32 v10, 16, v14
	v_cmp_gt_i32_e32 vcc_lo, 32, v10
	v_cndmask_b32_e32 v10, v14, v10, vcc_lo
	v_lshlrev_b32_e32 v13, 2, v10
	ds_bpermute_b32 v10, v13, v6
	ds_bpermute_b32 v11, v13, v7
	ds_bpermute_b32 v12, v13, v8
	ds_bpermute_b32 v13, v13, v9
	s_waitcnt lgkmcnt(2)
	v_add_f64 v[6:7], v[6:7], v[10:11]
	v_xor_b32_e32 v10, 8, v14
	s_waitcnt lgkmcnt(0)
	v_add_f64 v[8:9], v[8:9], v[12:13]
	v_cmp_gt_i32_e32 vcc_lo, 32, v10
	v_cndmask_b32_e32 v10, v14, v10, vcc_lo
	v_lshlrev_b32_e32 v13, 2, v10
	ds_bpermute_b32 v10, v13, v6
	ds_bpermute_b32 v11, v13, v7
	ds_bpermute_b32 v12, v13, v8
	ds_bpermute_b32 v13, v13, v9
	s_waitcnt lgkmcnt(2)
	v_add_f64 v[6:7], v[6:7], v[10:11]
	v_xor_b32_e32 v10, 4, v14
	s_waitcnt lgkmcnt(0)
	v_add_f64 v[8:9], v[8:9], v[12:13]
	;; [unrolled: 12-line block ×3, first 2 shown]
	v_cmp_gt_i32_e32 vcc_lo, 32, v10
	v_cndmask_b32_e32 v10, v14, v10, vcc_lo
	v_lshlrev_b32_e32 v13, 2, v10
	ds_bpermute_b32 v10, v13, v6
	ds_bpermute_b32 v11, v13, v7
	;; [unrolled: 1-line block ×4, first 2 shown]
	s_waitcnt lgkmcnt(2)
	v_add_f64 v[6:7], v[6:7], v[10:11]
	s_waitcnt lgkmcnt(0)
	v_add_f64 v[10:11], v[8:9], v[12:13]
	v_xor_b32_e32 v8, 1, v14
	v_cmp_gt_i32_e32 vcc_lo, 32, v8
	v_cndmask_b32_e32 v8, v14, v8, vcc_lo
	v_cmp_eq_u32_e32 vcc_lo, 63, v0
	v_lshlrev_b32_e32 v13, 2, v8
	ds_bpermute_b32 v8, v13, v6
	ds_bpermute_b32 v9, v13, v7
	;; [unrolled: 1-line block ×4, first 2 shown]
	s_and_b32 exec_lo, exec_lo, vcc_lo
	s_cbranch_execz .LBB125_23
; %bb.19:
	s_waitcnt lgkmcnt(2)
	v_add_f64 v[8:9], v[6:7], v[8:9]
	s_waitcnt lgkmcnt(0)
	v_add_f64 v[6:7], v[10:11], v[12:13]
	s_load_dwordx2 s[0:1], s[4:5], 0x38
	s_mov_b32 s2, exec_lo
	v_cmpx_eq_f64_e32 0, v[3:4]
	s_xor_b32 s2, exec_lo, s2
	s_cbranch_execz .LBB125_21
; %bb.20:
	v_lshlrev_b32_e32 v0, 1, v5
	v_mul_f64 v[3:4], v[1:2], v[8:9]
	v_mul_f64 v[5:6], v[1:2], v[6:7]
                                        ; implicit-def: $vgpr8_vgpr9
	v_ashrrev_i32_e32 v1, 31, v0
	v_lshlrev_b64 v[0:1], 3, v[0:1]
	s_waitcnt lgkmcnt(0)
	v_add_co_u32 v0, vcc_lo, s0, v0
	v_add_co_ci_u32_e64 v1, null, s1, v1, vcc_lo
	global_store_dwordx4 v[0:1], v[3:6], off
                                        ; implicit-def: $vgpr5
                                        ; implicit-def: $vgpr1_vgpr2
                                        ; implicit-def: $vgpr3_vgpr4
                                        ; implicit-def: $vgpr6_vgpr7
.LBB125_21:
	s_andn2_saveexec_b32 s2, s2
	s_cbranch_execz .LBB125_23
; %bb.22:
	v_lshlrev_b32_e32 v10, 1, v5
	v_mul_f64 v[8:9], v[1:2], v[8:9]
	v_mul_f64 v[5:6], v[1:2], v[6:7]
	v_ashrrev_i32_e32 v11, 31, v10
	v_lshlrev_b64 v[10:11], 3, v[10:11]
	s_waitcnt lgkmcnt(0)
	v_add_co_u32 v14, vcc_lo, s0, v10
	v_add_co_ci_u32_e64 v15, null, s1, v11, vcc_lo
	global_load_dwordx4 v[10:13], v[14:15], off
	s_waitcnt vmcnt(0)
	v_fma_f64 v[0:1], v[3:4], v[10:11], v[8:9]
	v_fma_f64 v[2:3], v[3:4], v[12:13], v[5:6]
	global_store_dwordx4 v[14:15], v[0:3], off
.LBB125_23:
	s_endpgm
	.section	.rodata,"a",@progbits
	.p2align	6, 0x0
	.amdhsa_kernel _ZN9rocsparseL19gebsrmvn_2xn_kernelILj128ELj11ELj64EdEEvi20rocsparse_direction_NS_24const_host_device_scalarIT2_EEPKiS6_PKS3_S8_S4_PS3_21rocsparse_index_base_b
		.amdhsa_group_segment_fixed_size 0
		.amdhsa_private_segment_fixed_size 0
		.amdhsa_kernarg_size 72
		.amdhsa_user_sgpr_count 6
		.amdhsa_user_sgpr_private_segment_buffer 1
		.amdhsa_user_sgpr_dispatch_ptr 0
		.amdhsa_user_sgpr_queue_ptr 0
		.amdhsa_user_sgpr_kernarg_segment_ptr 1
		.amdhsa_user_sgpr_dispatch_id 0
		.amdhsa_user_sgpr_flat_scratch_init 0
		.amdhsa_user_sgpr_private_segment_size 0
		.amdhsa_wavefront_size32 1
		.amdhsa_uses_dynamic_stack 0
		.amdhsa_system_sgpr_private_segment_wavefront_offset 0
		.amdhsa_system_sgpr_workgroup_id_x 1
		.amdhsa_system_sgpr_workgroup_id_y 0
		.amdhsa_system_sgpr_workgroup_id_z 0
		.amdhsa_system_sgpr_workgroup_info 0
		.amdhsa_system_vgpr_workitem_id 0
		.amdhsa_next_free_vgpr 67
		.amdhsa_next_free_sgpr 16
		.amdhsa_reserve_vcc 1
		.amdhsa_reserve_flat_scratch 0
		.amdhsa_float_round_mode_32 0
		.amdhsa_float_round_mode_16_64 0
		.amdhsa_float_denorm_mode_32 3
		.amdhsa_float_denorm_mode_16_64 3
		.amdhsa_dx10_clamp 1
		.amdhsa_ieee_mode 1
		.amdhsa_fp16_overflow 0
		.amdhsa_workgroup_processor_mode 1
		.amdhsa_memory_ordered 1
		.amdhsa_forward_progress 1
		.amdhsa_shared_vgpr_count 0
		.amdhsa_exception_fp_ieee_invalid_op 0
		.amdhsa_exception_fp_denorm_src 0
		.amdhsa_exception_fp_ieee_div_zero 0
		.amdhsa_exception_fp_ieee_overflow 0
		.amdhsa_exception_fp_ieee_underflow 0
		.amdhsa_exception_fp_ieee_inexact 0
		.amdhsa_exception_int_div_zero 0
	.end_amdhsa_kernel
	.section	.text._ZN9rocsparseL19gebsrmvn_2xn_kernelILj128ELj11ELj64EdEEvi20rocsparse_direction_NS_24const_host_device_scalarIT2_EEPKiS6_PKS3_S8_S4_PS3_21rocsparse_index_base_b,"axG",@progbits,_ZN9rocsparseL19gebsrmvn_2xn_kernelILj128ELj11ELj64EdEEvi20rocsparse_direction_NS_24const_host_device_scalarIT2_EEPKiS6_PKS3_S8_S4_PS3_21rocsparse_index_base_b,comdat
.Lfunc_end125:
	.size	_ZN9rocsparseL19gebsrmvn_2xn_kernelILj128ELj11ELj64EdEEvi20rocsparse_direction_NS_24const_host_device_scalarIT2_EEPKiS6_PKS3_S8_S4_PS3_21rocsparse_index_base_b, .Lfunc_end125-_ZN9rocsparseL19gebsrmvn_2xn_kernelILj128ELj11ELj64EdEEvi20rocsparse_direction_NS_24const_host_device_scalarIT2_EEPKiS6_PKS3_S8_S4_PS3_21rocsparse_index_base_b
                                        ; -- End function
	.set _ZN9rocsparseL19gebsrmvn_2xn_kernelILj128ELj11ELj64EdEEvi20rocsparse_direction_NS_24const_host_device_scalarIT2_EEPKiS6_PKS3_S8_S4_PS3_21rocsparse_index_base_b.num_vgpr, 67
	.set _ZN9rocsparseL19gebsrmvn_2xn_kernelILj128ELj11ELj64EdEEvi20rocsparse_direction_NS_24const_host_device_scalarIT2_EEPKiS6_PKS3_S8_S4_PS3_21rocsparse_index_base_b.num_agpr, 0
	.set _ZN9rocsparseL19gebsrmvn_2xn_kernelILj128ELj11ELj64EdEEvi20rocsparse_direction_NS_24const_host_device_scalarIT2_EEPKiS6_PKS3_S8_S4_PS3_21rocsparse_index_base_b.numbered_sgpr, 16
	.set _ZN9rocsparseL19gebsrmvn_2xn_kernelILj128ELj11ELj64EdEEvi20rocsparse_direction_NS_24const_host_device_scalarIT2_EEPKiS6_PKS3_S8_S4_PS3_21rocsparse_index_base_b.num_named_barrier, 0
	.set _ZN9rocsparseL19gebsrmvn_2xn_kernelILj128ELj11ELj64EdEEvi20rocsparse_direction_NS_24const_host_device_scalarIT2_EEPKiS6_PKS3_S8_S4_PS3_21rocsparse_index_base_b.private_seg_size, 0
	.set _ZN9rocsparseL19gebsrmvn_2xn_kernelILj128ELj11ELj64EdEEvi20rocsparse_direction_NS_24const_host_device_scalarIT2_EEPKiS6_PKS3_S8_S4_PS3_21rocsparse_index_base_b.uses_vcc, 1
	.set _ZN9rocsparseL19gebsrmvn_2xn_kernelILj128ELj11ELj64EdEEvi20rocsparse_direction_NS_24const_host_device_scalarIT2_EEPKiS6_PKS3_S8_S4_PS3_21rocsparse_index_base_b.uses_flat_scratch, 0
	.set _ZN9rocsparseL19gebsrmvn_2xn_kernelILj128ELj11ELj64EdEEvi20rocsparse_direction_NS_24const_host_device_scalarIT2_EEPKiS6_PKS3_S8_S4_PS3_21rocsparse_index_base_b.has_dyn_sized_stack, 0
	.set _ZN9rocsparseL19gebsrmvn_2xn_kernelILj128ELj11ELj64EdEEvi20rocsparse_direction_NS_24const_host_device_scalarIT2_EEPKiS6_PKS3_S8_S4_PS3_21rocsparse_index_base_b.has_recursion, 0
	.set _ZN9rocsparseL19gebsrmvn_2xn_kernelILj128ELj11ELj64EdEEvi20rocsparse_direction_NS_24const_host_device_scalarIT2_EEPKiS6_PKS3_S8_S4_PS3_21rocsparse_index_base_b.has_indirect_call, 0
	.section	.AMDGPU.csdata,"",@progbits
; Kernel info:
; codeLenInByte = 3656
; TotalNumSgprs: 18
; NumVgprs: 67
; ScratchSize: 0
; MemoryBound: 0
; FloatMode: 240
; IeeeMode: 1
; LDSByteSize: 0 bytes/workgroup (compile time only)
; SGPRBlocks: 0
; VGPRBlocks: 8
; NumSGPRsForWavesPerEU: 18
; NumVGPRsForWavesPerEU: 67
; Occupancy: 12
; WaveLimiterHint : 1
; COMPUTE_PGM_RSRC2:SCRATCH_EN: 0
; COMPUTE_PGM_RSRC2:USER_SGPR: 6
; COMPUTE_PGM_RSRC2:TRAP_HANDLER: 0
; COMPUTE_PGM_RSRC2:TGID_X_EN: 1
; COMPUTE_PGM_RSRC2:TGID_Y_EN: 0
; COMPUTE_PGM_RSRC2:TGID_Z_EN: 0
; COMPUTE_PGM_RSRC2:TIDIG_COMP_CNT: 0
	.section	.text._ZN9rocsparseL19gebsrmvn_2xn_kernelILj128ELj12ELj4EdEEvi20rocsparse_direction_NS_24const_host_device_scalarIT2_EEPKiS6_PKS3_S8_S4_PS3_21rocsparse_index_base_b,"axG",@progbits,_ZN9rocsparseL19gebsrmvn_2xn_kernelILj128ELj12ELj4EdEEvi20rocsparse_direction_NS_24const_host_device_scalarIT2_EEPKiS6_PKS3_S8_S4_PS3_21rocsparse_index_base_b,comdat
	.globl	_ZN9rocsparseL19gebsrmvn_2xn_kernelILj128ELj12ELj4EdEEvi20rocsparse_direction_NS_24const_host_device_scalarIT2_EEPKiS6_PKS3_S8_S4_PS3_21rocsparse_index_base_b ; -- Begin function _ZN9rocsparseL19gebsrmvn_2xn_kernelILj128ELj12ELj4EdEEvi20rocsparse_direction_NS_24const_host_device_scalarIT2_EEPKiS6_PKS3_S8_S4_PS3_21rocsparse_index_base_b
	.p2align	8
	.type	_ZN9rocsparseL19gebsrmvn_2xn_kernelILj128ELj12ELj4EdEEvi20rocsparse_direction_NS_24const_host_device_scalarIT2_EEPKiS6_PKS3_S8_S4_PS3_21rocsparse_index_base_b,@function
_ZN9rocsparseL19gebsrmvn_2xn_kernelILj128ELj12ELj4EdEEvi20rocsparse_direction_NS_24const_host_device_scalarIT2_EEPKiS6_PKS3_S8_S4_PS3_21rocsparse_index_base_b: ; @_ZN9rocsparseL19gebsrmvn_2xn_kernelILj128ELj12ELj4EdEEvi20rocsparse_direction_NS_24const_host_device_scalarIT2_EEPKiS6_PKS3_S8_S4_PS3_21rocsparse_index_base_b
; %bb.0:
	s_clause 0x2
	s_load_dwordx2 s[2:3], s[4:5], 0x40
	s_load_dwordx2 s[8:9], s[4:5], 0x8
	;; [unrolled: 1-line block ×3, first 2 shown]
	s_waitcnt lgkmcnt(0)
	s_bitcmp1_b32 s3, 0
	v_mov_b32_e32 v1, s8
	v_mov_b32_e32 v2, s9
	s_cselect_b32 s3, -1, 0
	s_and_b32 vcc_lo, exec_lo, s3
	s_xor_b32 s3, s3, -1
	s_cbranch_vccnz .LBB126_2
; %bb.1:
	v_mov_b32_e32 v1, s8
	v_mov_b32_e32 v2, s9
	flat_load_dwordx2 v[1:2], v[1:2]
.LBB126_2:
	v_mov_b32_e32 v4, s1
	v_mov_b32_e32 v3, s0
	s_andn2_b32 vcc_lo, exec_lo, s3
	s_cbranch_vccnz .LBB126_4
; %bb.3:
	v_mov_b32_e32 v4, s1
	v_mov_b32_e32 v3, s0
	flat_load_dwordx2 v[3:4], v[3:4]
.LBB126_4:
	s_waitcnt vmcnt(0) lgkmcnt(0)
	v_cmp_neq_f64_e32 vcc_lo, 0, v[1:2]
	v_cmp_neq_f64_e64 s0, 1.0, v[3:4]
	s_or_b32 s0, vcc_lo, s0
	s_and_saveexec_b32 s1, s0
	s_cbranch_execz .LBB126_23
; %bb.5:
	s_load_dwordx2 s[0:1], s[4:5], 0x0
	v_lshrrev_b32_e32 v5, 2, v0
	v_lshl_or_b32 v5, s6, 5, v5
	s_waitcnt lgkmcnt(0)
	v_cmp_gt_i32_e32 vcc_lo, s0, v5
	s_and_b32 exec_lo, exec_lo, vcc_lo
	s_cbranch_execz .LBB126_23
; %bb.6:
	s_load_dwordx8 s[8:15], s[4:5], 0x10
	v_ashrrev_i32_e32 v6, 31, v5
	v_and_b32_e32 v0, 3, v0
	s_cmp_lg_u32 s1, 0
	v_lshlrev_b64 v[6:7], 2, v[5:6]
	s_waitcnt lgkmcnt(0)
	v_add_co_u32 v6, vcc_lo, s8, v6
	v_add_co_ci_u32_e64 v7, null, s9, v7, vcc_lo
	global_load_dwordx2 v[6:7], v[6:7], off
	s_waitcnt vmcnt(0)
	v_subrev_nc_u32_e32 v6, s2, v6
	v_subrev_nc_u32_e32 v17, s2, v7
	v_add_nc_u32_e32 v6, v6, v0
	v_cmp_lt_i32_e64 s0, v6, v17
	s_cbranch_scc0 .LBB126_12
; %bb.7:
	v_mov_b32_e32 v10, 0
	v_mov_b32_e32 v8, 0
	;; [unrolled: 1-line block ×4, first 2 shown]
	s_and_saveexec_b32 s1, s0
	s_cbranch_execz .LBB126_11
; %bb.8:
	v_mad_u64_u32 v[12:13], null, v6, 24, 22
	v_mov_b32_e32 v10, 0
	v_mov_b32_e32 v8, 0
	;; [unrolled: 1-line block ×6, first 2 shown]
	s_mov_b32 s3, 0
.LBB126_9:                              ; =>This Inner Loop Header: Depth=1
	v_ashrrev_i32_e32 v16, 31, v15
	v_subrev_nc_u32_e32 v13, 22, v12
	v_mov_b32_e32 v67, v14
	v_lshlrev_b64 v[18:19], 2, v[15:16]
	v_add_nc_u32_e32 v15, 4, v15
	v_add_co_u32 v18, vcc_lo, s10, v18
	v_add_co_ci_u32_e64 v19, null, s11, v19, vcc_lo
	global_load_dword v7, v[18:19], off
	v_lshlrev_b64 v[18:19], 3, v[13:14]
	v_add_nc_u32_e32 v13, -14, v12
	v_lshlrev_b64 v[42:43], 3, v[13:14]
	v_add_co_u32 v38, vcc_lo, s12, v18
	v_add_co_ci_u32_e64 v39, null, s13, v19, vcc_lo
	s_waitcnt vmcnt(0)
	v_subrev_nc_u32_e32 v7, s2, v7
	v_mul_lo_u32 v66, v7, 12
	v_lshlrev_b64 v[20:21], 3, v[66:67]
	v_add_nc_u32_e32 v13, 4, v66
	v_lshlrev_b64 v[44:45], 3, v[13:14]
	v_add_co_u32 v34, vcc_lo, s14, v20
	v_add_co_ci_u32_e64 v35, null, s15, v21, vcc_lo
	s_clause 0x1
	global_load_dwordx4 v[18:21], v[38:39], off offset:16
	global_load_dwordx4 v[22:25], v[38:39], off
	global_load_dwordx4 v[26:29], v[34:35], off
	global_load_dwordx4 v[30:33], v[38:39], off offset:32
	global_load_dwordx4 v[34:37], v[34:35], off offset:16
	;; [unrolled: 1-line block ×3, first 2 shown]
	v_add_co_u32 v42, vcc_lo, s12, v42
	v_add_co_ci_u32_e64 v43, null, s13, v43, vcc_lo
	v_add_co_u32 v54, vcc_lo, s14, v44
	v_add_co_ci_u32_e64 v55, null, s15, v45, vcc_lo
	global_load_dwordx4 v[42:45], v[42:43], off
	global_load_dwordx4 v[46:49], v[54:55], off
	v_add_nc_u32_e32 v13, -12, v12
	v_lshlrev_b64 v[50:51], 3, v[13:14]
	v_add_nc_u32_e32 v13, -10, v12
	v_add_co_u32 v50, vcc_lo, s12, v50
	v_add_co_ci_u32_e64 v51, null, s13, v51, vcc_lo
	v_lshlrev_b64 v[56:57], 3, v[13:14]
	v_add_nc_u32_e32 v13, -8, v12
	global_load_dwordx4 v[50:53], v[50:51], off
	v_add_co_u32 v58, vcc_lo, s12, v56
	v_add_co_ci_u32_e64 v59, null, s13, v57, vcc_lo
	global_load_dwordx4 v[54:57], v[54:55], off offset:16
	global_load_dwordx4 v[58:61], v[58:59], off
	v_lshlrev_b64 v[62:63], 3, v[13:14]
	v_add_nc_u32_e32 v13, -6, v12
	v_add_co_u32 v62, vcc_lo, s12, v62
	v_add_co_ci_u32_e64 v63, null, s13, v63, vcc_lo
	v_lshlrev_b64 v[67:68], 3, v[13:14]
	v_add_nc_u32_e32 v13, 8, v66
	global_load_dwordx4 v[62:65], v[62:63], off
	v_lshlrev_b64 v[69:70], 3, v[13:14]
	v_add_co_u32 v66, vcc_lo, s12, v67
	v_add_co_ci_u32_e64 v67, null, s13, v68, vcc_lo
	v_add_nc_u32_e32 v13, -4, v12
	v_add_co_u32 v78, vcc_lo, s14, v69
	v_add_co_ci_u32_e64 v79, null, s15, v70, vcc_lo
	global_load_dwordx4 v[66:69], v[66:67], off
	global_load_dwordx4 v[70:73], v[78:79], off
	v_lshlrev_b64 v[74:75], 3, v[13:14]
	v_add_nc_u32_e32 v13, -2, v12
	v_add_co_u32 v74, vcc_lo, s12, v74
	v_add_co_ci_u32_e64 v75, null, s13, v75, vcc_lo
	v_lshlrev_b64 v[80:81], 3, v[13:14]
	v_mov_b32_e32 v13, v14
	global_load_dwordx4 v[74:77], v[74:75], off
	v_add_co_u32 v82, vcc_lo, s12, v80
	v_add_co_ci_u32_e64 v83, null, s13, v81, vcc_lo
	global_load_dwordx4 v[78:81], v[78:79], off offset:16
	global_load_dwordx4 v[82:85], v[82:83], off
	v_lshlrev_b64 v[86:87], 3, v[12:13]
	v_add_nc_u32_e32 v12, 0x60, v12
	v_add_co_u32 v86, vcc_lo, s12, v86
	v_add_co_ci_u32_e64 v87, null, s13, v87, vcc_lo
	v_cmp_ge_i32_e32 vcc_lo, v15, v17
	global_load_dwordx4 v[86:89], v[86:87], off
	s_or_b32 s3, vcc_lo, s3
	s_waitcnt vmcnt(15)
	v_fma_f64 v[10:11], v[22:23], v[26:27], v[10:11]
	v_fma_f64 v[7:8], v[24:25], v[26:27], v[8:9]
	;; [unrolled: 1-line block ×4, first 2 shown]
	s_waitcnt vmcnt(13)
	v_fma_f64 v[9:10], v[30:31], v[34:35], v[9:10]
	v_fma_f64 v[7:8], v[32:33], v[34:35], v[7:8]
	s_waitcnt vmcnt(12)
	v_fma_f64 v[9:10], v[38:39], v[36:37], v[9:10]
	v_fma_f64 v[7:8], v[40:41], v[36:37], v[7:8]
	;; [unrolled: 3-line block ×10, first 2 shown]
	s_andn2_b32 exec_lo, exec_lo, s3
	s_cbranch_execnz .LBB126_9
; %bb.10:
	s_or_b32 exec_lo, exec_lo, s3
.LBB126_11:
	s_or_b32 exec_lo, exec_lo, s1
	s_cbranch_execz .LBB126_13
	s_branch .LBB126_18
.LBB126_12:
                                        ; implicit-def: $vgpr10_vgpr11
                                        ; implicit-def: $vgpr8_vgpr9
.LBB126_13:
	v_mov_b32_e32 v10, 0
	v_mov_b32_e32 v8, 0
	v_mov_b32_e32 v11, 0
	v_mov_b32_e32 v9, 0
	s_and_saveexec_b32 s1, s0
	s_cbranch_execz .LBB126_17
; %bb.14:
	v_mad_u64_u32 v[12:13], null, v6, 24, 23
	v_mov_b32_e32 v10, 0
	v_mov_b32_e32 v8, 0
	;; [unrolled: 1-line block ×5, first 2 shown]
	s_mov_b32 s0, 0
.LBB126_15:                             ; =>This Inner Loop Header: Depth=1
	v_ashrrev_i32_e32 v7, 31, v6
	v_subrev_nc_u32_e32 v13, 23, v12
	v_mov_b32_e32 v51, v14
	v_lshlrev_b64 v[15:16], 2, v[6:7]
	v_lshlrev_b64 v[18:19], 3, v[13:14]
	v_add_nc_u32_e32 v13, -10, v12
	v_add_nc_u32_e32 v6, 4, v6
	v_add_co_u32 v15, vcc_lo, s10, v15
	v_add_co_ci_u32_e64 v16, null, s11, v16, vcc_lo
	v_lshlrev_b64 v[26:27], 3, v[13:14]
	v_add_co_u32 v34, vcc_lo, s12, v18
	global_load_dword v7, v[15:16], off
	v_add_nc_u32_e32 v15, -11, v12
	v_mov_b32_e32 v16, v14
	v_add_co_ci_u32_e64 v35, null, s13, v19, vcc_lo
	v_add_nc_u32_e32 v13, -9, v12
	v_lshlrev_b64 v[15:16], 3, v[15:16]
	v_add_co_u32 v15, vcc_lo, s12, v15
	v_add_co_ci_u32_e64 v16, null, s13, v16, vcc_lo
	v_add_co_u32 v30, vcc_lo, s12, v26
	v_add_co_ci_u32_e64 v31, null, s13, v27, vcc_lo
	s_clause 0x2
	global_load_dwordx4 v[18:21], v[34:35], off offset:16
	global_load_dwordx4 v[22:25], v[34:35], off
	global_load_dwordx2 v[15:16], v[15:16], off
	s_waitcnt vmcnt(3)
	v_subrev_nc_u32_e32 v7, s2, v7
	v_mul_lo_u32 v50, v7, 12
	v_lshlrev_b64 v[26:27], 3, v[50:51]
	v_add_co_u32 v38, vcc_lo, s14, v26
	v_add_co_ci_u32_e64 v39, null, s15, v27, vcc_lo
	global_load_dwordx4 v[26:29], v[38:39], off
	global_load_dwordx2 v[54:55], v[30:31], off
	v_lshlrev_b64 v[30:31], 3, v[13:14]
	v_add_nc_u32_e32 v13, -8, v12
	v_lshlrev_b64 v[42:43], 3, v[13:14]
	v_add_co_u32 v40, vcc_lo, s12, v30
	v_add_co_ci_u32_e64 v41, null, s13, v31, vcc_lo
	s_clause 0x2
	global_load_dwordx4 v[30:33], v[34:35], off offset:48
	global_load_dwordx4 v[34:37], v[34:35], off offset:32
	global_load_dwordx2 v[56:57], v[40:41], off
	global_load_dwordx4 v[38:41], v[38:39], off offset:16
	v_add_co_u32 v42, vcc_lo, s12, v42
	v_add_co_ci_u32_e64 v43, null, s13, v43, vcc_lo
	v_add_nc_u32_e32 v13, 4, v50
	global_load_dwordx2 v[58:59], v[42:43], off
	v_lshlrev_b64 v[42:43], 3, v[13:14]
	v_add_nc_u32_e32 v13, -7, v12
	v_lshlrev_b64 v[44:45], 3, v[13:14]
	v_add_co_u32 v46, vcc_lo, s14, v42
	v_add_co_ci_u32_e64 v47, null, s15, v43, vcc_lo
	v_add_nc_u32_e32 v13, -6, v12
	v_add_co_u32 v60, vcc_lo, s12, v44
	v_add_co_ci_u32_e64 v61, null, s13, v45, vcc_lo
	s_clause 0x1
	global_load_dwordx4 v[42:45], v[46:47], off offset:16
	global_load_dwordx4 v[46:49], v[46:47], off
	global_load_dwordx2 v[60:61], v[60:61], off
	v_lshlrev_b64 v[51:52], 3, v[13:14]
	v_add_nc_u32_e32 v13, -5, v12
	v_add_co_u32 v51, vcc_lo, s12, v51
	v_add_co_ci_u32_e64 v52, null, s13, v52, vcc_lo
	v_lshlrev_b64 v[62:63], 3, v[13:14]
	v_add_nc_u32_e32 v13, -4, v12
	global_load_dwordx2 v[66:67], v[51:52], off
	v_add_co_u32 v62, vcc_lo, s12, v62
	v_lshlrev_b64 v[64:65], 3, v[13:14]
	v_add_co_ci_u32_e64 v63, null, s13, v63, vcc_lo
	v_add_nc_u32_e32 v13, -15, v12
	global_load_dwordx2 v[62:63], v[62:63], off
	v_add_co_u32 v64, vcc_lo, s12, v64
	v_add_co_ci_u32_e64 v65, null, s13, v65, vcc_lo
	global_load_dwordx2 v[64:65], v[64:65], off
	v_lshlrev_b64 v[51:52], 3, v[13:14]
	v_add_nc_u32_e32 v13, 8, v50
	v_lshlrev_b64 v[68:69], 3, v[13:14]
	v_add_nc_u32_e32 v13, -3, v12
	v_add_co_u32 v50, vcc_lo, s12, v51
	v_add_co_ci_u32_e64 v51, null, s13, v52, vcc_lo
	v_lshlrev_b64 v[52:53], 3, v[13:14]
	v_add_nc_u32_e32 v13, -14, v12
	v_add_co_u32 v68, vcc_lo, s14, v68
	v_add_co_ci_u32_e64 v69, null, s15, v69, vcc_lo
	;; [unrolled: 4-line block ×5, first 2 shown]
	v_add_co_u32 v78, vcc_lo, s12, v78
	global_load_dwordx2 v[70:71], v[50:51], off
	v_add_co_ci_u32_e64 v79, null, s13, v79, vcc_lo
	global_load_dwordx4 v[50:53], v[68:69], off offset:16
	s_waitcnt vmcnt(14)
	v_fma_f64 v[10:11], v[22:23], v[26:27], v[10:11]
	v_lshlrev_b64 v[22:23], 3, v[13:14]
	v_mov_b32_e32 v13, v14
	v_fma_f64 v[7:8], v[15:16], v[26:27], v[8:9]
	v_lshlrev_b64 v[15:16], 3, v[12:13]
	v_add_co_u32 v80, vcc_lo, s12, v22
	v_add_co_ci_u32_e64 v81, null, s13, v23, vcc_lo
	v_add_nc_u32_e32 v13, -12, v12
	v_add_co_u32 v15, vcc_lo, s12, v15
	v_add_co_ci_u32_e64 v16, null, s13, v16, vcc_lo
	v_lshlrev_b64 v[26:27], 3, v[13:14]
	v_add_nc_u32_e32 v12, 0x60, v12
	v_fma_f64 v[10:11], v[24:25], v[28:29], v[10:11]
	global_load_dwordx4 v[22:25], v[68:69], off
	s_clause 0x4
	global_load_dwordx2 v[68:69], v[74:75], off
	global_load_dwordx2 v[72:73], v[72:73], off
	;; [unrolled: 1-line block ×5, first 2 shown]
	v_add_co_u32 v26, vcc_lo, s12, v26
	v_add_co_ci_u32_e64 v27, null, s13, v27, vcc_lo
	s_clause 0x1
	global_load_dwordx2 v[26:27], v[26:27], off
	global_load_dwordx2 v[15:16], v[15:16], off
	s_waitcnt vmcnt(21)
	v_fma_f64 v[7:8], v[54:55], v[28:29], v[7:8]
	v_cmp_ge_i32_e32 vcc_lo, v6, v17
	s_or_b32 s0, vcc_lo, s0
	s_waitcnt vmcnt(17)
	v_fma_f64 v[9:10], v[18:19], v[38:39], v[10:11]
	v_fma_f64 v[7:8], v[56:57], v[38:39], v[7:8]
	;; [unrolled: 1-line block ×3, first 2 shown]
	s_waitcnt vmcnt(16)
	v_fma_f64 v[7:8], v[58:59], v[40:41], v[7:8]
	s_waitcnt vmcnt(14)
	v_fma_f64 v[9:10], v[34:35], v[46:47], v[9:10]
	;; [unrolled: 2-line block ×3, first 2 shown]
	v_fma_f64 v[9:10], v[36:37], v[48:49], v[9:10]
	s_waitcnt vmcnt(12)
	v_fma_f64 v[7:8], v[66:67], v[48:49], v[7:8]
	v_fma_f64 v[9:10], v[30:31], v[42:43], v[9:10]
	s_waitcnt vmcnt(11)
	v_fma_f64 v[7:8], v[62:63], v[42:43], v[7:8]
	;; [unrolled: 3-line block ×3, first 2 shown]
	s_waitcnt vmcnt(7)
	v_fma_f64 v[9:10], v[70:71], v[22:23], v[9:10]
	s_waitcnt vmcnt(6)
	v_fma_f64 v[7:8], v[68:69], v[22:23], v[7:8]
	;; [unrolled: 2-line block ×8, first 2 shown]
	s_andn2_b32 exec_lo, exec_lo, s0
	s_cbranch_execnz .LBB126_15
; %bb.16:
	s_or_b32 exec_lo, exec_lo, s0
.LBB126_17:
	s_or_b32 exec_lo, exec_lo, s1
.LBB126_18:
	v_mbcnt_lo_u32_b32 v14, -1, 0
	v_xor_b32_e32 v6, 2, v14
	v_cmp_gt_i32_e32 vcc_lo, 32, v6
	v_cndmask_b32_e32 v6, v14, v6, vcc_lo
	v_lshlrev_b32_e32 v13, 2, v6
	ds_bpermute_b32 v6, v13, v10
	ds_bpermute_b32 v7, v13, v11
	;; [unrolled: 1-line block ×4, first 2 shown]
	s_waitcnt lgkmcnt(2)
	v_add_f64 v[6:7], v[10:11], v[6:7]
	s_waitcnt lgkmcnt(0)
	v_add_f64 v[10:11], v[8:9], v[12:13]
	v_xor_b32_e32 v8, 1, v14
	v_cmp_gt_i32_e32 vcc_lo, 32, v8
	v_cndmask_b32_e32 v8, v14, v8, vcc_lo
	v_cmp_eq_u32_e32 vcc_lo, 3, v0
	v_lshlrev_b32_e32 v13, 2, v8
	ds_bpermute_b32 v8, v13, v6
	ds_bpermute_b32 v9, v13, v7
	ds_bpermute_b32 v12, v13, v10
	ds_bpermute_b32 v13, v13, v11
	s_and_b32 exec_lo, exec_lo, vcc_lo
	s_cbranch_execz .LBB126_23
; %bb.19:
	s_waitcnt lgkmcnt(2)
	v_add_f64 v[8:9], v[6:7], v[8:9]
	s_waitcnt lgkmcnt(0)
	v_add_f64 v[6:7], v[10:11], v[12:13]
	s_load_dwordx2 s[0:1], s[4:5], 0x38
	s_mov_b32 s2, exec_lo
	v_cmpx_eq_f64_e32 0, v[3:4]
	s_xor_b32 s2, exec_lo, s2
	s_cbranch_execz .LBB126_21
; %bb.20:
	v_lshlrev_b32_e32 v0, 1, v5
	v_mul_f64 v[3:4], v[1:2], v[8:9]
	v_mul_f64 v[5:6], v[1:2], v[6:7]
                                        ; implicit-def: $vgpr8_vgpr9
	v_ashrrev_i32_e32 v1, 31, v0
	v_lshlrev_b64 v[0:1], 3, v[0:1]
	s_waitcnt lgkmcnt(0)
	v_add_co_u32 v0, vcc_lo, s0, v0
	v_add_co_ci_u32_e64 v1, null, s1, v1, vcc_lo
	global_store_dwordx4 v[0:1], v[3:6], off
                                        ; implicit-def: $vgpr5
                                        ; implicit-def: $vgpr1_vgpr2
                                        ; implicit-def: $vgpr3_vgpr4
                                        ; implicit-def: $vgpr6_vgpr7
.LBB126_21:
	s_andn2_saveexec_b32 s2, s2
	s_cbranch_execz .LBB126_23
; %bb.22:
	v_lshlrev_b32_e32 v10, 1, v5
	v_mul_f64 v[8:9], v[1:2], v[8:9]
	v_mul_f64 v[5:6], v[1:2], v[6:7]
	v_ashrrev_i32_e32 v11, 31, v10
	v_lshlrev_b64 v[10:11], 3, v[10:11]
	s_waitcnt lgkmcnt(0)
	v_add_co_u32 v14, vcc_lo, s0, v10
	v_add_co_ci_u32_e64 v15, null, s1, v11, vcc_lo
	global_load_dwordx4 v[10:13], v[14:15], off
	s_waitcnt vmcnt(0)
	v_fma_f64 v[0:1], v[3:4], v[10:11], v[8:9]
	v_fma_f64 v[2:3], v[3:4], v[12:13], v[5:6]
	global_store_dwordx4 v[14:15], v[0:3], off
.LBB126_23:
	s_endpgm
	.section	.rodata,"a",@progbits
	.p2align	6, 0x0
	.amdhsa_kernel _ZN9rocsparseL19gebsrmvn_2xn_kernelILj128ELj12ELj4EdEEvi20rocsparse_direction_NS_24const_host_device_scalarIT2_EEPKiS6_PKS3_S8_S4_PS3_21rocsparse_index_base_b
		.amdhsa_group_segment_fixed_size 0
		.amdhsa_private_segment_fixed_size 0
		.amdhsa_kernarg_size 72
		.amdhsa_user_sgpr_count 6
		.amdhsa_user_sgpr_private_segment_buffer 1
		.amdhsa_user_sgpr_dispatch_ptr 0
		.amdhsa_user_sgpr_queue_ptr 0
		.amdhsa_user_sgpr_kernarg_segment_ptr 1
		.amdhsa_user_sgpr_dispatch_id 0
		.amdhsa_user_sgpr_flat_scratch_init 0
		.amdhsa_user_sgpr_private_segment_size 0
		.amdhsa_wavefront_size32 1
		.amdhsa_uses_dynamic_stack 0
		.amdhsa_system_sgpr_private_segment_wavefront_offset 0
		.amdhsa_system_sgpr_workgroup_id_x 1
		.amdhsa_system_sgpr_workgroup_id_y 0
		.amdhsa_system_sgpr_workgroup_id_z 0
		.amdhsa_system_sgpr_workgroup_info 0
		.amdhsa_system_vgpr_workitem_id 0
		.amdhsa_next_free_vgpr 90
		.amdhsa_next_free_sgpr 16
		.amdhsa_reserve_vcc 1
		.amdhsa_reserve_flat_scratch 0
		.amdhsa_float_round_mode_32 0
		.amdhsa_float_round_mode_16_64 0
		.amdhsa_float_denorm_mode_32 3
		.amdhsa_float_denorm_mode_16_64 3
		.amdhsa_dx10_clamp 1
		.amdhsa_ieee_mode 1
		.amdhsa_fp16_overflow 0
		.amdhsa_workgroup_processor_mode 1
		.amdhsa_memory_ordered 1
		.amdhsa_forward_progress 1
		.amdhsa_shared_vgpr_count 0
		.amdhsa_exception_fp_ieee_invalid_op 0
		.amdhsa_exception_fp_denorm_src 0
		.amdhsa_exception_fp_ieee_div_zero 0
		.amdhsa_exception_fp_ieee_overflow 0
		.amdhsa_exception_fp_ieee_underflow 0
		.amdhsa_exception_fp_ieee_inexact 0
		.amdhsa_exception_int_div_zero 0
	.end_amdhsa_kernel
	.section	.text._ZN9rocsparseL19gebsrmvn_2xn_kernelILj128ELj12ELj4EdEEvi20rocsparse_direction_NS_24const_host_device_scalarIT2_EEPKiS6_PKS3_S8_S4_PS3_21rocsparse_index_base_b,"axG",@progbits,_ZN9rocsparseL19gebsrmvn_2xn_kernelILj128ELj12ELj4EdEEvi20rocsparse_direction_NS_24const_host_device_scalarIT2_EEPKiS6_PKS3_S8_S4_PS3_21rocsparse_index_base_b,comdat
.Lfunc_end126:
	.size	_ZN9rocsparseL19gebsrmvn_2xn_kernelILj128ELj12ELj4EdEEvi20rocsparse_direction_NS_24const_host_device_scalarIT2_EEPKiS6_PKS3_S8_S4_PS3_21rocsparse_index_base_b, .Lfunc_end126-_ZN9rocsparseL19gebsrmvn_2xn_kernelILj128ELj12ELj4EdEEvi20rocsparse_direction_NS_24const_host_device_scalarIT2_EEPKiS6_PKS3_S8_S4_PS3_21rocsparse_index_base_b
                                        ; -- End function
	.set _ZN9rocsparseL19gebsrmvn_2xn_kernelILj128ELj12ELj4EdEEvi20rocsparse_direction_NS_24const_host_device_scalarIT2_EEPKiS6_PKS3_S8_S4_PS3_21rocsparse_index_base_b.num_vgpr, 90
	.set _ZN9rocsparseL19gebsrmvn_2xn_kernelILj128ELj12ELj4EdEEvi20rocsparse_direction_NS_24const_host_device_scalarIT2_EEPKiS6_PKS3_S8_S4_PS3_21rocsparse_index_base_b.num_agpr, 0
	.set _ZN9rocsparseL19gebsrmvn_2xn_kernelILj128ELj12ELj4EdEEvi20rocsparse_direction_NS_24const_host_device_scalarIT2_EEPKiS6_PKS3_S8_S4_PS3_21rocsparse_index_base_b.numbered_sgpr, 16
	.set _ZN9rocsparseL19gebsrmvn_2xn_kernelILj128ELj12ELj4EdEEvi20rocsparse_direction_NS_24const_host_device_scalarIT2_EEPKiS6_PKS3_S8_S4_PS3_21rocsparse_index_base_b.num_named_barrier, 0
	.set _ZN9rocsparseL19gebsrmvn_2xn_kernelILj128ELj12ELj4EdEEvi20rocsparse_direction_NS_24const_host_device_scalarIT2_EEPKiS6_PKS3_S8_S4_PS3_21rocsparse_index_base_b.private_seg_size, 0
	.set _ZN9rocsparseL19gebsrmvn_2xn_kernelILj128ELj12ELj4EdEEvi20rocsparse_direction_NS_24const_host_device_scalarIT2_EEPKiS6_PKS3_S8_S4_PS3_21rocsparse_index_base_b.uses_vcc, 1
	.set _ZN9rocsparseL19gebsrmvn_2xn_kernelILj128ELj12ELj4EdEEvi20rocsparse_direction_NS_24const_host_device_scalarIT2_EEPKiS6_PKS3_S8_S4_PS3_21rocsparse_index_base_b.uses_flat_scratch, 0
	.set _ZN9rocsparseL19gebsrmvn_2xn_kernelILj128ELj12ELj4EdEEvi20rocsparse_direction_NS_24const_host_device_scalarIT2_EEPKiS6_PKS3_S8_S4_PS3_21rocsparse_index_base_b.has_dyn_sized_stack, 0
	.set _ZN9rocsparseL19gebsrmvn_2xn_kernelILj128ELj12ELj4EdEEvi20rocsparse_direction_NS_24const_host_device_scalarIT2_EEPKiS6_PKS3_S8_S4_PS3_21rocsparse_index_base_b.has_recursion, 0
	.set _ZN9rocsparseL19gebsrmvn_2xn_kernelILj128ELj12ELj4EdEEvi20rocsparse_direction_NS_24const_host_device_scalarIT2_EEPKiS6_PKS3_S8_S4_PS3_21rocsparse_index_base_b.has_indirect_call, 0
	.section	.AMDGPU.csdata,"",@progbits
; Kernel info:
; codeLenInByte = 2676
; TotalNumSgprs: 18
; NumVgprs: 90
; ScratchSize: 0
; MemoryBound: 1
; FloatMode: 240
; IeeeMode: 1
; LDSByteSize: 0 bytes/workgroup (compile time only)
; SGPRBlocks: 0
; VGPRBlocks: 11
; NumSGPRsForWavesPerEU: 18
; NumVGPRsForWavesPerEU: 90
; Occupancy: 10
; WaveLimiterHint : 1
; COMPUTE_PGM_RSRC2:SCRATCH_EN: 0
; COMPUTE_PGM_RSRC2:USER_SGPR: 6
; COMPUTE_PGM_RSRC2:TRAP_HANDLER: 0
; COMPUTE_PGM_RSRC2:TGID_X_EN: 1
; COMPUTE_PGM_RSRC2:TGID_Y_EN: 0
; COMPUTE_PGM_RSRC2:TGID_Z_EN: 0
; COMPUTE_PGM_RSRC2:TIDIG_COMP_CNT: 0
	.section	.text._ZN9rocsparseL19gebsrmvn_2xn_kernelILj128ELj12ELj8EdEEvi20rocsparse_direction_NS_24const_host_device_scalarIT2_EEPKiS6_PKS3_S8_S4_PS3_21rocsparse_index_base_b,"axG",@progbits,_ZN9rocsparseL19gebsrmvn_2xn_kernelILj128ELj12ELj8EdEEvi20rocsparse_direction_NS_24const_host_device_scalarIT2_EEPKiS6_PKS3_S8_S4_PS3_21rocsparse_index_base_b,comdat
	.globl	_ZN9rocsparseL19gebsrmvn_2xn_kernelILj128ELj12ELj8EdEEvi20rocsparse_direction_NS_24const_host_device_scalarIT2_EEPKiS6_PKS3_S8_S4_PS3_21rocsparse_index_base_b ; -- Begin function _ZN9rocsparseL19gebsrmvn_2xn_kernelILj128ELj12ELj8EdEEvi20rocsparse_direction_NS_24const_host_device_scalarIT2_EEPKiS6_PKS3_S8_S4_PS3_21rocsparse_index_base_b
	.p2align	8
	.type	_ZN9rocsparseL19gebsrmvn_2xn_kernelILj128ELj12ELj8EdEEvi20rocsparse_direction_NS_24const_host_device_scalarIT2_EEPKiS6_PKS3_S8_S4_PS3_21rocsparse_index_base_b,@function
_ZN9rocsparseL19gebsrmvn_2xn_kernelILj128ELj12ELj8EdEEvi20rocsparse_direction_NS_24const_host_device_scalarIT2_EEPKiS6_PKS3_S8_S4_PS3_21rocsparse_index_base_b: ; @_ZN9rocsparseL19gebsrmvn_2xn_kernelILj128ELj12ELj8EdEEvi20rocsparse_direction_NS_24const_host_device_scalarIT2_EEPKiS6_PKS3_S8_S4_PS3_21rocsparse_index_base_b
; %bb.0:
	s_clause 0x2
	s_load_dwordx2 s[2:3], s[4:5], 0x40
	s_load_dwordx2 s[8:9], s[4:5], 0x8
	;; [unrolled: 1-line block ×3, first 2 shown]
	s_waitcnt lgkmcnt(0)
	s_bitcmp1_b32 s3, 0
	v_mov_b32_e32 v1, s8
	v_mov_b32_e32 v2, s9
	s_cselect_b32 s3, -1, 0
	s_and_b32 vcc_lo, exec_lo, s3
	s_xor_b32 s3, s3, -1
	s_cbranch_vccnz .LBB127_2
; %bb.1:
	v_mov_b32_e32 v1, s8
	v_mov_b32_e32 v2, s9
	flat_load_dwordx2 v[1:2], v[1:2]
.LBB127_2:
	v_mov_b32_e32 v4, s1
	v_mov_b32_e32 v3, s0
	s_andn2_b32 vcc_lo, exec_lo, s3
	s_cbranch_vccnz .LBB127_4
; %bb.3:
	v_mov_b32_e32 v4, s1
	v_mov_b32_e32 v3, s0
	flat_load_dwordx2 v[3:4], v[3:4]
.LBB127_4:
	s_waitcnt vmcnt(0) lgkmcnt(0)
	v_cmp_neq_f64_e32 vcc_lo, 0, v[1:2]
	v_cmp_neq_f64_e64 s0, 1.0, v[3:4]
	s_or_b32 s0, vcc_lo, s0
	s_and_saveexec_b32 s1, s0
	s_cbranch_execz .LBB127_23
; %bb.5:
	s_load_dwordx2 s[0:1], s[4:5], 0x0
	v_lshrrev_b32_e32 v5, 3, v0
	v_lshl_or_b32 v5, s6, 4, v5
	s_waitcnt lgkmcnt(0)
	v_cmp_gt_i32_e32 vcc_lo, s0, v5
	s_and_b32 exec_lo, exec_lo, vcc_lo
	s_cbranch_execz .LBB127_23
; %bb.6:
	s_load_dwordx8 s[8:15], s[4:5], 0x10
	v_ashrrev_i32_e32 v6, 31, v5
	v_and_b32_e32 v0, 7, v0
	s_cmp_lg_u32 s1, 0
	v_lshlrev_b64 v[6:7], 2, v[5:6]
	s_waitcnt lgkmcnt(0)
	v_add_co_u32 v6, vcc_lo, s8, v6
	v_add_co_ci_u32_e64 v7, null, s9, v7, vcc_lo
	global_load_dwordx2 v[6:7], v[6:7], off
	s_waitcnt vmcnt(0)
	v_subrev_nc_u32_e32 v6, s2, v6
	v_subrev_nc_u32_e32 v17, s2, v7
	v_add_nc_u32_e32 v6, v6, v0
	v_cmp_lt_i32_e64 s0, v6, v17
	s_cbranch_scc0 .LBB127_12
; %bb.7:
	v_mov_b32_e32 v10, 0
	v_mov_b32_e32 v8, 0
	;; [unrolled: 1-line block ×4, first 2 shown]
	s_and_saveexec_b32 s1, s0
	s_cbranch_execz .LBB127_11
; %bb.8:
	v_mad_u64_u32 v[12:13], null, v6, 24, 22
	v_mov_b32_e32 v10, 0
	v_mov_b32_e32 v8, 0
	;; [unrolled: 1-line block ×6, first 2 shown]
	s_mov_b32 s3, 0
.LBB127_9:                              ; =>This Inner Loop Header: Depth=1
	v_ashrrev_i32_e32 v16, 31, v15
	v_subrev_nc_u32_e32 v13, 22, v12
	v_mov_b32_e32 v67, v14
	v_lshlrev_b64 v[18:19], 2, v[15:16]
	v_add_nc_u32_e32 v15, 8, v15
	v_add_co_u32 v18, vcc_lo, s10, v18
	v_add_co_ci_u32_e64 v19, null, s11, v19, vcc_lo
	global_load_dword v7, v[18:19], off
	v_lshlrev_b64 v[18:19], 3, v[13:14]
	v_add_nc_u32_e32 v13, -14, v12
	v_lshlrev_b64 v[42:43], 3, v[13:14]
	v_add_co_u32 v38, vcc_lo, s12, v18
	v_add_co_ci_u32_e64 v39, null, s13, v19, vcc_lo
	s_waitcnt vmcnt(0)
	v_subrev_nc_u32_e32 v7, s2, v7
	v_mul_lo_u32 v66, v7, 12
	v_lshlrev_b64 v[20:21], 3, v[66:67]
	v_add_nc_u32_e32 v13, 4, v66
	v_lshlrev_b64 v[44:45], 3, v[13:14]
	v_add_co_u32 v34, vcc_lo, s14, v20
	v_add_co_ci_u32_e64 v35, null, s15, v21, vcc_lo
	s_clause 0x1
	global_load_dwordx4 v[18:21], v[38:39], off offset:16
	global_load_dwordx4 v[22:25], v[38:39], off
	global_load_dwordx4 v[26:29], v[34:35], off
	global_load_dwordx4 v[30:33], v[38:39], off offset:32
	global_load_dwordx4 v[34:37], v[34:35], off offset:16
	;; [unrolled: 1-line block ×3, first 2 shown]
	v_add_co_u32 v42, vcc_lo, s12, v42
	v_add_co_ci_u32_e64 v43, null, s13, v43, vcc_lo
	v_add_co_u32 v54, vcc_lo, s14, v44
	v_add_co_ci_u32_e64 v55, null, s15, v45, vcc_lo
	global_load_dwordx4 v[42:45], v[42:43], off
	global_load_dwordx4 v[46:49], v[54:55], off
	v_add_nc_u32_e32 v13, -12, v12
	v_lshlrev_b64 v[50:51], 3, v[13:14]
	v_add_nc_u32_e32 v13, -10, v12
	v_add_co_u32 v50, vcc_lo, s12, v50
	v_add_co_ci_u32_e64 v51, null, s13, v51, vcc_lo
	v_lshlrev_b64 v[56:57], 3, v[13:14]
	v_add_nc_u32_e32 v13, -8, v12
	global_load_dwordx4 v[50:53], v[50:51], off
	v_add_co_u32 v58, vcc_lo, s12, v56
	v_add_co_ci_u32_e64 v59, null, s13, v57, vcc_lo
	global_load_dwordx4 v[54:57], v[54:55], off offset:16
	global_load_dwordx4 v[58:61], v[58:59], off
	v_lshlrev_b64 v[62:63], 3, v[13:14]
	v_add_nc_u32_e32 v13, -6, v12
	v_add_co_u32 v62, vcc_lo, s12, v62
	v_add_co_ci_u32_e64 v63, null, s13, v63, vcc_lo
	v_lshlrev_b64 v[67:68], 3, v[13:14]
	v_add_nc_u32_e32 v13, 8, v66
	global_load_dwordx4 v[62:65], v[62:63], off
	v_lshlrev_b64 v[69:70], 3, v[13:14]
	v_add_co_u32 v66, vcc_lo, s12, v67
	v_add_co_ci_u32_e64 v67, null, s13, v68, vcc_lo
	v_add_nc_u32_e32 v13, -4, v12
	v_add_co_u32 v78, vcc_lo, s14, v69
	v_add_co_ci_u32_e64 v79, null, s15, v70, vcc_lo
	global_load_dwordx4 v[66:69], v[66:67], off
	global_load_dwordx4 v[70:73], v[78:79], off
	v_lshlrev_b64 v[74:75], 3, v[13:14]
	v_add_nc_u32_e32 v13, -2, v12
	v_add_co_u32 v74, vcc_lo, s12, v74
	v_add_co_ci_u32_e64 v75, null, s13, v75, vcc_lo
	v_lshlrev_b64 v[80:81], 3, v[13:14]
	v_mov_b32_e32 v13, v14
	global_load_dwordx4 v[74:77], v[74:75], off
	v_add_co_u32 v82, vcc_lo, s12, v80
	v_add_co_ci_u32_e64 v83, null, s13, v81, vcc_lo
	global_load_dwordx4 v[78:81], v[78:79], off offset:16
	global_load_dwordx4 v[82:85], v[82:83], off
	v_lshlrev_b64 v[86:87], 3, v[12:13]
	v_add_nc_u32_e32 v12, 0xc0, v12
	v_add_co_u32 v86, vcc_lo, s12, v86
	v_add_co_ci_u32_e64 v87, null, s13, v87, vcc_lo
	v_cmp_ge_i32_e32 vcc_lo, v15, v17
	global_load_dwordx4 v[86:89], v[86:87], off
	s_or_b32 s3, vcc_lo, s3
	s_waitcnt vmcnt(15)
	v_fma_f64 v[10:11], v[22:23], v[26:27], v[10:11]
	v_fma_f64 v[7:8], v[24:25], v[26:27], v[8:9]
	;; [unrolled: 1-line block ×4, first 2 shown]
	s_waitcnt vmcnt(13)
	v_fma_f64 v[9:10], v[30:31], v[34:35], v[9:10]
	v_fma_f64 v[7:8], v[32:33], v[34:35], v[7:8]
	s_waitcnt vmcnt(12)
	v_fma_f64 v[9:10], v[38:39], v[36:37], v[9:10]
	v_fma_f64 v[7:8], v[40:41], v[36:37], v[7:8]
	;; [unrolled: 3-line block ×10, first 2 shown]
	s_andn2_b32 exec_lo, exec_lo, s3
	s_cbranch_execnz .LBB127_9
; %bb.10:
	s_or_b32 exec_lo, exec_lo, s3
.LBB127_11:
	s_or_b32 exec_lo, exec_lo, s1
	s_cbranch_execz .LBB127_13
	s_branch .LBB127_18
.LBB127_12:
                                        ; implicit-def: $vgpr10_vgpr11
                                        ; implicit-def: $vgpr8_vgpr9
.LBB127_13:
	v_mov_b32_e32 v10, 0
	v_mov_b32_e32 v8, 0
	v_mov_b32_e32 v11, 0
	v_mov_b32_e32 v9, 0
	s_and_saveexec_b32 s1, s0
	s_cbranch_execz .LBB127_17
; %bb.14:
	v_mad_u64_u32 v[12:13], null, v6, 24, 23
	v_mov_b32_e32 v10, 0
	v_mov_b32_e32 v8, 0
	;; [unrolled: 1-line block ×5, first 2 shown]
	s_mov_b32 s0, 0
.LBB127_15:                             ; =>This Inner Loop Header: Depth=1
	v_ashrrev_i32_e32 v7, 31, v6
	v_subrev_nc_u32_e32 v13, 23, v12
	v_mov_b32_e32 v51, v14
	v_lshlrev_b64 v[15:16], 2, v[6:7]
	v_lshlrev_b64 v[18:19], 3, v[13:14]
	v_add_nc_u32_e32 v13, -10, v12
	v_add_nc_u32_e32 v6, 8, v6
	v_add_co_u32 v15, vcc_lo, s10, v15
	v_add_co_ci_u32_e64 v16, null, s11, v16, vcc_lo
	v_lshlrev_b64 v[26:27], 3, v[13:14]
	v_add_co_u32 v34, vcc_lo, s12, v18
	global_load_dword v7, v[15:16], off
	v_add_nc_u32_e32 v15, -11, v12
	v_mov_b32_e32 v16, v14
	v_add_co_ci_u32_e64 v35, null, s13, v19, vcc_lo
	v_add_nc_u32_e32 v13, -9, v12
	v_lshlrev_b64 v[15:16], 3, v[15:16]
	v_add_co_u32 v15, vcc_lo, s12, v15
	v_add_co_ci_u32_e64 v16, null, s13, v16, vcc_lo
	v_add_co_u32 v30, vcc_lo, s12, v26
	v_add_co_ci_u32_e64 v31, null, s13, v27, vcc_lo
	s_clause 0x2
	global_load_dwordx4 v[18:21], v[34:35], off offset:16
	global_load_dwordx4 v[22:25], v[34:35], off
	global_load_dwordx2 v[15:16], v[15:16], off
	s_waitcnt vmcnt(3)
	v_subrev_nc_u32_e32 v7, s2, v7
	v_mul_lo_u32 v50, v7, 12
	v_lshlrev_b64 v[26:27], 3, v[50:51]
	v_add_co_u32 v38, vcc_lo, s14, v26
	v_add_co_ci_u32_e64 v39, null, s15, v27, vcc_lo
	global_load_dwordx4 v[26:29], v[38:39], off
	global_load_dwordx2 v[54:55], v[30:31], off
	v_lshlrev_b64 v[30:31], 3, v[13:14]
	v_add_nc_u32_e32 v13, -8, v12
	v_lshlrev_b64 v[42:43], 3, v[13:14]
	v_add_co_u32 v40, vcc_lo, s12, v30
	v_add_co_ci_u32_e64 v41, null, s13, v31, vcc_lo
	s_clause 0x2
	global_load_dwordx4 v[30:33], v[34:35], off offset:48
	global_load_dwordx4 v[34:37], v[34:35], off offset:32
	global_load_dwordx2 v[56:57], v[40:41], off
	global_load_dwordx4 v[38:41], v[38:39], off offset:16
	v_add_co_u32 v42, vcc_lo, s12, v42
	v_add_co_ci_u32_e64 v43, null, s13, v43, vcc_lo
	v_add_nc_u32_e32 v13, 4, v50
	global_load_dwordx2 v[58:59], v[42:43], off
	v_lshlrev_b64 v[42:43], 3, v[13:14]
	v_add_nc_u32_e32 v13, -7, v12
	v_lshlrev_b64 v[44:45], 3, v[13:14]
	v_add_co_u32 v46, vcc_lo, s14, v42
	v_add_co_ci_u32_e64 v47, null, s15, v43, vcc_lo
	v_add_nc_u32_e32 v13, -6, v12
	v_add_co_u32 v60, vcc_lo, s12, v44
	v_add_co_ci_u32_e64 v61, null, s13, v45, vcc_lo
	s_clause 0x1
	global_load_dwordx4 v[42:45], v[46:47], off offset:16
	global_load_dwordx4 v[46:49], v[46:47], off
	global_load_dwordx2 v[60:61], v[60:61], off
	v_lshlrev_b64 v[51:52], 3, v[13:14]
	v_add_nc_u32_e32 v13, -5, v12
	v_add_co_u32 v51, vcc_lo, s12, v51
	v_add_co_ci_u32_e64 v52, null, s13, v52, vcc_lo
	v_lshlrev_b64 v[62:63], 3, v[13:14]
	v_add_nc_u32_e32 v13, -4, v12
	global_load_dwordx2 v[66:67], v[51:52], off
	v_add_co_u32 v62, vcc_lo, s12, v62
	v_lshlrev_b64 v[64:65], 3, v[13:14]
	v_add_co_ci_u32_e64 v63, null, s13, v63, vcc_lo
	v_add_nc_u32_e32 v13, -15, v12
	global_load_dwordx2 v[62:63], v[62:63], off
	v_add_co_u32 v64, vcc_lo, s12, v64
	v_add_co_ci_u32_e64 v65, null, s13, v65, vcc_lo
	global_load_dwordx2 v[64:65], v[64:65], off
	v_lshlrev_b64 v[51:52], 3, v[13:14]
	v_add_nc_u32_e32 v13, 8, v50
	v_lshlrev_b64 v[68:69], 3, v[13:14]
	v_add_nc_u32_e32 v13, -3, v12
	v_add_co_u32 v50, vcc_lo, s12, v51
	v_add_co_ci_u32_e64 v51, null, s13, v52, vcc_lo
	v_lshlrev_b64 v[52:53], 3, v[13:14]
	v_add_nc_u32_e32 v13, -14, v12
	v_add_co_u32 v68, vcc_lo, s14, v68
	v_add_co_ci_u32_e64 v69, null, s15, v69, vcc_lo
	;; [unrolled: 4-line block ×5, first 2 shown]
	v_add_co_u32 v78, vcc_lo, s12, v78
	global_load_dwordx2 v[70:71], v[50:51], off
	v_add_co_ci_u32_e64 v79, null, s13, v79, vcc_lo
	global_load_dwordx4 v[50:53], v[68:69], off offset:16
	s_waitcnt vmcnt(14)
	v_fma_f64 v[10:11], v[22:23], v[26:27], v[10:11]
	v_lshlrev_b64 v[22:23], 3, v[13:14]
	v_mov_b32_e32 v13, v14
	v_fma_f64 v[7:8], v[15:16], v[26:27], v[8:9]
	v_lshlrev_b64 v[15:16], 3, v[12:13]
	v_add_co_u32 v80, vcc_lo, s12, v22
	v_add_co_ci_u32_e64 v81, null, s13, v23, vcc_lo
	v_add_nc_u32_e32 v13, -12, v12
	v_add_co_u32 v15, vcc_lo, s12, v15
	v_add_co_ci_u32_e64 v16, null, s13, v16, vcc_lo
	v_lshlrev_b64 v[26:27], 3, v[13:14]
	v_add_nc_u32_e32 v12, 0xc0, v12
	v_fma_f64 v[10:11], v[24:25], v[28:29], v[10:11]
	global_load_dwordx4 v[22:25], v[68:69], off
	s_clause 0x4
	global_load_dwordx2 v[68:69], v[74:75], off
	global_load_dwordx2 v[72:73], v[72:73], off
	;; [unrolled: 1-line block ×5, first 2 shown]
	v_add_co_u32 v26, vcc_lo, s12, v26
	v_add_co_ci_u32_e64 v27, null, s13, v27, vcc_lo
	s_clause 0x1
	global_load_dwordx2 v[26:27], v[26:27], off
	global_load_dwordx2 v[15:16], v[15:16], off
	s_waitcnt vmcnt(21)
	v_fma_f64 v[7:8], v[54:55], v[28:29], v[7:8]
	v_cmp_ge_i32_e32 vcc_lo, v6, v17
	s_or_b32 s0, vcc_lo, s0
	s_waitcnt vmcnt(17)
	v_fma_f64 v[9:10], v[18:19], v[38:39], v[10:11]
	v_fma_f64 v[7:8], v[56:57], v[38:39], v[7:8]
	;; [unrolled: 1-line block ×3, first 2 shown]
	s_waitcnt vmcnt(16)
	v_fma_f64 v[7:8], v[58:59], v[40:41], v[7:8]
	s_waitcnt vmcnt(14)
	v_fma_f64 v[9:10], v[34:35], v[46:47], v[9:10]
	;; [unrolled: 2-line block ×3, first 2 shown]
	v_fma_f64 v[9:10], v[36:37], v[48:49], v[9:10]
	s_waitcnt vmcnt(12)
	v_fma_f64 v[7:8], v[66:67], v[48:49], v[7:8]
	v_fma_f64 v[9:10], v[30:31], v[42:43], v[9:10]
	s_waitcnt vmcnt(11)
	v_fma_f64 v[7:8], v[62:63], v[42:43], v[7:8]
	;; [unrolled: 3-line block ×3, first 2 shown]
	s_waitcnt vmcnt(7)
	v_fma_f64 v[9:10], v[70:71], v[22:23], v[9:10]
	s_waitcnt vmcnt(6)
	v_fma_f64 v[7:8], v[68:69], v[22:23], v[7:8]
	;; [unrolled: 2-line block ×8, first 2 shown]
	s_andn2_b32 exec_lo, exec_lo, s0
	s_cbranch_execnz .LBB127_15
; %bb.16:
	s_or_b32 exec_lo, exec_lo, s0
.LBB127_17:
	s_or_b32 exec_lo, exec_lo, s1
.LBB127_18:
	v_mbcnt_lo_u32_b32 v14, -1, 0
	v_xor_b32_e32 v6, 4, v14
	v_cmp_gt_i32_e32 vcc_lo, 32, v6
	v_cndmask_b32_e32 v6, v14, v6, vcc_lo
	v_lshlrev_b32_e32 v13, 2, v6
	ds_bpermute_b32 v6, v13, v10
	ds_bpermute_b32 v7, v13, v11
	;; [unrolled: 1-line block ×4, first 2 shown]
	s_waitcnt lgkmcnt(2)
	v_add_f64 v[6:7], v[10:11], v[6:7]
	v_xor_b32_e32 v10, 2, v14
	s_waitcnt lgkmcnt(0)
	v_add_f64 v[8:9], v[8:9], v[12:13]
	v_cmp_gt_i32_e32 vcc_lo, 32, v10
	v_cndmask_b32_e32 v10, v14, v10, vcc_lo
	v_lshlrev_b32_e32 v13, 2, v10
	ds_bpermute_b32 v10, v13, v6
	ds_bpermute_b32 v11, v13, v7
	;; [unrolled: 1-line block ×4, first 2 shown]
	s_waitcnt lgkmcnt(2)
	v_add_f64 v[6:7], v[6:7], v[10:11]
	s_waitcnt lgkmcnt(0)
	v_add_f64 v[10:11], v[8:9], v[12:13]
	v_xor_b32_e32 v8, 1, v14
	v_cmp_gt_i32_e32 vcc_lo, 32, v8
	v_cndmask_b32_e32 v8, v14, v8, vcc_lo
	v_cmp_eq_u32_e32 vcc_lo, 7, v0
	v_lshlrev_b32_e32 v13, 2, v8
	ds_bpermute_b32 v8, v13, v6
	ds_bpermute_b32 v9, v13, v7
	;; [unrolled: 1-line block ×4, first 2 shown]
	s_and_b32 exec_lo, exec_lo, vcc_lo
	s_cbranch_execz .LBB127_23
; %bb.19:
	s_waitcnt lgkmcnt(2)
	v_add_f64 v[8:9], v[6:7], v[8:9]
	s_waitcnt lgkmcnt(0)
	v_add_f64 v[6:7], v[10:11], v[12:13]
	s_load_dwordx2 s[0:1], s[4:5], 0x38
	s_mov_b32 s2, exec_lo
	v_cmpx_eq_f64_e32 0, v[3:4]
	s_xor_b32 s2, exec_lo, s2
	s_cbranch_execz .LBB127_21
; %bb.20:
	v_lshlrev_b32_e32 v0, 1, v5
	v_mul_f64 v[3:4], v[1:2], v[8:9]
	v_mul_f64 v[5:6], v[1:2], v[6:7]
                                        ; implicit-def: $vgpr8_vgpr9
	v_ashrrev_i32_e32 v1, 31, v0
	v_lshlrev_b64 v[0:1], 3, v[0:1]
	s_waitcnt lgkmcnt(0)
	v_add_co_u32 v0, vcc_lo, s0, v0
	v_add_co_ci_u32_e64 v1, null, s1, v1, vcc_lo
	global_store_dwordx4 v[0:1], v[3:6], off
                                        ; implicit-def: $vgpr5
                                        ; implicit-def: $vgpr1_vgpr2
                                        ; implicit-def: $vgpr3_vgpr4
                                        ; implicit-def: $vgpr6_vgpr7
.LBB127_21:
	s_andn2_saveexec_b32 s2, s2
	s_cbranch_execz .LBB127_23
; %bb.22:
	v_lshlrev_b32_e32 v10, 1, v5
	v_mul_f64 v[8:9], v[1:2], v[8:9]
	v_mul_f64 v[5:6], v[1:2], v[6:7]
	v_ashrrev_i32_e32 v11, 31, v10
	v_lshlrev_b64 v[10:11], 3, v[10:11]
	s_waitcnt lgkmcnt(0)
	v_add_co_u32 v14, vcc_lo, s0, v10
	v_add_co_ci_u32_e64 v15, null, s1, v11, vcc_lo
	global_load_dwordx4 v[10:13], v[14:15], off
	s_waitcnt vmcnt(0)
	v_fma_f64 v[0:1], v[3:4], v[10:11], v[8:9]
	v_fma_f64 v[2:3], v[3:4], v[12:13], v[5:6]
	global_store_dwordx4 v[14:15], v[0:3], off
.LBB127_23:
	s_endpgm
	.section	.rodata,"a",@progbits
	.p2align	6, 0x0
	.amdhsa_kernel _ZN9rocsparseL19gebsrmvn_2xn_kernelILj128ELj12ELj8EdEEvi20rocsparse_direction_NS_24const_host_device_scalarIT2_EEPKiS6_PKS3_S8_S4_PS3_21rocsparse_index_base_b
		.amdhsa_group_segment_fixed_size 0
		.amdhsa_private_segment_fixed_size 0
		.amdhsa_kernarg_size 72
		.amdhsa_user_sgpr_count 6
		.amdhsa_user_sgpr_private_segment_buffer 1
		.amdhsa_user_sgpr_dispatch_ptr 0
		.amdhsa_user_sgpr_queue_ptr 0
		.amdhsa_user_sgpr_kernarg_segment_ptr 1
		.amdhsa_user_sgpr_dispatch_id 0
		.amdhsa_user_sgpr_flat_scratch_init 0
		.amdhsa_user_sgpr_private_segment_size 0
		.amdhsa_wavefront_size32 1
		.amdhsa_uses_dynamic_stack 0
		.amdhsa_system_sgpr_private_segment_wavefront_offset 0
		.amdhsa_system_sgpr_workgroup_id_x 1
		.amdhsa_system_sgpr_workgroup_id_y 0
		.amdhsa_system_sgpr_workgroup_id_z 0
		.amdhsa_system_sgpr_workgroup_info 0
		.amdhsa_system_vgpr_workitem_id 0
		.amdhsa_next_free_vgpr 90
		.amdhsa_next_free_sgpr 16
		.amdhsa_reserve_vcc 1
		.amdhsa_reserve_flat_scratch 0
		.amdhsa_float_round_mode_32 0
		.amdhsa_float_round_mode_16_64 0
		.amdhsa_float_denorm_mode_32 3
		.amdhsa_float_denorm_mode_16_64 3
		.amdhsa_dx10_clamp 1
		.amdhsa_ieee_mode 1
		.amdhsa_fp16_overflow 0
		.amdhsa_workgroup_processor_mode 1
		.amdhsa_memory_ordered 1
		.amdhsa_forward_progress 1
		.amdhsa_shared_vgpr_count 0
		.amdhsa_exception_fp_ieee_invalid_op 0
		.amdhsa_exception_fp_denorm_src 0
		.amdhsa_exception_fp_ieee_div_zero 0
		.amdhsa_exception_fp_ieee_overflow 0
		.amdhsa_exception_fp_ieee_underflow 0
		.amdhsa_exception_fp_ieee_inexact 0
		.amdhsa_exception_int_div_zero 0
	.end_amdhsa_kernel
	.section	.text._ZN9rocsparseL19gebsrmvn_2xn_kernelILj128ELj12ELj8EdEEvi20rocsparse_direction_NS_24const_host_device_scalarIT2_EEPKiS6_PKS3_S8_S4_PS3_21rocsparse_index_base_b,"axG",@progbits,_ZN9rocsparseL19gebsrmvn_2xn_kernelILj128ELj12ELj8EdEEvi20rocsparse_direction_NS_24const_host_device_scalarIT2_EEPKiS6_PKS3_S8_S4_PS3_21rocsparse_index_base_b,comdat
.Lfunc_end127:
	.size	_ZN9rocsparseL19gebsrmvn_2xn_kernelILj128ELj12ELj8EdEEvi20rocsparse_direction_NS_24const_host_device_scalarIT2_EEPKiS6_PKS3_S8_S4_PS3_21rocsparse_index_base_b, .Lfunc_end127-_ZN9rocsparseL19gebsrmvn_2xn_kernelILj128ELj12ELj8EdEEvi20rocsparse_direction_NS_24const_host_device_scalarIT2_EEPKiS6_PKS3_S8_S4_PS3_21rocsparse_index_base_b
                                        ; -- End function
	.set _ZN9rocsparseL19gebsrmvn_2xn_kernelILj128ELj12ELj8EdEEvi20rocsparse_direction_NS_24const_host_device_scalarIT2_EEPKiS6_PKS3_S8_S4_PS3_21rocsparse_index_base_b.num_vgpr, 90
	.set _ZN9rocsparseL19gebsrmvn_2xn_kernelILj128ELj12ELj8EdEEvi20rocsparse_direction_NS_24const_host_device_scalarIT2_EEPKiS6_PKS3_S8_S4_PS3_21rocsparse_index_base_b.num_agpr, 0
	.set _ZN9rocsparseL19gebsrmvn_2xn_kernelILj128ELj12ELj8EdEEvi20rocsparse_direction_NS_24const_host_device_scalarIT2_EEPKiS6_PKS3_S8_S4_PS3_21rocsparse_index_base_b.numbered_sgpr, 16
	.set _ZN9rocsparseL19gebsrmvn_2xn_kernelILj128ELj12ELj8EdEEvi20rocsparse_direction_NS_24const_host_device_scalarIT2_EEPKiS6_PKS3_S8_S4_PS3_21rocsparse_index_base_b.num_named_barrier, 0
	.set _ZN9rocsparseL19gebsrmvn_2xn_kernelILj128ELj12ELj8EdEEvi20rocsparse_direction_NS_24const_host_device_scalarIT2_EEPKiS6_PKS3_S8_S4_PS3_21rocsparse_index_base_b.private_seg_size, 0
	.set _ZN9rocsparseL19gebsrmvn_2xn_kernelILj128ELj12ELj8EdEEvi20rocsparse_direction_NS_24const_host_device_scalarIT2_EEPKiS6_PKS3_S8_S4_PS3_21rocsparse_index_base_b.uses_vcc, 1
	.set _ZN9rocsparseL19gebsrmvn_2xn_kernelILj128ELj12ELj8EdEEvi20rocsparse_direction_NS_24const_host_device_scalarIT2_EEPKiS6_PKS3_S8_S4_PS3_21rocsparse_index_base_b.uses_flat_scratch, 0
	.set _ZN9rocsparseL19gebsrmvn_2xn_kernelILj128ELj12ELj8EdEEvi20rocsparse_direction_NS_24const_host_device_scalarIT2_EEPKiS6_PKS3_S8_S4_PS3_21rocsparse_index_base_b.has_dyn_sized_stack, 0
	.set _ZN9rocsparseL19gebsrmvn_2xn_kernelILj128ELj12ELj8EdEEvi20rocsparse_direction_NS_24const_host_device_scalarIT2_EEPKiS6_PKS3_S8_S4_PS3_21rocsparse_index_base_b.has_recursion, 0
	.set _ZN9rocsparseL19gebsrmvn_2xn_kernelILj128ELj12ELj8EdEEvi20rocsparse_direction_NS_24const_host_device_scalarIT2_EEPKiS6_PKS3_S8_S4_PS3_21rocsparse_index_base_b.has_indirect_call, 0
	.section	.AMDGPU.csdata,"",@progbits
; Kernel info:
; codeLenInByte = 2748
; TotalNumSgprs: 18
; NumVgprs: 90
; ScratchSize: 0
; MemoryBound: 1
; FloatMode: 240
; IeeeMode: 1
; LDSByteSize: 0 bytes/workgroup (compile time only)
; SGPRBlocks: 0
; VGPRBlocks: 11
; NumSGPRsForWavesPerEU: 18
; NumVGPRsForWavesPerEU: 90
; Occupancy: 10
; WaveLimiterHint : 1
; COMPUTE_PGM_RSRC2:SCRATCH_EN: 0
; COMPUTE_PGM_RSRC2:USER_SGPR: 6
; COMPUTE_PGM_RSRC2:TRAP_HANDLER: 0
; COMPUTE_PGM_RSRC2:TGID_X_EN: 1
; COMPUTE_PGM_RSRC2:TGID_Y_EN: 0
; COMPUTE_PGM_RSRC2:TGID_Z_EN: 0
; COMPUTE_PGM_RSRC2:TIDIG_COMP_CNT: 0
	.section	.text._ZN9rocsparseL19gebsrmvn_2xn_kernelILj128ELj12ELj16EdEEvi20rocsparse_direction_NS_24const_host_device_scalarIT2_EEPKiS6_PKS3_S8_S4_PS3_21rocsparse_index_base_b,"axG",@progbits,_ZN9rocsparseL19gebsrmvn_2xn_kernelILj128ELj12ELj16EdEEvi20rocsparse_direction_NS_24const_host_device_scalarIT2_EEPKiS6_PKS3_S8_S4_PS3_21rocsparse_index_base_b,comdat
	.globl	_ZN9rocsparseL19gebsrmvn_2xn_kernelILj128ELj12ELj16EdEEvi20rocsparse_direction_NS_24const_host_device_scalarIT2_EEPKiS6_PKS3_S8_S4_PS3_21rocsparse_index_base_b ; -- Begin function _ZN9rocsparseL19gebsrmvn_2xn_kernelILj128ELj12ELj16EdEEvi20rocsparse_direction_NS_24const_host_device_scalarIT2_EEPKiS6_PKS3_S8_S4_PS3_21rocsparse_index_base_b
	.p2align	8
	.type	_ZN9rocsparseL19gebsrmvn_2xn_kernelILj128ELj12ELj16EdEEvi20rocsparse_direction_NS_24const_host_device_scalarIT2_EEPKiS6_PKS3_S8_S4_PS3_21rocsparse_index_base_b,@function
_ZN9rocsparseL19gebsrmvn_2xn_kernelILj128ELj12ELj16EdEEvi20rocsparse_direction_NS_24const_host_device_scalarIT2_EEPKiS6_PKS3_S8_S4_PS3_21rocsparse_index_base_b: ; @_ZN9rocsparseL19gebsrmvn_2xn_kernelILj128ELj12ELj16EdEEvi20rocsparse_direction_NS_24const_host_device_scalarIT2_EEPKiS6_PKS3_S8_S4_PS3_21rocsparse_index_base_b
; %bb.0:
	s_clause 0x2
	s_load_dwordx2 s[2:3], s[4:5], 0x40
	s_load_dwordx2 s[8:9], s[4:5], 0x8
	;; [unrolled: 1-line block ×3, first 2 shown]
	s_waitcnt lgkmcnt(0)
	s_bitcmp1_b32 s3, 0
	v_mov_b32_e32 v1, s8
	v_mov_b32_e32 v2, s9
	s_cselect_b32 s3, -1, 0
	s_and_b32 vcc_lo, exec_lo, s3
	s_xor_b32 s3, s3, -1
	s_cbranch_vccnz .LBB128_2
; %bb.1:
	v_mov_b32_e32 v1, s8
	v_mov_b32_e32 v2, s9
	flat_load_dwordx2 v[1:2], v[1:2]
.LBB128_2:
	v_mov_b32_e32 v4, s1
	v_mov_b32_e32 v3, s0
	s_andn2_b32 vcc_lo, exec_lo, s3
	s_cbranch_vccnz .LBB128_4
; %bb.3:
	v_mov_b32_e32 v4, s1
	v_mov_b32_e32 v3, s0
	flat_load_dwordx2 v[3:4], v[3:4]
.LBB128_4:
	s_waitcnt vmcnt(0) lgkmcnt(0)
	v_cmp_neq_f64_e32 vcc_lo, 0, v[1:2]
	v_cmp_neq_f64_e64 s0, 1.0, v[3:4]
	s_or_b32 s0, vcc_lo, s0
	s_and_saveexec_b32 s1, s0
	s_cbranch_execz .LBB128_23
; %bb.5:
	s_load_dwordx2 s[0:1], s[4:5], 0x0
	v_lshrrev_b32_e32 v5, 4, v0
	v_lshl_or_b32 v5, s6, 3, v5
	s_waitcnt lgkmcnt(0)
	v_cmp_gt_i32_e32 vcc_lo, s0, v5
	s_and_b32 exec_lo, exec_lo, vcc_lo
	s_cbranch_execz .LBB128_23
; %bb.6:
	s_load_dwordx8 s[8:15], s[4:5], 0x10
	v_ashrrev_i32_e32 v6, 31, v5
	v_and_b32_e32 v0, 15, v0
	s_cmp_lg_u32 s1, 0
	v_lshlrev_b64 v[6:7], 2, v[5:6]
	s_waitcnt lgkmcnt(0)
	v_add_co_u32 v6, vcc_lo, s8, v6
	v_add_co_ci_u32_e64 v7, null, s9, v7, vcc_lo
	global_load_dwordx2 v[6:7], v[6:7], off
	s_waitcnt vmcnt(0)
	v_subrev_nc_u32_e32 v6, s2, v6
	v_subrev_nc_u32_e32 v17, s2, v7
	v_add_nc_u32_e32 v6, v6, v0
	v_cmp_lt_i32_e64 s0, v6, v17
	s_cbranch_scc0 .LBB128_12
; %bb.7:
	v_mov_b32_e32 v10, 0
	v_mov_b32_e32 v8, 0
	;; [unrolled: 1-line block ×4, first 2 shown]
	s_and_saveexec_b32 s1, s0
	s_cbranch_execz .LBB128_11
; %bb.8:
	v_mad_u64_u32 v[12:13], null, v6, 24, 22
	v_mov_b32_e32 v10, 0
	v_mov_b32_e32 v8, 0
	;; [unrolled: 1-line block ×6, first 2 shown]
	s_mov_b32 s3, 0
.LBB128_9:                              ; =>This Inner Loop Header: Depth=1
	v_ashrrev_i32_e32 v16, 31, v15
	v_subrev_nc_u32_e32 v13, 22, v12
	v_mov_b32_e32 v67, v14
	v_lshlrev_b64 v[18:19], 2, v[15:16]
	v_add_nc_u32_e32 v15, 16, v15
	v_add_co_u32 v18, vcc_lo, s10, v18
	v_add_co_ci_u32_e64 v19, null, s11, v19, vcc_lo
	global_load_dword v7, v[18:19], off
	v_lshlrev_b64 v[18:19], 3, v[13:14]
	v_add_nc_u32_e32 v13, -14, v12
	v_lshlrev_b64 v[42:43], 3, v[13:14]
	v_add_co_u32 v38, vcc_lo, s12, v18
	v_add_co_ci_u32_e64 v39, null, s13, v19, vcc_lo
	s_waitcnt vmcnt(0)
	v_subrev_nc_u32_e32 v7, s2, v7
	v_mul_lo_u32 v66, v7, 12
	v_lshlrev_b64 v[20:21], 3, v[66:67]
	v_add_nc_u32_e32 v13, 4, v66
	v_lshlrev_b64 v[44:45], 3, v[13:14]
	v_add_co_u32 v34, vcc_lo, s14, v20
	v_add_co_ci_u32_e64 v35, null, s15, v21, vcc_lo
	s_clause 0x1
	global_load_dwordx4 v[18:21], v[38:39], off offset:16
	global_load_dwordx4 v[22:25], v[38:39], off
	global_load_dwordx4 v[26:29], v[34:35], off
	global_load_dwordx4 v[30:33], v[38:39], off offset:32
	global_load_dwordx4 v[34:37], v[34:35], off offset:16
	;; [unrolled: 1-line block ×3, first 2 shown]
	v_add_co_u32 v42, vcc_lo, s12, v42
	v_add_co_ci_u32_e64 v43, null, s13, v43, vcc_lo
	v_add_co_u32 v54, vcc_lo, s14, v44
	v_add_co_ci_u32_e64 v55, null, s15, v45, vcc_lo
	global_load_dwordx4 v[42:45], v[42:43], off
	global_load_dwordx4 v[46:49], v[54:55], off
	v_add_nc_u32_e32 v13, -12, v12
	v_lshlrev_b64 v[50:51], 3, v[13:14]
	v_add_nc_u32_e32 v13, -10, v12
	v_add_co_u32 v50, vcc_lo, s12, v50
	v_add_co_ci_u32_e64 v51, null, s13, v51, vcc_lo
	v_lshlrev_b64 v[56:57], 3, v[13:14]
	v_add_nc_u32_e32 v13, -8, v12
	global_load_dwordx4 v[50:53], v[50:51], off
	v_add_co_u32 v58, vcc_lo, s12, v56
	v_add_co_ci_u32_e64 v59, null, s13, v57, vcc_lo
	global_load_dwordx4 v[54:57], v[54:55], off offset:16
	global_load_dwordx4 v[58:61], v[58:59], off
	v_lshlrev_b64 v[62:63], 3, v[13:14]
	v_add_nc_u32_e32 v13, -6, v12
	v_add_co_u32 v62, vcc_lo, s12, v62
	v_add_co_ci_u32_e64 v63, null, s13, v63, vcc_lo
	v_lshlrev_b64 v[67:68], 3, v[13:14]
	v_add_nc_u32_e32 v13, 8, v66
	global_load_dwordx4 v[62:65], v[62:63], off
	v_lshlrev_b64 v[69:70], 3, v[13:14]
	v_add_co_u32 v66, vcc_lo, s12, v67
	v_add_co_ci_u32_e64 v67, null, s13, v68, vcc_lo
	v_add_nc_u32_e32 v13, -4, v12
	v_add_co_u32 v78, vcc_lo, s14, v69
	v_add_co_ci_u32_e64 v79, null, s15, v70, vcc_lo
	global_load_dwordx4 v[66:69], v[66:67], off
	global_load_dwordx4 v[70:73], v[78:79], off
	v_lshlrev_b64 v[74:75], 3, v[13:14]
	v_add_nc_u32_e32 v13, -2, v12
	v_add_co_u32 v74, vcc_lo, s12, v74
	v_add_co_ci_u32_e64 v75, null, s13, v75, vcc_lo
	v_lshlrev_b64 v[80:81], 3, v[13:14]
	v_mov_b32_e32 v13, v14
	global_load_dwordx4 v[74:77], v[74:75], off
	v_add_co_u32 v82, vcc_lo, s12, v80
	v_add_co_ci_u32_e64 v83, null, s13, v81, vcc_lo
	global_load_dwordx4 v[78:81], v[78:79], off offset:16
	global_load_dwordx4 v[82:85], v[82:83], off
	v_lshlrev_b64 v[86:87], 3, v[12:13]
	v_add_nc_u32_e32 v12, 0x180, v12
	v_add_co_u32 v86, vcc_lo, s12, v86
	v_add_co_ci_u32_e64 v87, null, s13, v87, vcc_lo
	v_cmp_ge_i32_e32 vcc_lo, v15, v17
	global_load_dwordx4 v[86:89], v[86:87], off
	s_or_b32 s3, vcc_lo, s3
	s_waitcnt vmcnt(15)
	v_fma_f64 v[10:11], v[22:23], v[26:27], v[10:11]
	v_fma_f64 v[7:8], v[24:25], v[26:27], v[8:9]
	;; [unrolled: 1-line block ×4, first 2 shown]
	s_waitcnt vmcnt(13)
	v_fma_f64 v[9:10], v[30:31], v[34:35], v[9:10]
	v_fma_f64 v[7:8], v[32:33], v[34:35], v[7:8]
	s_waitcnt vmcnt(12)
	v_fma_f64 v[9:10], v[38:39], v[36:37], v[9:10]
	v_fma_f64 v[7:8], v[40:41], v[36:37], v[7:8]
	;; [unrolled: 3-line block ×10, first 2 shown]
	s_andn2_b32 exec_lo, exec_lo, s3
	s_cbranch_execnz .LBB128_9
; %bb.10:
	s_or_b32 exec_lo, exec_lo, s3
.LBB128_11:
	s_or_b32 exec_lo, exec_lo, s1
	s_cbranch_execz .LBB128_13
	s_branch .LBB128_18
.LBB128_12:
                                        ; implicit-def: $vgpr10_vgpr11
                                        ; implicit-def: $vgpr8_vgpr9
.LBB128_13:
	v_mov_b32_e32 v10, 0
	v_mov_b32_e32 v8, 0
	;; [unrolled: 1-line block ×4, first 2 shown]
	s_and_saveexec_b32 s1, s0
	s_cbranch_execz .LBB128_17
; %bb.14:
	v_mad_u64_u32 v[12:13], null, v6, 24, 23
	v_mov_b32_e32 v10, 0
	v_mov_b32_e32 v8, 0
	;; [unrolled: 1-line block ×5, first 2 shown]
	s_mov_b32 s0, 0
.LBB128_15:                             ; =>This Inner Loop Header: Depth=1
	v_ashrrev_i32_e32 v7, 31, v6
	v_subrev_nc_u32_e32 v13, 23, v12
	v_mov_b32_e32 v51, v14
	v_lshlrev_b64 v[15:16], 2, v[6:7]
	v_lshlrev_b64 v[18:19], 3, v[13:14]
	v_add_nc_u32_e32 v13, -10, v12
	v_add_nc_u32_e32 v6, 16, v6
	v_add_co_u32 v15, vcc_lo, s10, v15
	v_add_co_ci_u32_e64 v16, null, s11, v16, vcc_lo
	v_lshlrev_b64 v[26:27], 3, v[13:14]
	v_add_co_u32 v34, vcc_lo, s12, v18
	global_load_dword v7, v[15:16], off
	v_add_nc_u32_e32 v15, -11, v12
	v_mov_b32_e32 v16, v14
	v_add_co_ci_u32_e64 v35, null, s13, v19, vcc_lo
	v_add_nc_u32_e32 v13, -9, v12
	v_lshlrev_b64 v[15:16], 3, v[15:16]
	v_add_co_u32 v15, vcc_lo, s12, v15
	v_add_co_ci_u32_e64 v16, null, s13, v16, vcc_lo
	v_add_co_u32 v30, vcc_lo, s12, v26
	v_add_co_ci_u32_e64 v31, null, s13, v27, vcc_lo
	s_clause 0x2
	global_load_dwordx4 v[18:21], v[34:35], off offset:16
	global_load_dwordx4 v[22:25], v[34:35], off
	global_load_dwordx2 v[15:16], v[15:16], off
	s_waitcnt vmcnt(3)
	v_subrev_nc_u32_e32 v7, s2, v7
	v_mul_lo_u32 v50, v7, 12
	v_lshlrev_b64 v[26:27], 3, v[50:51]
	v_add_co_u32 v38, vcc_lo, s14, v26
	v_add_co_ci_u32_e64 v39, null, s15, v27, vcc_lo
	global_load_dwordx4 v[26:29], v[38:39], off
	global_load_dwordx2 v[54:55], v[30:31], off
	v_lshlrev_b64 v[30:31], 3, v[13:14]
	v_add_nc_u32_e32 v13, -8, v12
	v_lshlrev_b64 v[42:43], 3, v[13:14]
	v_add_co_u32 v40, vcc_lo, s12, v30
	v_add_co_ci_u32_e64 v41, null, s13, v31, vcc_lo
	s_clause 0x2
	global_load_dwordx4 v[30:33], v[34:35], off offset:48
	global_load_dwordx4 v[34:37], v[34:35], off offset:32
	global_load_dwordx2 v[56:57], v[40:41], off
	global_load_dwordx4 v[38:41], v[38:39], off offset:16
	v_add_co_u32 v42, vcc_lo, s12, v42
	v_add_co_ci_u32_e64 v43, null, s13, v43, vcc_lo
	v_add_nc_u32_e32 v13, 4, v50
	global_load_dwordx2 v[58:59], v[42:43], off
	v_lshlrev_b64 v[42:43], 3, v[13:14]
	v_add_nc_u32_e32 v13, -7, v12
	v_lshlrev_b64 v[44:45], 3, v[13:14]
	v_add_co_u32 v46, vcc_lo, s14, v42
	v_add_co_ci_u32_e64 v47, null, s15, v43, vcc_lo
	v_add_nc_u32_e32 v13, -6, v12
	v_add_co_u32 v60, vcc_lo, s12, v44
	v_add_co_ci_u32_e64 v61, null, s13, v45, vcc_lo
	s_clause 0x1
	global_load_dwordx4 v[42:45], v[46:47], off offset:16
	global_load_dwordx4 v[46:49], v[46:47], off
	global_load_dwordx2 v[60:61], v[60:61], off
	v_lshlrev_b64 v[51:52], 3, v[13:14]
	v_add_nc_u32_e32 v13, -5, v12
	v_add_co_u32 v51, vcc_lo, s12, v51
	v_add_co_ci_u32_e64 v52, null, s13, v52, vcc_lo
	v_lshlrev_b64 v[62:63], 3, v[13:14]
	v_add_nc_u32_e32 v13, -4, v12
	global_load_dwordx2 v[66:67], v[51:52], off
	v_add_co_u32 v62, vcc_lo, s12, v62
	v_lshlrev_b64 v[64:65], 3, v[13:14]
	v_add_co_ci_u32_e64 v63, null, s13, v63, vcc_lo
	v_add_nc_u32_e32 v13, -15, v12
	global_load_dwordx2 v[62:63], v[62:63], off
	v_add_co_u32 v64, vcc_lo, s12, v64
	v_add_co_ci_u32_e64 v65, null, s13, v65, vcc_lo
	global_load_dwordx2 v[64:65], v[64:65], off
	v_lshlrev_b64 v[51:52], 3, v[13:14]
	v_add_nc_u32_e32 v13, 8, v50
	v_lshlrev_b64 v[68:69], 3, v[13:14]
	v_add_nc_u32_e32 v13, -3, v12
	v_add_co_u32 v50, vcc_lo, s12, v51
	v_add_co_ci_u32_e64 v51, null, s13, v52, vcc_lo
	v_lshlrev_b64 v[52:53], 3, v[13:14]
	v_add_nc_u32_e32 v13, -14, v12
	v_add_co_u32 v68, vcc_lo, s14, v68
	v_add_co_ci_u32_e64 v69, null, s15, v69, vcc_lo
	;; [unrolled: 4-line block ×5, first 2 shown]
	v_add_co_u32 v78, vcc_lo, s12, v78
	global_load_dwordx2 v[70:71], v[50:51], off
	v_add_co_ci_u32_e64 v79, null, s13, v79, vcc_lo
	global_load_dwordx4 v[50:53], v[68:69], off offset:16
	s_waitcnt vmcnt(14)
	v_fma_f64 v[10:11], v[22:23], v[26:27], v[10:11]
	v_lshlrev_b64 v[22:23], 3, v[13:14]
	v_mov_b32_e32 v13, v14
	v_fma_f64 v[7:8], v[15:16], v[26:27], v[8:9]
	v_lshlrev_b64 v[15:16], 3, v[12:13]
	v_add_co_u32 v80, vcc_lo, s12, v22
	v_add_co_ci_u32_e64 v81, null, s13, v23, vcc_lo
	v_add_nc_u32_e32 v13, -12, v12
	v_add_co_u32 v15, vcc_lo, s12, v15
	v_add_co_ci_u32_e64 v16, null, s13, v16, vcc_lo
	v_lshlrev_b64 v[26:27], 3, v[13:14]
	v_add_nc_u32_e32 v12, 0x180, v12
	v_fma_f64 v[10:11], v[24:25], v[28:29], v[10:11]
	global_load_dwordx4 v[22:25], v[68:69], off
	s_clause 0x4
	global_load_dwordx2 v[68:69], v[74:75], off
	global_load_dwordx2 v[72:73], v[72:73], off
	;; [unrolled: 1-line block ×5, first 2 shown]
	v_add_co_u32 v26, vcc_lo, s12, v26
	v_add_co_ci_u32_e64 v27, null, s13, v27, vcc_lo
	s_clause 0x1
	global_load_dwordx2 v[26:27], v[26:27], off
	global_load_dwordx2 v[15:16], v[15:16], off
	s_waitcnt vmcnt(21)
	v_fma_f64 v[7:8], v[54:55], v[28:29], v[7:8]
	v_cmp_ge_i32_e32 vcc_lo, v6, v17
	s_or_b32 s0, vcc_lo, s0
	s_waitcnt vmcnt(17)
	v_fma_f64 v[9:10], v[18:19], v[38:39], v[10:11]
	v_fma_f64 v[7:8], v[56:57], v[38:39], v[7:8]
	;; [unrolled: 1-line block ×3, first 2 shown]
	s_waitcnt vmcnt(16)
	v_fma_f64 v[7:8], v[58:59], v[40:41], v[7:8]
	s_waitcnt vmcnt(14)
	v_fma_f64 v[9:10], v[34:35], v[46:47], v[9:10]
	s_waitcnt vmcnt(13)
	v_fma_f64 v[7:8], v[60:61], v[46:47], v[7:8]
	v_fma_f64 v[9:10], v[36:37], v[48:49], v[9:10]
	s_waitcnt vmcnt(12)
	v_fma_f64 v[7:8], v[66:67], v[48:49], v[7:8]
	v_fma_f64 v[9:10], v[30:31], v[42:43], v[9:10]
	s_waitcnt vmcnt(11)
	v_fma_f64 v[7:8], v[62:63], v[42:43], v[7:8]
	;; [unrolled: 3-line block ×3, first 2 shown]
	s_waitcnt vmcnt(7)
	v_fma_f64 v[9:10], v[70:71], v[22:23], v[9:10]
	s_waitcnt vmcnt(6)
	v_fma_f64 v[7:8], v[68:69], v[22:23], v[7:8]
	;; [unrolled: 2-line block ×8, first 2 shown]
	s_andn2_b32 exec_lo, exec_lo, s0
	s_cbranch_execnz .LBB128_15
; %bb.16:
	s_or_b32 exec_lo, exec_lo, s0
.LBB128_17:
	s_or_b32 exec_lo, exec_lo, s1
.LBB128_18:
	v_mbcnt_lo_u32_b32 v14, -1, 0
	v_xor_b32_e32 v6, 8, v14
	v_cmp_gt_i32_e32 vcc_lo, 32, v6
	v_cndmask_b32_e32 v6, v14, v6, vcc_lo
	v_lshlrev_b32_e32 v13, 2, v6
	ds_bpermute_b32 v6, v13, v10
	ds_bpermute_b32 v7, v13, v11
	;; [unrolled: 1-line block ×4, first 2 shown]
	s_waitcnt lgkmcnt(2)
	v_add_f64 v[6:7], v[10:11], v[6:7]
	v_xor_b32_e32 v10, 4, v14
	s_waitcnt lgkmcnt(0)
	v_add_f64 v[8:9], v[8:9], v[12:13]
	v_cmp_gt_i32_e32 vcc_lo, 32, v10
	v_cndmask_b32_e32 v10, v14, v10, vcc_lo
	v_lshlrev_b32_e32 v13, 2, v10
	ds_bpermute_b32 v10, v13, v6
	ds_bpermute_b32 v11, v13, v7
	;; [unrolled: 1-line block ×4, first 2 shown]
	s_waitcnt lgkmcnt(2)
	v_add_f64 v[6:7], v[6:7], v[10:11]
	v_xor_b32_e32 v10, 2, v14
	s_waitcnt lgkmcnt(0)
	v_add_f64 v[8:9], v[8:9], v[12:13]
	v_cmp_gt_i32_e32 vcc_lo, 32, v10
	v_cndmask_b32_e32 v10, v14, v10, vcc_lo
	v_lshlrev_b32_e32 v13, 2, v10
	ds_bpermute_b32 v10, v13, v6
	ds_bpermute_b32 v11, v13, v7
	;; [unrolled: 1-line block ×4, first 2 shown]
	s_waitcnt lgkmcnt(2)
	v_add_f64 v[6:7], v[6:7], v[10:11]
	s_waitcnt lgkmcnt(0)
	v_add_f64 v[10:11], v[8:9], v[12:13]
	v_xor_b32_e32 v8, 1, v14
	v_cmp_gt_i32_e32 vcc_lo, 32, v8
	v_cndmask_b32_e32 v8, v14, v8, vcc_lo
	v_cmp_eq_u32_e32 vcc_lo, 15, v0
	v_lshlrev_b32_e32 v13, 2, v8
	ds_bpermute_b32 v8, v13, v6
	ds_bpermute_b32 v9, v13, v7
	;; [unrolled: 1-line block ×4, first 2 shown]
	s_and_b32 exec_lo, exec_lo, vcc_lo
	s_cbranch_execz .LBB128_23
; %bb.19:
	s_waitcnt lgkmcnt(2)
	v_add_f64 v[8:9], v[6:7], v[8:9]
	s_waitcnt lgkmcnt(0)
	v_add_f64 v[6:7], v[10:11], v[12:13]
	s_load_dwordx2 s[0:1], s[4:5], 0x38
	s_mov_b32 s2, exec_lo
	v_cmpx_eq_f64_e32 0, v[3:4]
	s_xor_b32 s2, exec_lo, s2
	s_cbranch_execz .LBB128_21
; %bb.20:
	v_lshlrev_b32_e32 v0, 1, v5
	v_mul_f64 v[3:4], v[1:2], v[8:9]
	v_mul_f64 v[5:6], v[1:2], v[6:7]
                                        ; implicit-def: $vgpr8_vgpr9
	v_ashrrev_i32_e32 v1, 31, v0
	v_lshlrev_b64 v[0:1], 3, v[0:1]
	s_waitcnt lgkmcnt(0)
	v_add_co_u32 v0, vcc_lo, s0, v0
	v_add_co_ci_u32_e64 v1, null, s1, v1, vcc_lo
	global_store_dwordx4 v[0:1], v[3:6], off
                                        ; implicit-def: $vgpr5
                                        ; implicit-def: $vgpr1_vgpr2
                                        ; implicit-def: $vgpr3_vgpr4
                                        ; implicit-def: $vgpr6_vgpr7
.LBB128_21:
	s_andn2_saveexec_b32 s2, s2
	s_cbranch_execz .LBB128_23
; %bb.22:
	v_lshlrev_b32_e32 v10, 1, v5
	v_mul_f64 v[8:9], v[1:2], v[8:9]
	v_mul_f64 v[5:6], v[1:2], v[6:7]
	v_ashrrev_i32_e32 v11, 31, v10
	v_lshlrev_b64 v[10:11], 3, v[10:11]
	s_waitcnt lgkmcnt(0)
	v_add_co_u32 v14, vcc_lo, s0, v10
	v_add_co_ci_u32_e64 v15, null, s1, v11, vcc_lo
	global_load_dwordx4 v[10:13], v[14:15], off
	s_waitcnt vmcnt(0)
	v_fma_f64 v[0:1], v[3:4], v[10:11], v[8:9]
	v_fma_f64 v[2:3], v[3:4], v[12:13], v[5:6]
	global_store_dwordx4 v[14:15], v[0:3], off
.LBB128_23:
	s_endpgm
	.section	.rodata,"a",@progbits
	.p2align	6, 0x0
	.amdhsa_kernel _ZN9rocsparseL19gebsrmvn_2xn_kernelILj128ELj12ELj16EdEEvi20rocsparse_direction_NS_24const_host_device_scalarIT2_EEPKiS6_PKS3_S8_S4_PS3_21rocsparse_index_base_b
		.amdhsa_group_segment_fixed_size 0
		.amdhsa_private_segment_fixed_size 0
		.amdhsa_kernarg_size 72
		.amdhsa_user_sgpr_count 6
		.amdhsa_user_sgpr_private_segment_buffer 1
		.amdhsa_user_sgpr_dispatch_ptr 0
		.amdhsa_user_sgpr_queue_ptr 0
		.amdhsa_user_sgpr_kernarg_segment_ptr 1
		.amdhsa_user_sgpr_dispatch_id 0
		.amdhsa_user_sgpr_flat_scratch_init 0
		.amdhsa_user_sgpr_private_segment_size 0
		.amdhsa_wavefront_size32 1
		.amdhsa_uses_dynamic_stack 0
		.amdhsa_system_sgpr_private_segment_wavefront_offset 0
		.amdhsa_system_sgpr_workgroup_id_x 1
		.amdhsa_system_sgpr_workgroup_id_y 0
		.amdhsa_system_sgpr_workgroup_id_z 0
		.amdhsa_system_sgpr_workgroup_info 0
		.amdhsa_system_vgpr_workitem_id 0
		.amdhsa_next_free_vgpr 90
		.amdhsa_next_free_sgpr 16
		.amdhsa_reserve_vcc 1
		.amdhsa_reserve_flat_scratch 0
		.amdhsa_float_round_mode_32 0
		.amdhsa_float_round_mode_16_64 0
		.amdhsa_float_denorm_mode_32 3
		.amdhsa_float_denorm_mode_16_64 3
		.amdhsa_dx10_clamp 1
		.amdhsa_ieee_mode 1
		.amdhsa_fp16_overflow 0
		.amdhsa_workgroup_processor_mode 1
		.amdhsa_memory_ordered 1
		.amdhsa_forward_progress 1
		.amdhsa_shared_vgpr_count 0
		.amdhsa_exception_fp_ieee_invalid_op 0
		.amdhsa_exception_fp_denorm_src 0
		.amdhsa_exception_fp_ieee_div_zero 0
		.amdhsa_exception_fp_ieee_overflow 0
		.amdhsa_exception_fp_ieee_underflow 0
		.amdhsa_exception_fp_ieee_inexact 0
		.amdhsa_exception_int_div_zero 0
	.end_amdhsa_kernel
	.section	.text._ZN9rocsparseL19gebsrmvn_2xn_kernelILj128ELj12ELj16EdEEvi20rocsparse_direction_NS_24const_host_device_scalarIT2_EEPKiS6_PKS3_S8_S4_PS3_21rocsparse_index_base_b,"axG",@progbits,_ZN9rocsparseL19gebsrmvn_2xn_kernelILj128ELj12ELj16EdEEvi20rocsparse_direction_NS_24const_host_device_scalarIT2_EEPKiS6_PKS3_S8_S4_PS3_21rocsparse_index_base_b,comdat
.Lfunc_end128:
	.size	_ZN9rocsparseL19gebsrmvn_2xn_kernelILj128ELj12ELj16EdEEvi20rocsparse_direction_NS_24const_host_device_scalarIT2_EEPKiS6_PKS3_S8_S4_PS3_21rocsparse_index_base_b, .Lfunc_end128-_ZN9rocsparseL19gebsrmvn_2xn_kernelILj128ELj12ELj16EdEEvi20rocsparse_direction_NS_24const_host_device_scalarIT2_EEPKiS6_PKS3_S8_S4_PS3_21rocsparse_index_base_b
                                        ; -- End function
	.set _ZN9rocsparseL19gebsrmvn_2xn_kernelILj128ELj12ELj16EdEEvi20rocsparse_direction_NS_24const_host_device_scalarIT2_EEPKiS6_PKS3_S8_S4_PS3_21rocsparse_index_base_b.num_vgpr, 90
	.set _ZN9rocsparseL19gebsrmvn_2xn_kernelILj128ELj12ELj16EdEEvi20rocsparse_direction_NS_24const_host_device_scalarIT2_EEPKiS6_PKS3_S8_S4_PS3_21rocsparse_index_base_b.num_agpr, 0
	.set _ZN9rocsparseL19gebsrmvn_2xn_kernelILj128ELj12ELj16EdEEvi20rocsparse_direction_NS_24const_host_device_scalarIT2_EEPKiS6_PKS3_S8_S4_PS3_21rocsparse_index_base_b.numbered_sgpr, 16
	.set _ZN9rocsparseL19gebsrmvn_2xn_kernelILj128ELj12ELj16EdEEvi20rocsparse_direction_NS_24const_host_device_scalarIT2_EEPKiS6_PKS3_S8_S4_PS3_21rocsparse_index_base_b.num_named_barrier, 0
	.set _ZN9rocsparseL19gebsrmvn_2xn_kernelILj128ELj12ELj16EdEEvi20rocsparse_direction_NS_24const_host_device_scalarIT2_EEPKiS6_PKS3_S8_S4_PS3_21rocsparse_index_base_b.private_seg_size, 0
	.set _ZN9rocsparseL19gebsrmvn_2xn_kernelILj128ELj12ELj16EdEEvi20rocsparse_direction_NS_24const_host_device_scalarIT2_EEPKiS6_PKS3_S8_S4_PS3_21rocsparse_index_base_b.uses_vcc, 1
	.set _ZN9rocsparseL19gebsrmvn_2xn_kernelILj128ELj12ELj16EdEEvi20rocsparse_direction_NS_24const_host_device_scalarIT2_EEPKiS6_PKS3_S8_S4_PS3_21rocsparse_index_base_b.uses_flat_scratch, 0
	.set _ZN9rocsparseL19gebsrmvn_2xn_kernelILj128ELj12ELj16EdEEvi20rocsparse_direction_NS_24const_host_device_scalarIT2_EEPKiS6_PKS3_S8_S4_PS3_21rocsparse_index_base_b.has_dyn_sized_stack, 0
	.set _ZN9rocsparseL19gebsrmvn_2xn_kernelILj128ELj12ELj16EdEEvi20rocsparse_direction_NS_24const_host_device_scalarIT2_EEPKiS6_PKS3_S8_S4_PS3_21rocsparse_index_base_b.has_recursion, 0
	.set _ZN9rocsparseL19gebsrmvn_2xn_kernelILj128ELj12ELj16EdEEvi20rocsparse_direction_NS_24const_host_device_scalarIT2_EEPKiS6_PKS3_S8_S4_PS3_21rocsparse_index_base_b.has_indirect_call, 0
	.section	.AMDGPU.csdata,"",@progbits
; Kernel info:
; codeLenInByte = 2820
; TotalNumSgprs: 18
; NumVgprs: 90
; ScratchSize: 0
; MemoryBound: 1
; FloatMode: 240
; IeeeMode: 1
; LDSByteSize: 0 bytes/workgroup (compile time only)
; SGPRBlocks: 0
; VGPRBlocks: 11
; NumSGPRsForWavesPerEU: 18
; NumVGPRsForWavesPerEU: 90
; Occupancy: 10
; WaveLimiterHint : 1
; COMPUTE_PGM_RSRC2:SCRATCH_EN: 0
; COMPUTE_PGM_RSRC2:USER_SGPR: 6
; COMPUTE_PGM_RSRC2:TRAP_HANDLER: 0
; COMPUTE_PGM_RSRC2:TGID_X_EN: 1
; COMPUTE_PGM_RSRC2:TGID_Y_EN: 0
; COMPUTE_PGM_RSRC2:TGID_Z_EN: 0
; COMPUTE_PGM_RSRC2:TIDIG_COMP_CNT: 0
	.section	.text._ZN9rocsparseL19gebsrmvn_2xn_kernelILj128ELj12ELj32EdEEvi20rocsparse_direction_NS_24const_host_device_scalarIT2_EEPKiS6_PKS3_S8_S4_PS3_21rocsparse_index_base_b,"axG",@progbits,_ZN9rocsparseL19gebsrmvn_2xn_kernelILj128ELj12ELj32EdEEvi20rocsparse_direction_NS_24const_host_device_scalarIT2_EEPKiS6_PKS3_S8_S4_PS3_21rocsparse_index_base_b,comdat
	.globl	_ZN9rocsparseL19gebsrmvn_2xn_kernelILj128ELj12ELj32EdEEvi20rocsparse_direction_NS_24const_host_device_scalarIT2_EEPKiS6_PKS3_S8_S4_PS3_21rocsparse_index_base_b ; -- Begin function _ZN9rocsparseL19gebsrmvn_2xn_kernelILj128ELj12ELj32EdEEvi20rocsparse_direction_NS_24const_host_device_scalarIT2_EEPKiS6_PKS3_S8_S4_PS3_21rocsparse_index_base_b
	.p2align	8
	.type	_ZN9rocsparseL19gebsrmvn_2xn_kernelILj128ELj12ELj32EdEEvi20rocsparse_direction_NS_24const_host_device_scalarIT2_EEPKiS6_PKS3_S8_S4_PS3_21rocsparse_index_base_b,@function
_ZN9rocsparseL19gebsrmvn_2xn_kernelILj128ELj12ELj32EdEEvi20rocsparse_direction_NS_24const_host_device_scalarIT2_EEPKiS6_PKS3_S8_S4_PS3_21rocsparse_index_base_b: ; @_ZN9rocsparseL19gebsrmvn_2xn_kernelILj128ELj12ELj32EdEEvi20rocsparse_direction_NS_24const_host_device_scalarIT2_EEPKiS6_PKS3_S8_S4_PS3_21rocsparse_index_base_b
; %bb.0:
	s_clause 0x2
	s_load_dwordx2 s[2:3], s[4:5], 0x40
	s_load_dwordx2 s[8:9], s[4:5], 0x8
	;; [unrolled: 1-line block ×3, first 2 shown]
	s_waitcnt lgkmcnt(0)
	s_bitcmp1_b32 s3, 0
	v_mov_b32_e32 v1, s8
	v_mov_b32_e32 v2, s9
	s_cselect_b32 s3, -1, 0
	s_and_b32 vcc_lo, exec_lo, s3
	s_xor_b32 s3, s3, -1
	s_cbranch_vccnz .LBB129_2
; %bb.1:
	v_mov_b32_e32 v1, s8
	v_mov_b32_e32 v2, s9
	flat_load_dwordx2 v[1:2], v[1:2]
.LBB129_2:
	v_mov_b32_e32 v4, s1
	v_mov_b32_e32 v3, s0
	s_andn2_b32 vcc_lo, exec_lo, s3
	s_cbranch_vccnz .LBB129_4
; %bb.3:
	v_mov_b32_e32 v4, s1
	v_mov_b32_e32 v3, s0
	flat_load_dwordx2 v[3:4], v[3:4]
.LBB129_4:
	s_waitcnt vmcnt(0) lgkmcnt(0)
	v_cmp_neq_f64_e32 vcc_lo, 0, v[1:2]
	v_cmp_neq_f64_e64 s0, 1.0, v[3:4]
	s_or_b32 s0, vcc_lo, s0
	s_and_saveexec_b32 s1, s0
	s_cbranch_execz .LBB129_23
; %bb.5:
	s_load_dwordx2 s[0:1], s[4:5], 0x0
	v_lshrrev_b32_e32 v5, 5, v0
	v_lshl_or_b32 v5, s6, 2, v5
	s_waitcnt lgkmcnt(0)
	v_cmp_gt_i32_e32 vcc_lo, s0, v5
	s_and_b32 exec_lo, exec_lo, vcc_lo
	s_cbranch_execz .LBB129_23
; %bb.6:
	s_load_dwordx8 s[8:15], s[4:5], 0x10
	v_ashrrev_i32_e32 v6, 31, v5
	v_and_b32_e32 v0, 31, v0
	s_cmp_lg_u32 s1, 0
	v_lshlrev_b64 v[6:7], 2, v[5:6]
	s_waitcnt lgkmcnt(0)
	v_add_co_u32 v6, vcc_lo, s8, v6
	v_add_co_ci_u32_e64 v7, null, s9, v7, vcc_lo
	global_load_dwordx2 v[6:7], v[6:7], off
	s_waitcnt vmcnt(0)
	v_subrev_nc_u32_e32 v6, s2, v6
	v_subrev_nc_u32_e32 v17, s2, v7
	v_add_nc_u32_e32 v6, v6, v0
	v_cmp_lt_i32_e64 s0, v6, v17
	s_cbranch_scc0 .LBB129_12
; %bb.7:
	v_mov_b32_e32 v10, 0
	v_mov_b32_e32 v8, 0
	;; [unrolled: 1-line block ×4, first 2 shown]
	s_and_saveexec_b32 s1, s0
	s_cbranch_execz .LBB129_11
; %bb.8:
	v_mad_u64_u32 v[12:13], null, v6, 24, 22
	v_mov_b32_e32 v10, 0
	v_mov_b32_e32 v8, 0
	;; [unrolled: 1-line block ×6, first 2 shown]
	s_mov_b32 s3, 0
.LBB129_9:                              ; =>This Inner Loop Header: Depth=1
	v_ashrrev_i32_e32 v16, 31, v15
	v_subrev_nc_u32_e32 v13, 22, v12
	v_mov_b32_e32 v67, v14
	v_lshlrev_b64 v[18:19], 2, v[15:16]
	v_add_nc_u32_e32 v15, 32, v15
	v_add_co_u32 v18, vcc_lo, s10, v18
	v_add_co_ci_u32_e64 v19, null, s11, v19, vcc_lo
	global_load_dword v7, v[18:19], off
	v_lshlrev_b64 v[18:19], 3, v[13:14]
	v_add_nc_u32_e32 v13, -14, v12
	v_lshlrev_b64 v[42:43], 3, v[13:14]
	v_add_co_u32 v38, vcc_lo, s12, v18
	v_add_co_ci_u32_e64 v39, null, s13, v19, vcc_lo
	s_waitcnt vmcnt(0)
	v_subrev_nc_u32_e32 v7, s2, v7
	v_mul_lo_u32 v66, v7, 12
	v_lshlrev_b64 v[20:21], 3, v[66:67]
	v_add_nc_u32_e32 v13, 4, v66
	v_lshlrev_b64 v[44:45], 3, v[13:14]
	v_add_co_u32 v34, vcc_lo, s14, v20
	v_add_co_ci_u32_e64 v35, null, s15, v21, vcc_lo
	s_clause 0x1
	global_load_dwordx4 v[18:21], v[38:39], off offset:16
	global_load_dwordx4 v[22:25], v[38:39], off
	global_load_dwordx4 v[26:29], v[34:35], off
	global_load_dwordx4 v[30:33], v[38:39], off offset:32
	global_load_dwordx4 v[34:37], v[34:35], off offset:16
	;; [unrolled: 1-line block ×3, first 2 shown]
	v_add_co_u32 v42, vcc_lo, s12, v42
	v_add_co_ci_u32_e64 v43, null, s13, v43, vcc_lo
	v_add_co_u32 v54, vcc_lo, s14, v44
	v_add_co_ci_u32_e64 v55, null, s15, v45, vcc_lo
	global_load_dwordx4 v[42:45], v[42:43], off
	global_load_dwordx4 v[46:49], v[54:55], off
	v_add_nc_u32_e32 v13, -12, v12
	v_lshlrev_b64 v[50:51], 3, v[13:14]
	v_add_nc_u32_e32 v13, -10, v12
	v_add_co_u32 v50, vcc_lo, s12, v50
	v_add_co_ci_u32_e64 v51, null, s13, v51, vcc_lo
	v_lshlrev_b64 v[56:57], 3, v[13:14]
	v_add_nc_u32_e32 v13, -8, v12
	global_load_dwordx4 v[50:53], v[50:51], off
	v_add_co_u32 v58, vcc_lo, s12, v56
	v_add_co_ci_u32_e64 v59, null, s13, v57, vcc_lo
	global_load_dwordx4 v[54:57], v[54:55], off offset:16
	global_load_dwordx4 v[58:61], v[58:59], off
	v_lshlrev_b64 v[62:63], 3, v[13:14]
	v_add_nc_u32_e32 v13, -6, v12
	v_add_co_u32 v62, vcc_lo, s12, v62
	v_add_co_ci_u32_e64 v63, null, s13, v63, vcc_lo
	v_lshlrev_b64 v[67:68], 3, v[13:14]
	v_add_nc_u32_e32 v13, 8, v66
	global_load_dwordx4 v[62:65], v[62:63], off
	v_lshlrev_b64 v[69:70], 3, v[13:14]
	v_add_co_u32 v66, vcc_lo, s12, v67
	v_add_co_ci_u32_e64 v67, null, s13, v68, vcc_lo
	v_add_nc_u32_e32 v13, -4, v12
	v_add_co_u32 v78, vcc_lo, s14, v69
	v_add_co_ci_u32_e64 v79, null, s15, v70, vcc_lo
	global_load_dwordx4 v[66:69], v[66:67], off
	global_load_dwordx4 v[70:73], v[78:79], off
	v_lshlrev_b64 v[74:75], 3, v[13:14]
	v_add_nc_u32_e32 v13, -2, v12
	v_add_co_u32 v74, vcc_lo, s12, v74
	v_add_co_ci_u32_e64 v75, null, s13, v75, vcc_lo
	v_lshlrev_b64 v[80:81], 3, v[13:14]
	v_mov_b32_e32 v13, v14
	global_load_dwordx4 v[74:77], v[74:75], off
	v_add_co_u32 v82, vcc_lo, s12, v80
	v_add_co_ci_u32_e64 v83, null, s13, v81, vcc_lo
	global_load_dwordx4 v[78:81], v[78:79], off offset:16
	global_load_dwordx4 v[82:85], v[82:83], off
	v_lshlrev_b64 v[86:87], 3, v[12:13]
	v_add_nc_u32_e32 v12, 0x300, v12
	v_add_co_u32 v86, vcc_lo, s12, v86
	v_add_co_ci_u32_e64 v87, null, s13, v87, vcc_lo
	v_cmp_ge_i32_e32 vcc_lo, v15, v17
	global_load_dwordx4 v[86:89], v[86:87], off
	s_or_b32 s3, vcc_lo, s3
	s_waitcnt vmcnt(15)
	v_fma_f64 v[10:11], v[22:23], v[26:27], v[10:11]
	v_fma_f64 v[7:8], v[24:25], v[26:27], v[8:9]
	;; [unrolled: 1-line block ×4, first 2 shown]
	s_waitcnt vmcnt(13)
	v_fma_f64 v[9:10], v[30:31], v[34:35], v[9:10]
	v_fma_f64 v[7:8], v[32:33], v[34:35], v[7:8]
	s_waitcnt vmcnt(12)
	v_fma_f64 v[9:10], v[38:39], v[36:37], v[9:10]
	v_fma_f64 v[7:8], v[40:41], v[36:37], v[7:8]
	s_waitcnt vmcnt(10)
	v_fma_f64 v[9:10], v[42:43], v[46:47], v[9:10]
	v_fma_f64 v[7:8], v[44:45], v[46:47], v[7:8]
	s_waitcnt vmcnt(9)
	v_fma_f64 v[9:10], v[50:51], v[48:49], v[9:10]
	v_fma_f64 v[7:8], v[52:53], v[48:49], v[7:8]
	s_waitcnt vmcnt(7)
	v_fma_f64 v[9:10], v[58:59], v[54:55], v[9:10]
	v_fma_f64 v[7:8], v[60:61], v[54:55], v[7:8]
	s_waitcnt vmcnt(6)
	v_fma_f64 v[9:10], v[62:63], v[56:57], v[9:10]
	v_fma_f64 v[7:8], v[64:65], v[56:57], v[7:8]
	s_waitcnt vmcnt(4)
	v_fma_f64 v[9:10], v[66:67], v[70:71], v[9:10]
	v_fma_f64 v[7:8], v[68:69], v[70:71], v[7:8]
	s_waitcnt vmcnt(3)
	v_fma_f64 v[9:10], v[74:75], v[72:73], v[9:10]
	v_fma_f64 v[7:8], v[76:77], v[72:73], v[7:8]
	s_waitcnt vmcnt(1)
	v_fma_f64 v[9:10], v[82:83], v[78:79], v[9:10]
	v_fma_f64 v[7:8], v[84:85], v[78:79], v[7:8]
	s_waitcnt vmcnt(0)
	v_fma_f64 v[10:11], v[86:87], v[80:81], v[9:10]
	v_fma_f64 v[8:9], v[88:89], v[80:81], v[7:8]
	s_andn2_b32 exec_lo, exec_lo, s3
	s_cbranch_execnz .LBB129_9
; %bb.10:
	s_or_b32 exec_lo, exec_lo, s3
.LBB129_11:
	s_or_b32 exec_lo, exec_lo, s1
	s_cbranch_execz .LBB129_13
	s_branch .LBB129_18
.LBB129_12:
                                        ; implicit-def: $vgpr10_vgpr11
                                        ; implicit-def: $vgpr8_vgpr9
.LBB129_13:
	v_mov_b32_e32 v10, 0
	v_mov_b32_e32 v8, 0
	;; [unrolled: 1-line block ×4, first 2 shown]
	s_and_saveexec_b32 s1, s0
	s_cbranch_execz .LBB129_17
; %bb.14:
	v_mad_u64_u32 v[12:13], null, v6, 24, 23
	v_mov_b32_e32 v10, 0
	v_mov_b32_e32 v8, 0
	;; [unrolled: 1-line block ×5, first 2 shown]
	s_mov_b32 s0, 0
.LBB129_15:                             ; =>This Inner Loop Header: Depth=1
	v_ashrrev_i32_e32 v7, 31, v6
	v_subrev_nc_u32_e32 v13, 23, v12
	v_mov_b32_e32 v51, v14
	v_lshlrev_b64 v[15:16], 2, v[6:7]
	v_lshlrev_b64 v[18:19], 3, v[13:14]
	v_add_nc_u32_e32 v13, -10, v12
	v_add_nc_u32_e32 v6, 32, v6
	v_add_co_u32 v15, vcc_lo, s10, v15
	v_add_co_ci_u32_e64 v16, null, s11, v16, vcc_lo
	v_lshlrev_b64 v[26:27], 3, v[13:14]
	v_add_co_u32 v34, vcc_lo, s12, v18
	global_load_dword v7, v[15:16], off
	v_add_nc_u32_e32 v15, -11, v12
	v_mov_b32_e32 v16, v14
	v_add_co_ci_u32_e64 v35, null, s13, v19, vcc_lo
	v_add_nc_u32_e32 v13, -9, v12
	v_lshlrev_b64 v[15:16], 3, v[15:16]
	v_add_co_u32 v15, vcc_lo, s12, v15
	v_add_co_ci_u32_e64 v16, null, s13, v16, vcc_lo
	v_add_co_u32 v30, vcc_lo, s12, v26
	v_add_co_ci_u32_e64 v31, null, s13, v27, vcc_lo
	s_clause 0x2
	global_load_dwordx4 v[18:21], v[34:35], off offset:16
	global_load_dwordx4 v[22:25], v[34:35], off
	global_load_dwordx2 v[15:16], v[15:16], off
	s_waitcnt vmcnt(3)
	v_subrev_nc_u32_e32 v7, s2, v7
	v_mul_lo_u32 v50, v7, 12
	v_lshlrev_b64 v[26:27], 3, v[50:51]
	v_add_co_u32 v38, vcc_lo, s14, v26
	v_add_co_ci_u32_e64 v39, null, s15, v27, vcc_lo
	global_load_dwordx4 v[26:29], v[38:39], off
	global_load_dwordx2 v[54:55], v[30:31], off
	v_lshlrev_b64 v[30:31], 3, v[13:14]
	v_add_nc_u32_e32 v13, -8, v12
	v_lshlrev_b64 v[42:43], 3, v[13:14]
	v_add_co_u32 v40, vcc_lo, s12, v30
	v_add_co_ci_u32_e64 v41, null, s13, v31, vcc_lo
	s_clause 0x2
	global_load_dwordx4 v[30:33], v[34:35], off offset:48
	global_load_dwordx4 v[34:37], v[34:35], off offset:32
	global_load_dwordx2 v[56:57], v[40:41], off
	global_load_dwordx4 v[38:41], v[38:39], off offset:16
	v_add_co_u32 v42, vcc_lo, s12, v42
	v_add_co_ci_u32_e64 v43, null, s13, v43, vcc_lo
	v_add_nc_u32_e32 v13, 4, v50
	global_load_dwordx2 v[58:59], v[42:43], off
	v_lshlrev_b64 v[42:43], 3, v[13:14]
	v_add_nc_u32_e32 v13, -7, v12
	v_lshlrev_b64 v[44:45], 3, v[13:14]
	v_add_co_u32 v46, vcc_lo, s14, v42
	v_add_co_ci_u32_e64 v47, null, s15, v43, vcc_lo
	v_add_nc_u32_e32 v13, -6, v12
	v_add_co_u32 v60, vcc_lo, s12, v44
	v_add_co_ci_u32_e64 v61, null, s13, v45, vcc_lo
	s_clause 0x1
	global_load_dwordx4 v[42:45], v[46:47], off offset:16
	global_load_dwordx4 v[46:49], v[46:47], off
	global_load_dwordx2 v[60:61], v[60:61], off
	v_lshlrev_b64 v[51:52], 3, v[13:14]
	v_add_nc_u32_e32 v13, -5, v12
	v_add_co_u32 v51, vcc_lo, s12, v51
	v_add_co_ci_u32_e64 v52, null, s13, v52, vcc_lo
	v_lshlrev_b64 v[62:63], 3, v[13:14]
	v_add_nc_u32_e32 v13, -4, v12
	global_load_dwordx2 v[66:67], v[51:52], off
	v_add_co_u32 v62, vcc_lo, s12, v62
	v_lshlrev_b64 v[64:65], 3, v[13:14]
	v_add_co_ci_u32_e64 v63, null, s13, v63, vcc_lo
	v_add_nc_u32_e32 v13, -15, v12
	global_load_dwordx2 v[62:63], v[62:63], off
	v_add_co_u32 v64, vcc_lo, s12, v64
	v_add_co_ci_u32_e64 v65, null, s13, v65, vcc_lo
	global_load_dwordx2 v[64:65], v[64:65], off
	v_lshlrev_b64 v[51:52], 3, v[13:14]
	v_add_nc_u32_e32 v13, 8, v50
	v_lshlrev_b64 v[68:69], 3, v[13:14]
	v_add_nc_u32_e32 v13, -3, v12
	v_add_co_u32 v50, vcc_lo, s12, v51
	v_add_co_ci_u32_e64 v51, null, s13, v52, vcc_lo
	v_lshlrev_b64 v[52:53], 3, v[13:14]
	v_add_nc_u32_e32 v13, -14, v12
	v_add_co_u32 v68, vcc_lo, s14, v68
	v_add_co_ci_u32_e64 v69, null, s15, v69, vcc_lo
	;; [unrolled: 4-line block ×5, first 2 shown]
	v_add_co_u32 v78, vcc_lo, s12, v78
	global_load_dwordx2 v[70:71], v[50:51], off
	v_add_co_ci_u32_e64 v79, null, s13, v79, vcc_lo
	global_load_dwordx4 v[50:53], v[68:69], off offset:16
	s_waitcnt vmcnt(14)
	v_fma_f64 v[10:11], v[22:23], v[26:27], v[10:11]
	v_lshlrev_b64 v[22:23], 3, v[13:14]
	v_mov_b32_e32 v13, v14
	v_fma_f64 v[7:8], v[15:16], v[26:27], v[8:9]
	v_lshlrev_b64 v[15:16], 3, v[12:13]
	v_add_co_u32 v80, vcc_lo, s12, v22
	v_add_co_ci_u32_e64 v81, null, s13, v23, vcc_lo
	v_add_nc_u32_e32 v13, -12, v12
	v_add_co_u32 v15, vcc_lo, s12, v15
	v_add_co_ci_u32_e64 v16, null, s13, v16, vcc_lo
	v_lshlrev_b64 v[26:27], 3, v[13:14]
	v_add_nc_u32_e32 v12, 0x300, v12
	v_fma_f64 v[10:11], v[24:25], v[28:29], v[10:11]
	global_load_dwordx4 v[22:25], v[68:69], off
	s_clause 0x4
	global_load_dwordx2 v[68:69], v[74:75], off
	global_load_dwordx2 v[72:73], v[72:73], off
	;; [unrolled: 1-line block ×5, first 2 shown]
	v_add_co_u32 v26, vcc_lo, s12, v26
	v_add_co_ci_u32_e64 v27, null, s13, v27, vcc_lo
	s_clause 0x1
	global_load_dwordx2 v[26:27], v[26:27], off
	global_load_dwordx2 v[15:16], v[15:16], off
	s_waitcnt vmcnt(21)
	v_fma_f64 v[7:8], v[54:55], v[28:29], v[7:8]
	v_cmp_ge_i32_e32 vcc_lo, v6, v17
	s_or_b32 s0, vcc_lo, s0
	s_waitcnt vmcnt(17)
	v_fma_f64 v[9:10], v[18:19], v[38:39], v[10:11]
	v_fma_f64 v[7:8], v[56:57], v[38:39], v[7:8]
	;; [unrolled: 1-line block ×3, first 2 shown]
	s_waitcnt vmcnt(16)
	v_fma_f64 v[7:8], v[58:59], v[40:41], v[7:8]
	s_waitcnt vmcnt(14)
	v_fma_f64 v[9:10], v[34:35], v[46:47], v[9:10]
	;; [unrolled: 2-line block ×3, first 2 shown]
	v_fma_f64 v[9:10], v[36:37], v[48:49], v[9:10]
	s_waitcnt vmcnt(12)
	v_fma_f64 v[7:8], v[66:67], v[48:49], v[7:8]
	v_fma_f64 v[9:10], v[30:31], v[42:43], v[9:10]
	s_waitcnt vmcnt(11)
	v_fma_f64 v[7:8], v[62:63], v[42:43], v[7:8]
	;; [unrolled: 3-line block ×3, first 2 shown]
	s_waitcnt vmcnt(7)
	v_fma_f64 v[9:10], v[70:71], v[22:23], v[9:10]
	s_waitcnt vmcnt(6)
	v_fma_f64 v[7:8], v[68:69], v[22:23], v[7:8]
	;; [unrolled: 2-line block ×8, first 2 shown]
	s_andn2_b32 exec_lo, exec_lo, s0
	s_cbranch_execnz .LBB129_15
; %bb.16:
	s_or_b32 exec_lo, exec_lo, s0
.LBB129_17:
	s_or_b32 exec_lo, exec_lo, s1
.LBB129_18:
	v_mbcnt_lo_u32_b32 v14, -1, 0
	v_xor_b32_e32 v6, 16, v14
	v_cmp_gt_i32_e32 vcc_lo, 32, v6
	v_cndmask_b32_e32 v6, v14, v6, vcc_lo
	v_lshlrev_b32_e32 v13, 2, v6
	ds_bpermute_b32 v6, v13, v10
	ds_bpermute_b32 v7, v13, v11
	ds_bpermute_b32 v12, v13, v8
	ds_bpermute_b32 v13, v13, v9
	s_waitcnt lgkmcnt(2)
	v_add_f64 v[6:7], v[10:11], v[6:7]
	v_xor_b32_e32 v10, 8, v14
	s_waitcnt lgkmcnt(0)
	v_add_f64 v[8:9], v[8:9], v[12:13]
	v_cmp_gt_i32_e32 vcc_lo, 32, v10
	v_cndmask_b32_e32 v10, v14, v10, vcc_lo
	v_lshlrev_b32_e32 v13, 2, v10
	ds_bpermute_b32 v10, v13, v6
	ds_bpermute_b32 v11, v13, v7
	ds_bpermute_b32 v12, v13, v8
	ds_bpermute_b32 v13, v13, v9
	s_waitcnt lgkmcnt(2)
	v_add_f64 v[6:7], v[6:7], v[10:11]
	v_xor_b32_e32 v10, 4, v14
	s_waitcnt lgkmcnt(0)
	v_add_f64 v[8:9], v[8:9], v[12:13]
	;; [unrolled: 12-line block ×3, first 2 shown]
	v_cmp_gt_i32_e32 vcc_lo, 32, v10
	v_cndmask_b32_e32 v10, v14, v10, vcc_lo
	v_lshlrev_b32_e32 v13, 2, v10
	ds_bpermute_b32 v10, v13, v6
	ds_bpermute_b32 v11, v13, v7
	;; [unrolled: 1-line block ×4, first 2 shown]
	s_waitcnt lgkmcnt(2)
	v_add_f64 v[6:7], v[6:7], v[10:11]
	s_waitcnt lgkmcnt(0)
	v_add_f64 v[10:11], v[8:9], v[12:13]
	v_xor_b32_e32 v8, 1, v14
	v_cmp_gt_i32_e32 vcc_lo, 32, v8
	v_cndmask_b32_e32 v8, v14, v8, vcc_lo
	v_cmp_eq_u32_e32 vcc_lo, 31, v0
	v_lshlrev_b32_e32 v13, 2, v8
	ds_bpermute_b32 v8, v13, v6
	ds_bpermute_b32 v9, v13, v7
	;; [unrolled: 1-line block ×4, first 2 shown]
	s_and_b32 exec_lo, exec_lo, vcc_lo
	s_cbranch_execz .LBB129_23
; %bb.19:
	s_waitcnt lgkmcnt(2)
	v_add_f64 v[8:9], v[6:7], v[8:9]
	s_waitcnt lgkmcnt(0)
	v_add_f64 v[6:7], v[10:11], v[12:13]
	s_load_dwordx2 s[0:1], s[4:5], 0x38
	s_mov_b32 s2, exec_lo
	v_cmpx_eq_f64_e32 0, v[3:4]
	s_xor_b32 s2, exec_lo, s2
	s_cbranch_execz .LBB129_21
; %bb.20:
	v_lshlrev_b32_e32 v0, 1, v5
	v_mul_f64 v[3:4], v[1:2], v[8:9]
	v_mul_f64 v[5:6], v[1:2], v[6:7]
                                        ; implicit-def: $vgpr8_vgpr9
	v_ashrrev_i32_e32 v1, 31, v0
	v_lshlrev_b64 v[0:1], 3, v[0:1]
	s_waitcnt lgkmcnt(0)
	v_add_co_u32 v0, vcc_lo, s0, v0
	v_add_co_ci_u32_e64 v1, null, s1, v1, vcc_lo
	global_store_dwordx4 v[0:1], v[3:6], off
                                        ; implicit-def: $vgpr5
                                        ; implicit-def: $vgpr1_vgpr2
                                        ; implicit-def: $vgpr3_vgpr4
                                        ; implicit-def: $vgpr6_vgpr7
.LBB129_21:
	s_andn2_saveexec_b32 s2, s2
	s_cbranch_execz .LBB129_23
; %bb.22:
	v_lshlrev_b32_e32 v10, 1, v5
	v_mul_f64 v[8:9], v[1:2], v[8:9]
	v_mul_f64 v[5:6], v[1:2], v[6:7]
	v_ashrrev_i32_e32 v11, 31, v10
	v_lshlrev_b64 v[10:11], 3, v[10:11]
	s_waitcnt lgkmcnt(0)
	v_add_co_u32 v14, vcc_lo, s0, v10
	v_add_co_ci_u32_e64 v15, null, s1, v11, vcc_lo
	global_load_dwordx4 v[10:13], v[14:15], off
	s_waitcnt vmcnt(0)
	v_fma_f64 v[0:1], v[3:4], v[10:11], v[8:9]
	v_fma_f64 v[2:3], v[3:4], v[12:13], v[5:6]
	global_store_dwordx4 v[14:15], v[0:3], off
.LBB129_23:
	s_endpgm
	.section	.rodata,"a",@progbits
	.p2align	6, 0x0
	.amdhsa_kernel _ZN9rocsparseL19gebsrmvn_2xn_kernelILj128ELj12ELj32EdEEvi20rocsparse_direction_NS_24const_host_device_scalarIT2_EEPKiS6_PKS3_S8_S4_PS3_21rocsparse_index_base_b
		.amdhsa_group_segment_fixed_size 0
		.amdhsa_private_segment_fixed_size 0
		.amdhsa_kernarg_size 72
		.amdhsa_user_sgpr_count 6
		.amdhsa_user_sgpr_private_segment_buffer 1
		.amdhsa_user_sgpr_dispatch_ptr 0
		.amdhsa_user_sgpr_queue_ptr 0
		.amdhsa_user_sgpr_kernarg_segment_ptr 1
		.amdhsa_user_sgpr_dispatch_id 0
		.amdhsa_user_sgpr_flat_scratch_init 0
		.amdhsa_user_sgpr_private_segment_size 0
		.amdhsa_wavefront_size32 1
		.amdhsa_uses_dynamic_stack 0
		.amdhsa_system_sgpr_private_segment_wavefront_offset 0
		.amdhsa_system_sgpr_workgroup_id_x 1
		.amdhsa_system_sgpr_workgroup_id_y 0
		.amdhsa_system_sgpr_workgroup_id_z 0
		.amdhsa_system_sgpr_workgroup_info 0
		.amdhsa_system_vgpr_workitem_id 0
		.amdhsa_next_free_vgpr 90
		.amdhsa_next_free_sgpr 16
		.amdhsa_reserve_vcc 1
		.amdhsa_reserve_flat_scratch 0
		.amdhsa_float_round_mode_32 0
		.amdhsa_float_round_mode_16_64 0
		.amdhsa_float_denorm_mode_32 3
		.amdhsa_float_denorm_mode_16_64 3
		.amdhsa_dx10_clamp 1
		.amdhsa_ieee_mode 1
		.amdhsa_fp16_overflow 0
		.amdhsa_workgroup_processor_mode 1
		.amdhsa_memory_ordered 1
		.amdhsa_forward_progress 1
		.amdhsa_shared_vgpr_count 0
		.amdhsa_exception_fp_ieee_invalid_op 0
		.amdhsa_exception_fp_denorm_src 0
		.amdhsa_exception_fp_ieee_div_zero 0
		.amdhsa_exception_fp_ieee_overflow 0
		.amdhsa_exception_fp_ieee_underflow 0
		.amdhsa_exception_fp_ieee_inexact 0
		.amdhsa_exception_int_div_zero 0
	.end_amdhsa_kernel
	.section	.text._ZN9rocsparseL19gebsrmvn_2xn_kernelILj128ELj12ELj32EdEEvi20rocsparse_direction_NS_24const_host_device_scalarIT2_EEPKiS6_PKS3_S8_S4_PS3_21rocsparse_index_base_b,"axG",@progbits,_ZN9rocsparseL19gebsrmvn_2xn_kernelILj128ELj12ELj32EdEEvi20rocsparse_direction_NS_24const_host_device_scalarIT2_EEPKiS6_PKS3_S8_S4_PS3_21rocsparse_index_base_b,comdat
.Lfunc_end129:
	.size	_ZN9rocsparseL19gebsrmvn_2xn_kernelILj128ELj12ELj32EdEEvi20rocsparse_direction_NS_24const_host_device_scalarIT2_EEPKiS6_PKS3_S8_S4_PS3_21rocsparse_index_base_b, .Lfunc_end129-_ZN9rocsparseL19gebsrmvn_2xn_kernelILj128ELj12ELj32EdEEvi20rocsparse_direction_NS_24const_host_device_scalarIT2_EEPKiS6_PKS3_S8_S4_PS3_21rocsparse_index_base_b
                                        ; -- End function
	.set _ZN9rocsparseL19gebsrmvn_2xn_kernelILj128ELj12ELj32EdEEvi20rocsparse_direction_NS_24const_host_device_scalarIT2_EEPKiS6_PKS3_S8_S4_PS3_21rocsparse_index_base_b.num_vgpr, 90
	.set _ZN9rocsparseL19gebsrmvn_2xn_kernelILj128ELj12ELj32EdEEvi20rocsparse_direction_NS_24const_host_device_scalarIT2_EEPKiS6_PKS3_S8_S4_PS3_21rocsparse_index_base_b.num_agpr, 0
	.set _ZN9rocsparseL19gebsrmvn_2xn_kernelILj128ELj12ELj32EdEEvi20rocsparse_direction_NS_24const_host_device_scalarIT2_EEPKiS6_PKS3_S8_S4_PS3_21rocsparse_index_base_b.numbered_sgpr, 16
	.set _ZN9rocsparseL19gebsrmvn_2xn_kernelILj128ELj12ELj32EdEEvi20rocsparse_direction_NS_24const_host_device_scalarIT2_EEPKiS6_PKS3_S8_S4_PS3_21rocsparse_index_base_b.num_named_barrier, 0
	.set _ZN9rocsparseL19gebsrmvn_2xn_kernelILj128ELj12ELj32EdEEvi20rocsparse_direction_NS_24const_host_device_scalarIT2_EEPKiS6_PKS3_S8_S4_PS3_21rocsparse_index_base_b.private_seg_size, 0
	.set _ZN9rocsparseL19gebsrmvn_2xn_kernelILj128ELj12ELj32EdEEvi20rocsparse_direction_NS_24const_host_device_scalarIT2_EEPKiS6_PKS3_S8_S4_PS3_21rocsparse_index_base_b.uses_vcc, 1
	.set _ZN9rocsparseL19gebsrmvn_2xn_kernelILj128ELj12ELj32EdEEvi20rocsparse_direction_NS_24const_host_device_scalarIT2_EEPKiS6_PKS3_S8_S4_PS3_21rocsparse_index_base_b.uses_flat_scratch, 0
	.set _ZN9rocsparseL19gebsrmvn_2xn_kernelILj128ELj12ELj32EdEEvi20rocsparse_direction_NS_24const_host_device_scalarIT2_EEPKiS6_PKS3_S8_S4_PS3_21rocsparse_index_base_b.has_dyn_sized_stack, 0
	.set _ZN9rocsparseL19gebsrmvn_2xn_kernelILj128ELj12ELj32EdEEvi20rocsparse_direction_NS_24const_host_device_scalarIT2_EEPKiS6_PKS3_S8_S4_PS3_21rocsparse_index_base_b.has_recursion, 0
	.set _ZN9rocsparseL19gebsrmvn_2xn_kernelILj128ELj12ELj32EdEEvi20rocsparse_direction_NS_24const_host_device_scalarIT2_EEPKiS6_PKS3_S8_S4_PS3_21rocsparse_index_base_b.has_indirect_call, 0
	.section	.AMDGPU.csdata,"",@progbits
; Kernel info:
; codeLenInByte = 2892
; TotalNumSgprs: 18
; NumVgprs: 90
; ScratchSize: 0
; MemoryBound: 1
; FloatMode: 240
; IeeeMode: 1
; LDSByteSize: 0 bytes/workgroup (compile time only)
; SGPRBlocks: 0
; VGPRBlocks: 11
; NumSGPRsForWavesPerEU: 18
; NumVGPRsForWavesPerEU: 90
; Occupancy: 10
; WaveLimiterHint : 1
; COMPUTE_PGM_RSRC2:SCRATCH_EN: 0
; COMPUTE_PGM_RSRC2:USER_SGPR: 6
; COMPUTE_PGM_RSRC2:TRAP_HANDLER: 0
; COMPUTE_PGM_RSRC2:TGID_X_EN: 1
; COMPUTE_PGM_RSRC2:TGID_Y_EN: 0
; COMPUTE_PGM_RSRC2:TGID_Z_EN: 0
; COMPUTE_PGM_RSRC2:TIDIG_COMP_CNT: 0
	.section	.text._ZN9rocsparseL19gebsrmvn_2xn_kernelILj128ELj12ELj64EdEEvi20rocsparse_direction_NS_24const_host_device_scalarIT2_EEPKiS6_PKS3_S8_S4_PS3_21rocsparse_index_base_b,"axG",@progbits,_ZN9rocsparseL19gebsrmvn_2xn_kernelILj128ELj12ELj64EdEEvi20rocsparse_direction_NS_24const_host_device_scalarIT2_EEPKiS6_PKS3_S8_S4_PS3_21rocsparse_index_base_b,comdat
	.globl	_ZN9rocsparseL19gebsrmvn_2xn_kernelILj128ELj12ELj64EdEEvi20rocsparse_direction_NS_24const_host_device_scalarIT2_EEPKiS6_PKS3_S8_S4_PS3_21rocsparse_index_base_b ; -- Begin function _ZN9rocsparseL19gebsrmvn_2xn_kernelILj128ELj12ELj64EdEEvi20rocsparse_direction_NS_24const_host_device_scalarIT2_EEPKiS6_PKS3_S8_S4_PS3_21rocsparse_index_base_b
	.p2align	8
	.type	_ZN9rocsparseL19gebsrmvn_2xn_kernelILj128ELj12ELj64EdEEvi20rocsparse_direction_NS_24const_host_device_scalarIT2_EEPKiS6_PKS3_S8_S4_PS3_21rocsparse_index_base_b,@function
_ZN9rocsparseL19gebsrmvn_2xn_kernelILj128ELj12ELj64EdEEvi20rocsparse_direction_NS_24const_host_device_scalarIT2_EEPKiS6_PKS3_S8_S4_PS3_21rocsparse_index_base_b: ; @_ZN9rocsparseL19gebsrmvn_2xn_kernelILj128ELj12ELj64EdEEvi20rocsparse_direction_NS_24const_host_device_scalarIT2_EEPKiS6_PKS3_S8_S4_PS3_21rocsparse_index_base_b
; %bb.0:
	s_clause 0x2
	s_load_dwordx2 s[2:3], s[4:5], 0x40
	s_load_dwordx2 s[8:9], s[4:5], 0x8
	;; [unrolled: 1-line block ×3, first 2 shown]
	s_waitcnt lgkmcnt(0)
	s_bitcmp1_b32 s3, 0
	v_mov_b32_e32 v1, s8
	v_mov_b32_e32 v2, s9
	s_cselect_b32 s3, -1, 0
	s_and_b32 vcc_lo, exec_lo, s3
	s_xor_b32 s3, s3, -1
	s_cbranch_vccnz .LBB130_2
; %bb.1:
	v_mov_b32_e32 v1, s8
	v_mov_b32_e32 v2, s9
	flat_load_dwordx2 v[1:2], v[1:2]
.LBB130_2:
	v_mov_b32_e32 v4, s1
	v_mov_b32_e32 v3, s0
	s_andn2_b32 vcc_lo, exec_lo, s3
	s_cbranch_vccnz .LBB130_4
; %bb.3:
	v_mov_b32_e32 v4, s1
	v_mov_b32_e32 v3, s0
	flat_load_dwordx2 v[3:4], v[3:4]
.LBB130_4:
	s_waitcnt vmcnt(0) lgkmcnt(0)
	v_cmp_neq_f64_e32 vcc_lo, 0, v[1:2]
	v_cmp_neq_f64_e64 s0, 1.0, v[3:4]
	s_or_b32 s0, vcc_lo, s0
	s_and_saveexec_b32 s1, s0
	s_cbranch_execz .LBB130_23
; %bb.5:
	s_load_dwordx2 s[0:1], s[4:5], 0x0
	v_lshrrev_b32_e32 v5, 6, v0
	v_lshl_or_b32 v5, s6, 1, v5
	s_waitcnt lgkmcnt(0)
	v_cmp_gt_i32_e32 vcc_lo, s0, v5
	s_and_b32 exec_lo, exec_lo, vcc_lo
	s_cbranch_execz .LBB130_23
; %bb.6:
	s_load_dwordx8 s[8:15], s[4:5], 0x10
	v_ashrrev_i32_e32 v6, 31, v5
	v_and_b32_e32 v0, 63, v0
	s_cmp_lg_u32 s1, 0
	v_lshlrev_b64 v[6:7], 2, v[5:6]
	s_waitcnt lgkmcnt(0)
	v_add_co_u32 v6, vcc_lo, s8, v6
	v_add_co_ci_u32_e64 v7, null, s9, v7, vcc_lo
	global_load_dwordx2 v[6:7], v[6:7], off
	s_waitcnt vmcnt(0)
	v_subrev_nc_u32_e32 v6, s2, v6
	v_subrev_nc_u32_e32 v17, s2, v7
	v_add_nc_u32_e32 v6, v6, v0
	v_cmp_lt_i32_e64 s0, v6, v17
	s_cbranch_scc0 .LBB130_12
; %bb.7:
	v_mov_b32_e32 v10, 0
	v_mov_b32_e32 v8, 0
	;; [unrolled: 1-line block ×4, first 2 shown]
	s_and_saveexec_b32 s1, s0
	s_cbranch_execz .LBB130_11
; %bb.8:
	v_mad_u64_u32 v[12:13], null, v6, 24, 22
	v_mov_b32_e32 v10, 0
	v_mov_b32_e32 v8, 0
	;; [unrolled: 1-line block ×6, first 2 shown]
	s_mov_b32 s3, 0
.LBB130_9:                              ; =>This Inner Loop Header: Depth=1
	v_ashrrev_i32_e32 v16, 31, v15
	v_subrev_nc_u32_e32 v13, 22, v12
	v_mov_b32_e32 v67, v14
	v_lshlrev_b64 v[18:19], 2, v[15:16]
	v_add_nc_u32_e32 v15, 64, v15
	v_add_co_u32 v18, vcc_lo, s10, v18
	v_add_co_ci_u32_e64 v19, null, s11, v19, vcc_lo
	global_load_dword v7, v[18:19], off
	v_lshlrev_b64 v[18:19], 3, v[13:14]
	v_add_nc_u32_e32 v13, -14, v12
	v_lshlrev_b64 v[42:43], 3, v[13:14]
	v_add_co_u32 v38, vcc_lo, s12, v18
	v_add_co_ci_u32_e64 v39, null, s13, v19, vcc_lo
	s_waitcnt vmcnt(0)
	v_subrev_nc_u32_e32 v7, s2, v7
	v_mul_lo_u32 v66, v7, 12
	v_lshlrev_b64 v[20:21], 3, v[66:67]
	v_add_nc_u32_e32 v13, 4, v66
	v_lshlrev_b64 v[44:45], 3, v[13:14]
	v_add_co_u32 v34, vcc_lo, s14, v20
	v_add_co_ci_u32_e64 v35, null, s15, v21, vcc_lo
	s_clause 0x1
	global_load_dwordx4 v[18:21], v[38:39], off offset:16
	global_load_dwordx4 v[22:25], v[38:39], off
	global_load_dwordx4 v[26:29], v[34:35], off
	global_load_dwordx4 v[30:33], v[38:39], off offset:32
	global_load_dwordx4 v[34:37], v[34:35], off offset:16
	;; [unrolled: 1-line block ×3, first 2 shown]
	v_add_co_u32 v42, vcc_lo, s12, v42
	v_add_co_ci_u32_e64 v43, null, s13, v43, vcc_lo
	v_add_co_u32 v54, vcc_lo, s14, v44
	v_add_co_ci_u32_e64 v55, null, s15, v45, vcc_lo
	global_load_dwordx4 v[42:45], v[42:43], off
	global_load_dwordx4 v[46:49], v[54:55], off
	v_add_nc_u32_e32 v13, -12, v12
	v_lshlrev_b64 v[50:51], 3, v[13:14]
	v_add_nc_u32_e32 v13, -10, v12
	v_add_co_u32 v50, vcc_lo, s12, v50
	v_add_co_ci_u32_e64 v51, null, s13, v51, vcc_lo
	v_lshlrev_b64 v[56:57], 3, v[13:14]
	v_add_nc_u32_e32 v13, -8, v12
	global_load_dwordx4 v[50:53], v[50:51], off
	v_add_co_u32 v58, vcc_lo, s12, v56
	v_add_co_ci_u32_e64 v59, null, s13, v57, vcc_lo
	global_load_dwordx4 v[54:57], v[54:55], off offset:16
	global_load_dwordx4 v[58:61], v[58:59], off
	v_lshlrev_b64 v[62:63], 3, v[13:14]
	v_add_nc_u32_e32 v13, -6, v12
	v_add_co_u32 v62, vcc_lo, s12, v62
	v_add_co_ci_u32_e64 v63, null, s13, v63, vcc_lo
	v_lshlrev_b64 v[67:68], 3, v[13:14]
	v_add_nc_u32_e32 v13, 8, v66
	global_load_dwordx4 v[62:65], v[62:63], off
	v_lshlrev_b64 v[69:70], 3, v[13:14]
	v_add_co_u32 v66, vcc_lo, s12, v67
	v_add_co_ci_u32_e64 v67, null, s13, v68, vcc_lo
	v_add_nc_u32_e32 v13, -4, v12
	v_add_co_u32 v78, vcc_lo, s14, v69
	v_add_co_ci_u32_e64 v79, null, s15, v70, vcc_lo
	global_load_dwordx4 v[66:69], v[66:67], off
	global_load_dwordx4 v[70:73], v[78:79], off
	v_lshlrev_b64 v[74:75], 3, v[13:14]
	v_add_nc_u32_e32 v13, -2, v12
	v_add_co_u32 v74, vcc_lo, s12, v74
	v_add_co_ci_u32_e64 v75, null, s13, v75, vcc_lo
	v_lshlrev_b64 v[80:81], 3, v[13:14]
	v_mov_b32_e32 v13, v14
	global_load_dwordx4 v[74:77], v[74:75], off
	v_add_co_u32 v82, vcc_lo, s12, v80
	v_add_co_ci_u32_e64 v83, null, s13, v81, vcc_lo
	global_load_dwordx4 v[78:81], v[78:79], off offset:16
	global_load_dwordx4 v[82:85], v[82:83], off
	v_lshlrev_b64 v[86:87], 3, v[12:13]
	v_add_nc_u32_e32 v12, 0x600, v12
	v_add_co_u32 v86, vcc_lo, s12, v86
	v_add_co_ci_u32_e64 v87, null, s13, v87, vcc_lo
	v_cmp_ge_i32_e32 vcc_lo, v15, v17
	global_load_dwordx4 v[86:89], v[86:87], off
	s_or_b32 s3, vcc_lo, s3
	s_waitcnt vmcnt(15)
	v_fma_f64 v[10:11], v[22:23], v[26:27], v[10:11]
	v_fma_f64 v[7:8], v[24:25], v[26:27], v[8:9]
	;; [unrolled: 1-line block ×4, first 2 shown]
	s_waitcnt vmcnt(13)
	v_fma_f64 v[9:10], v[30:31], v[34:35], v[9:10]
	v_fma_f64 v[7:8], v[32:33], v[34:35], v[7:8]
	s_waitcnt vmcnt(12)
	v_fma_f64 v[9:10], v[38:39], v[36:37], v[9:10]
	v_fma_f64 v[7:8], v[40:41], v[36:37], v[7:8]
	;; [unrolled: 3-line block ×10, first 2 shown]
	s_andn2_b32 exec_lo, exec_lo, s3
	s_cbranch_execnz .LBB130_9
; %bb.10:
	s_or_b32 exec_lo, exec_lo, s3
.LBB130_11:
	s_or_b32 exec_lo, exec_lo, s1
	s_cbranch_execz .LBB130_13
	s_branch .LBB130_18
.LBB130_12:
                                        ; implicit-def: $vgpr10_vgpr11
                                        ; implicit-def: $vgpr8_vgpr9
.LBB130_13:
	v_mov_b32_e32 v10, 0
	v_mov_b32_e32 v8, 0
	;; [unrolled: 1-line block ×4, first 2 shown]
	s_and_saveexec_b32 s1, s0
	s_cbranch_execz .LBB130_17
; %bb.14:
	v_mad_u64_u32 v[12:13], null, v6, 24, 23
	v_mov_b32_e32 v10, 0
	v_mov_b32_e32 v8, 0
	;; [unrolled: 1-line block ×5, first 2 shown]
	s_mov_b32 s0, 0
.LBB130_15:                             ; =>This Inner Loop Header: Depth=1
	v_ashrrev_i32_e32 v7, 31, v6
	v_subrev_nc_u32_e32 v13, 23, v12
	v_mov_b32_e32 v51, v14
	v_lshlrev_b64 v[15:16], 2, v[6:7]
	v_lshlrev_b64 v[18:19], 3, v[13:14]
	v_add_nc_u32_e32 v13, -10, v12
	v_add_nc_u32_e32 v6, 64, v6
	v_add_co_u32 v15, vcc_lo, s10, v15
	v_add_co_ci_u32_e64 v16, null, s11, v16, vcc_lo
	v_lshlrev_b64 v[26:27], 3, v[13:14]
	v_add_co_u32 v34, vcc_lo, s12, v18
	global_load_dword v7, v[15:16], off
	v_add_nc_u32_e32 v15, -11, v12
	v_mov_b32_e32 v16, v14
	v_add_co_ci_u32_e64 v35, null, s13, v19, vcc_lo
	v_add_nc_u32_e32 v13, -9, v12
	v_lshlrev_b64 v[15:16], 3, v[15:16]
	v_add_co_u32 v15, vcc_lo, s12, v15
	v_add_co_ci_u32_e64 v16, null, s13, v16, vcc_lo
	v_add_co_u32 v30, vcc_lo, s12, v26
	v_add_co_ci_u32_e64 v31, null, s13, v27, vcc_lo
	s_clause 0x2
	global_load_dwordx4 v[18:21], v[34:35], off offset:16
	global_load_dwordx4 v[22:25], v[34:35], off
	global_load_dwordx2 v[15:16], v[15:16], off
	s_waitcnt vmcnt(3)
	v_subrev_nc_u32_e32 v7, s2, v7
	v_mul_lo_u32 v50, v7, 12
	v_lshlrev_b64 v[26:27], 3, v[50:51]
	v_add_co_u32 v38, vcc_lo, s14, v26
	v_add_co_ci_u32_e64 v39, null, s15, v27, vcc_lo
	global_load_dwordx4 v[26:29], v[38:39], off
	global_load_dwordx2 v[54:55], v[30:31], off
	v_lshlrev_b64 v[30:31], 3, v[13:14]
	v_add_nc_u32_e32 v13, -8, v12
	v_lshlrev_b64 v[42:43], 3, v[13:14]
	v_add_co_u32 v40, vcc_lo, s12, v30
	v_add_co_ci_u32_e64 v41, null, s13, v31, vcc_lo
	s_clause 0x2
	global_load_dwordx4 v[30:33], v[34:35], off offset:48
	global_load_dwordx4 v[34:37], v[34:35], off offset:32
	global_load_dwordx2 v[56:57], v[40:41], off
	global_load_dwordx4 v[38:41], v[38:39], off offset:16
	v_add_co_u32 v42, vcc_lo, s12, v42
	v_add_co_ci_u32_e64 v43, null, s13, v43, vcc_lo
	v_add_nc_u32_e32 v13, 4, v50
	global_load_dwordx2 v[58:59], v[42:43], off
	v_lshlrev_b64 v[42:43], 3, v[13:14]
	v_add_nc_u32_e32 v13, -7, v12
	v_lshlrev_b64 v[44:45], 3, v[13:14]
	v_add_co_u32 v46, vcc_lo, s14, v42
	v_add_co_ci_u32_e64 v47, null, s15, v43, vcc_lo
	v_add_nc_u32_e32 v13, -6, v12
	v_add_co_u32 v60, vcc_lo, s12, v44
	v_add_co_ci_u32_e64 v61, null, s13, v45, vcc_lo
	s_clause 0x1
	global_load_dwordx4 v[42:45], v[46:47], off offset:16
	global_load_dwordx4 v[46:49], v[46:47], off
	global_load_dwordx2 v[60:61], v[60:61], off
	v_lshlrev_b64 v[51:52], 3, v[13:14]
	v_add_nc_u32_e32 v13, -5, v12
	v_add_co_u32 v51, vcc_lo, s12, v51
	v_add_co_ci_u32_e64 v52, null, s13, v52, vcc_lo
	v_lshlrev_b64 v[62:63], 3, v[13:14]
	v_add_nc_u32_e32 v13, -4, v12
	global_load_dwordx2 v[66:67], v[51:52], off
	v_add_co_u32 v62, vcc_lo, s12, v62
	v_lshlrev_b64 v[64:65], 3, v[13:14]
	v_add_co_ci_u32_e64 v63, null, s13, v63, vcc_lo
	v_add_nc_u32_e32 v13, -15, v12
	global_load_dwordx2 v[62:63], v[62:63], off
	v_add_co_u32 v64, vcc_lo, s12, v64
	v_add_co_ci_u32_e64 v65, null, s13, v65, vcc_lo
	global_load_dwordx2 v[64:65], v[64:65], off
	v_lshlrev_b64 v[51:52], 3, v[13:14]
	v_add_nc_u32_e32 v13, 8, v50
	v_lshlrev_b64 v[68:69], 3, v[13:14]
	v_add_nc_u32_e32 v13, -3, v12
	v_add_co_u32 v50, vcc_lo, s12, v51
	v_add_co_ci_u32_e64 v51, null, s13, v52, vcc_lo
	v_lshlrev_b64 v[52:53], 3, v[13:14]
	v_add_nc_u32_e32 v13, -14, v12
	v_add_co_u32 v68, vcc_lo, s14, v68
	v_add_co_ci_u32_e64 v69, null, s15, v69, vcc_lo
	;; [unrolled: 4-line block ×5, first 2 shown]
	v_add_co_u32 v78, vcc_lo, s12, v78
	global_load_dwordx2 v[70:71], v[50:51], off
	v_add_co_ci_u32_e64 v79, null, s13, v79, vcc_lo
	global_load_dwordx4 v[50:53], v[68:69], off offset:16
	s_waitcnt vmcnt(14)
	v_fma_f64 v[10:11], v[22:23], v[26:27], v[10:11]
	v_lshlrev_b64 v[22:23], 3, v[13:14]
	v_mov_b32_e32 v13, v14
	v_fma_f64 v[7:8], v[15:16], v[26:27], v[8:9]
	v_lshlrev_b64 v[15:16], 3, v[12:13]
	v_add_co_u32 v80, vcc_lo, s12, v22
	v_add_co_ci_u32_e64 v81, null, s13, v23, vcc_lo
	v_add_nc_u32_e32 v13, -12, v12
	v_add_co_u32 v15, vcc_lo, s12, v15
	v_add_co_ci_u32_e64 v16, null, s13, v16, vcc_lo
	v_lshlrev_b64 v[26:27], 3, v[13:14]
	v_add_nc_u32_e32 v12, 0x600, v12
	v_fma_f64 v[10:11], v[24:25], v[28:29], v[10:11]
	global_load_dwordx4 v[22:25], v[68:69], off
	s_clause 0x4
	global_load_dwordx2 v[68:69], v[74:75], off
	global_load_dwordx2 v[72:73], v[72:73], off
	global_load_dwordx2 v[74:75], v[76:77], off
	global_load_dwordx2 v[76:77], v[78:79], off
	global_load_dwordx2 v[78:79], v[80:81], off
	v_add_co_u32 v26, vcc_lo, s12, v26
	v_add_co_ci_u32_e64 v27, null, s13, v27, vcc_lo
	s_clause 0x1
	global_load_dwordx2 v[26:27], v[26:27], off
	global_load_dwordx2 v[15:16], v[15:16], off
	s_waitcnt vmcnt(21)
	v_fma_f64 v[7:8], v[54:55], v[28:29], v[7:8]
	v_cmp_ge_i32_e32 vcc_lo, v6, v17
	s_or_b32 s0, vcc_lo, s0
	s_waitcnt vmcnt(17)
	v_fma_f64 v[9:10], v[18:19], v[38:39], v[10:11]
	v_fma_f64 v[7:8], v[56:57], v[38:39], v[7:8]
	;; [unrolled: 1-line block ×3, first 2 shown]
	s_waitcnt vmcnt(16)
	v_fma_f64 v[7:8], v[58:59], v[40:41], v[7:8]
	s_waitcnt vmcnt(14)
	v_fma_f64 v[9:10], v[34:35], v[46:47], v[9:10]
	;; [unrolled: 2-line block ×3, first 2 shown]
	v_fma_f64 v[9:10], v[36:37], v[48:49], v[9:10]
	s_waitcnt vmcnt(12)
	v_fma_f64 v[7:8], v[66:67], v[48:49], v[7:8]
	v_fma_f64 v[9:10], v[30:31], v[42:43], v[9:10]
	s_waitcnt vmcnt(11)
	v_fma_f64 v[7:8], v[62:63], v[42:43], v[7:8]
	;; [unrolled: 3-line block ×3, first 2 shown]
	s_waitcnt vmcnt(7)
	v_fma_f64 v[9:10], v[70:71], v[22:23], v[9:10]
	s_waitcnt vmcnt(6)
	v_fma_f64 v[7:8], v[68:69], v[22:23], v[7:8]
	;; [unrolled: 2-line block ×8, first 2 shown]
	s_andn2_b32 exec_lo, exec_lo, s0
	s_cbranch_execnz .LBB130_15
; %bb.16:
	s_or_b32 exec_lo, exec_lo, s0
.LBB130_17:
	s_or_b32 exec_lo, exec_lo, s1
.LBB130_18:
	v_mbcnt_lo_u32_b32 v14, -1, 0
	v_or_b32_e32 v6, 32, v14
	v_cmp_gt_i32_e32 vcc_lo, 32, v6
	v_cndmask_b32_e32 v6, v14, v6, vcc_lo
	v_lshlrev_b32_e32 v13, 2, v6
	ds_bpermute_b32 v6, v13, v10
	ds_bpermute_b32 v7, v13, v11
	ds_bpermute_b32 v12, v13, v8
	ds_bpermute_b32 v13, v13, v9
	s_waitcnt lgkmcnt(2)
	v_add_f64 v[6:7], v[10:11], v[6:7]
	v_xor_b32_e32 v10, 16, v14
	s_waitcnt lgkmcnt(0)
	v_add_f64 v[8:9], v[8:9], v[12:13]
	v_cmp_gt_i32_e32 vcc_lo, 32, v10
	v_cndmask_b32_e32 v10, v14, v10, vcc_lo
	v_lshlrev_b32_e32 v13, 2, v10
	ds_bpermute_b32 v10, v13, v6
	ds_bpermute_b32 v11, v13, v7
	ds_bpermute_b32 v12, v13, v8
	ds_bpermute_b32 v13, v13, v9
	s_waitcnt lgkmcnt(2)
	v_add_f64 v[6:7], v[6:7], v[10:11]
	v_xor_b32_e32 v10, 8, v14
	s_waitcnt lgkmcnt(0)
	v_add_f64 v[8:9], v[8:9], v[12:13]
	;; [unrolled: 12-line block ×4, first 2 shown]
	v_cmp_gt_i32_e32 vcc_lo, 32, v10
	v_cndmask_b32_e32 v10, v14, v10, vcc_lo
	v_lshlrev_b32_e32 v13, 2, v10
	ds_bpermute_b32 v10, v13, v6
	ds_bpermute_b32 v11, v13, v7
	;; [unrolled: 1-line block ×4, first 2 shown]
	s_waitcnt lgkmcnt(2)
	v_add_f64 v[6:7], v[6:7], v[10:11]
	s_waitcnt lgkmcnt(0)
	v_add_f64 v[10:11], v[8:9], v[12:13]
	v_xor_b32_e32 v8, 1, v14
	v_cmp_gt_i32_e32 vcc_lo, 32, v8
	v_cndmask_b32_e32 v8, v14, v8, vcc_lo
	v_cmp_eq_u32_e32 vcc_lo, 63, v0
	v_lshlrev_b32_e32 v13, 2, v8
	ds_bpermute_b32 v8, v13, v6
	ds_bpermute_b32 v9, v13, v7
	;; [unrolled: 1-line block ×4, first 2 shown]
	s_and_b32 exec_lo, exec_lo, vcc_lo
	s_cbranch_execz .LBB130_23
; %bb.19:
	s_waitcnt lgkmcnt(2)
	v_add_f64 v[8:9], v[6:7], v[8:9]
	s_waitcnt lgkmcnt(0)
	v_add_f64 v[6:7], v[10:11], v[12:13]
	s_load_dwordx2 s[0:1], s[4:5], 0x38
	s_mov_b32 s2, exec_lo
	v_cmpx_eq_f64_e32 0, v[3:4]
	s_xor_b32 s2, exec_lo, s2
	s_cbranch_execz .LBB130_21
; %bb.20:
	v_lshlrev_b32_e32 v0, 1, v5
	v_mul_f64 v[3:4], v[1:2], v[8:9]
	v_mul_f64 v[5:6], v[1:2], v[6:7]
                                        ; implicit-def: $vgpr8_vgpr9
	v_ashrrev_i32_e32 v1, 31, v0
	v_lshlrev_b64 v[0:1], 3, v[0:1]
	s_waitcnt lgkmcnt(0)
	v_add_co_u32 v0, vcc_lo, s0, v0
	v_add_co_ci_u32_e64 v1, null, s1, v1, vcc_lo
	global_store_dwordx4 v[0:1], v[3:6], off
                                        ; implicit-def: $vgpr5
                                        ; implicit-def: $vgpr1_vgpr2
                                        ; implicit-def: $vgpr3_vgpr4
                                        ; implicit-def: $vgpr6_vgpr7
.LBB130_21:
	s_andn2_saveexec_b32 s2, s2
	s_cbranch_execz .LBB130_23
; %bb.22:
	v_lshlrev_b32_e32 v10, 1, v5
	v_mul_f64 v[8:9], v[1:2], v[8:9]
	v_mul_f64 v[5:6], v[1:2], v[6:7]
	v_ashrrev_i32_e32 v11, 31, v10
	v_lshlrev_b64 v[10:11], 3, v[10:11]
	s_waitcnt lgkmcnt(0)
	v_add_co_u32 v14, vcc_lo, s0, v10
	v_add_co_ci_u32_e64 v15, null, s1, v11, vcc_lo
	global_load_dwordx4 v[10:13], v[14:15], off
	s_waitcnt vmcnt(0)
	v_fma_f64 v[0:1], v[3:4], v[10:11], v[8:9]
	v_fma_f64 v[2:3], v[3:4], v[12:13], v[5:6]
	global_store_dwordx4 v[14:15], v[0:3], off
.LBB130_23:
	s_endpgm
	.section	.rodata,"a",@progbits
	.p2align	6, 0x0
	.amdhsa_kernel _ZN9rocsparseL19gebsrmvn_2xn_kernelILj128ELj12ELj64EdEEvi20rocsparse_direction_NS_24const_host_device_scalarIT2_EEPKiS6_PKS3_S8_S4_PS3_21rocsparse_index_base_b
		.amdhsa_group_segment_fixed_size 0
		.amdhsa_private_segment_fixed_size 0
		.amdhsa_kernarg_size 72
		.amdhsa_user_sgpr_count 6
		.amdhsa_user_sgpr_private_segment_buffer 1
		.amdhsa_user_sgpr_dispatch_ptr 0
		.amdhsa_user_sgpr_queue_ptr 0
		.amdhsa_user_sgpr_kernarg_segment_ptr 1
		.amdhsa_user_sgpr_dispatch_id 0
		.amdhsa_user_sgpr_flat_scratch_init 0
		.amdhsa_user_sgpr_private_segment_size 0
		.amdhsa_wavefront_size32 1
		.amdhsa_uses_dynamic_stack 0
		.amdhsa_system_sgpr_private_segment_wavefront_offset 0
		.amdhsa_system_sgpr_workgroup_id_x 1
		.amdhsa_system_sgpr_workgroup_id_y 0
		.amdhsa_system_sgpr_workgroup_id_z 0
		.amdhsa_system_sgpr_workgroup_info 0
		.amdhsa_system_vgpr_workitem_id 0
		.amdhsa_next_free_vgpr 90
		.amdhsa_next_free_sgpr 16
		.amdhsa_reserve_vcc 1
		.amdhsa_reserve_flat_scratch 0
		.amdhsa_float_round_mode_32 0
		.amdhsa_float_round_mode_16_64 0
		.amdhsa_float_denorm_mode_32 3
		.amdhsa_float_denorm_mode_16_64 3
		.amdhsa_dx10_clamp 1
		.amdhsa_ieee_mode 1
		.amdhsa_fp16_overflow 0
		.amdhsa_workgroup_processor_mode 1
		.amdhsa_memory_ordered 1
		.amdhsa_forward_progress 1
		.amdhsa_shared_vgpr_count 0
		.amdhsa_exception_fp_ieee_invalid_op 0
		.amdhsa_exception_fp_denorm_src 0
		.amdhsa_exception_fp_ieee_div_zero 0
		.amdhsa_exception_fp_ieee_overflow 0
		.amdhsa_exception_fp_ieee_underflow 0
		.amdhsa_exception_fp_ieee_inexact 0
		.amdhsa_exception_int_div_zero 0
	.end_amdhsa_kernel
	.section	.text._ZN9rocsparseL19gebsrmvn_2xn_kernelILj128ELj12ELj64EdEEvi20rocsparse_direction_NS_24const_host_device_scalarIT2_EEPKiS6_PKS3_S8_S4_PS3_21rocsparse_index_base_b,"axG",@progbits,_ZN9rocsparseL19gebsrmvn_2xn_kernelILj128ELj12ELj64EdEEvi20rocsparse_direction_NS_24const_host_device_scalarIT2_EEPKiS6_PKS3_S8_S4_PS3_21rocsparse_index_base_b,comdat
.Lfunc_end130:
	.size	_ZN9rocsparseL19gebsrmvn_2xn_kernelILj128ELj12ELj64EdEEvi20rocsparse_direction_NS_24const_host_device_scalarIT2_EEPKiS6_PKS3_S8_S4_PS3_21rocsparse_index_base_b, .Lfunc_end130-_ZN9rocsparseL19gebsrmvn_2xn_kernelILj128ELj12ELj64EdEEvi20rocsparse_direction_NS_24const_host_device_scalarIT2_EEPKiS6_PKS3_S8_S4_PS3_21rocsparse_index_base_b
                                        ; -- End function
	.set _ZN9rocsparseL19gebsrmvn_2xn_kernelILj128ELj12ELj64EdEEvi20rocsparse_direction_NS_24const_host_device_scalarIT2_EEPKiS6_PKS3_S8_S4_PS3_21rocsparse_index_base_b.num_vgpr, 90
	.set _ZN9rocsparseL19gebsrmvn_2xn_kernelILj128ELj12ELj64EdEEvi20rocsparse_direction_NS_24const_host_device_scalarIT2_EEPKiS6_PKS3_S8_S4_PS3_21rocsparse_index_base_b.num_agpr, 0
	.set _ZN9rocsparseL19gebsrmvn_2xn_kernelILj128ELj12ELj64EdEEvi20rocsparse_direction_NS_24const_host_device_scalarIT2_EEPKiS6_PKS3_S8_S4_PS3_21rocsparse_index_base_b.numbered_sgpr, 16
	.set _ZN9rocsparseL19gebsrmvn_2xn_kernelILj128ELj12ELj64EdEEvi20rocsparse_direction_NS_24const_host_device_scalarIT2_EEPKiS6_PKS3_S8_S4_PS3_21rocsparse_index_base_b.num_named_barrier, 0
	.set _ZN9rocsparseL19gebsrmvn_2xn_kernelILj128ELj12ELj64EdEEvi20rocsparse_direction_NS_24const_host_device_scalarIT2_EEPKiS6_PKS3_S8_S4_PS3_21rocsparse_index_base_b.private_seg_size, 0
	.set _ZN9rocsparseL19gebsrmvn_2xn_kernelILj128ELj12ELj64EdEEvi20rocsparse_direction_NS_24const_host_device_scalarIT2_EEPKiS6_PKS3_S8_S4_PS3_21rocsparse_index_base_b.uses_vcc, 1
	.set _ZN9rocsparseL19gebsrmvn_2xn_kernelILj128ELj12ELj64EdEEvi20rocsparse_direction_NS_24const_host_device_scalarIT2_EEPKiS6_PKS3_S8_S4_PS3_21rocsparse_index_base_b.uses_flat_scratch, 0
	.set _ZN9rocsparseL19gebsrmvn_2xn_kernelILj128ELj12ELj64EdEEvi20rocsparse_direction_NS_24const_host_device_scalarIT2_EEPKiS6_PKS3_S8_S4_PS3_21rocsparse_index_base_b.has_dyn_sized_stack, 0
	.set _ZN9rocsparseL19gebsrmvn_2xn_kernelILj128ELj12ELj64EdEEvi20rocsparse_direction_NS_24const_host_device_scalarIT2_EEPKiS6_PKS3_S8_S4_PS3_21rocsparse_index_base_b.has_recursion, 0
	.set _ZN9rocsparseL19gebsrmvn_2xn_kernelILj128ELj12ELj64EdEEvi20rocsparse_direction_NS_24const_host_device_scalarIT2_EEPKiS6_PKS3_S8_S4_PS3_21rocsparse_index_base_b.has_indirect_call, 0
	.section	.AMDGPU.csdata,"",@progbits
; Kernel info:
; codeLenInByte = 2964
; TotalNumSgprs: 18
; NumVgprs: 90
; ScratchSize: 0
; MemoryBound: 1
; FloatMode: 240
; IeeeMode: 1
; LDSByteSize: 0 bytes/workgroup (compile time only)
; SGPRBlocks: 0
; VGPRBlocks: 11
; NumSGPRsForWavesPerEU: 18
; NumVGPRsForWavesPerEU: 90
; Occupancy: 10
; WaveLimiterHint : 1
; COMPUTE_PGM_RSRC2:SCRATCH_EN: 0
; COMPUTE_PGM_RSRC2:USER_SGPR: 6
; COMPUTE_PGM_RSRC2:TRAP_HANDLER: 0
; COMPUTE_PGM_RSRC2:TGID_X_EN: 1
; COMPUTE_PGM_RSRC2:TGID_Y_EN: 0
; COMPUTE_PGM_RSRC2:TGID_Z_EN: 0
; COMPUTE_PGM_RSRC2:TIDIG_COMP_CNT: 0
	.section	.text._ZN9rocsparseL19gebsrmvn_2xn_kernelILj128ELj13ELj4EdEEvi20rocsparse_direction_NS_24const_host_device_scalarIT2_EEPKiS6_PKS3_S8_S4_PS3_21rocsparse_index_base_b,"axG",@progbits,_ZN9rocsparseL19gebsrmvn_2xn_kernelILj128ELj13ELj4EdEEvi20rocsparse_direction_NS_24const_host_device_scalarIT2_EEPKiS6_PKS3_S8_S4_PS3_21rocsparse_index_base_b,comdat
	.globl	_ZN9rocsparseL19gebsrmvn_2xn_kernelILj128ELj13ELj4EdEEvi20rocsparse_direction_NS_24const_host_device_scalarIT2_EEPKiS6_PKS3_S8_S4_PS3_21rocsparse_index_base_b ; -- Begin function _ZN9rocsparseL19gebsrmvn_2xn_kernelILj128ELj13ELj4EdEEvi20rocsparse_direction_NS_24const_host_device_scalarIT2_EEPKiS6_PKS3_S8_S4_PS3_21rocsparse_index_base_b
	.p2align	8
	.type	_ZN9rocsparseL19gebsrmvn_2xn_kernelILj128ELj13ELj4EdEEvi20rocsparse_direction_NS_24const_host_device_scalarIT2_EEPKiS6_PKS3_S8_S4_PS3_21rocsparse_index_base_b,@function
_ZN9rocsparseL19gebsrmvn_2xn_kernelILj128ELj13ELj4EdEEvi20rocsparse_direction_NS_24const_host_device_scalarIT2_EEPKiS6_PKS3_S8_S4_PS3_21rocsparse_index_base_b: ; @_ZN9rocsparseL19gebsrmvn_2xn_kernelILj128ELj13ELj4EdEEvi20rocsparse_direction_NS_24const_host_device_scalarIT2_EEPKiS6_PKS3_S8_S4_PS3_21rocsparse_index_base_b
; %bb.0:
	s_clause 0x2
	s_load_dwordx2 s[2:3], s[4:5], 0x40
	s_load_dwordx2 s[8:9], s[4:5], 0x8
	;; [unrolled: 1-line block ×3, first 2 shown]
	s_waitcnt lgkmcnt(0)
	s_bitcmp1_b32 s3, 0
	v_mov_b32_e32 v1, s8
	v_mov_b32_e32 v2, s9
	s_cselect_b32 s3, -1, 0
	s_and_b32 vcc_lo, exec_lo, s3
	s_xor_b32 s3, s3, -1
	s_cbranch_vccnz .LBB131_2
; %bb.1:
	v_mov_b32_e32 v1, s8
	v_mov_b32_e32 v2, s9
	flat_load_dwordx2 v[1:2], v[1:2]
.LBB131_2:
	v_mov_b32_e32 v4, s1
	v_mov_b32_e32 v3, s0
	s_andn2_b32 vcc_lo, exec_lo, s3
	s_cbranch_vccnz .LBB131_4
; %bb.3:
	v_mov_b32_e32 v4, s1
	v_mov_b32_e32 v3, s0
	flat_load_dwordx2 v[3:4], v[3:4]
.LBB131_4:
	s_waitcnt vmcnt(0) lgkmcnt(0)
	v_cmp_neq_f64_e32 vcc_lo, 0, v[1:2]
	v_cmp_neq_f64_e64 s0, 1.0, v[3:4]
	s_or_b32 s0, vcc_lo, s0
	s_and_saveexec_b32 s1, s0
	s_cbranch_execz .LBB131_23
; %bb.5:
	s_load_dwordx2 s[0:1], s[4:5], 0x0
	v_lshrrev_b32_e32 v5, 2, v0
	v_lshl_or_b32 v5, s6, 5, v5
	s_waitcnt lgkmcnt(0)
	v_cmp_gt_i32_e32 vcc_lo, s0, v5
	s_and_b32 exec_lo, exec_lo, vcc_lo
	s_cbranch_execz .LBB131_23
; %bb.6:
	s_load_dwordx8 s[8:15], s[4:5], 0x10
	v_ashrrev_i32_e32 v6, 31, v5
	v_and_b32_e32 v0, 3, v0
	s_cmp_lg_u32 s1, 0
	v_lshlrev_b64 v[6:7], 2, v[5:6]
	s_waitcnt lgkmcnt(0)
	v_add_co_u32 v6, vcc_lo, s8, v6
	v_add_co_ci_u32_e64 v7, null, s9, v7, vcc_lo
	global_load_dwordx2 v[6:7], v[6:7], off
	s_waitcnt vmcnt(0)
	v_subrev_nc_u32_e32 v6, s2, v6
	v_subrev_nc_u32_e32 v18, s2, v7
	v_add_nc_u32_e32 v6, v6, v0
	v_cmp_lt_i32_e64 s0, v6, v18
	s_cbranch_scc0 .LBB131_12
; %bb.7:
	v_mov_b32_e32 v8, 0
	v_mov_b32_e32 v10, 0
	;; [unrolled: 1-line block ×4, first 2 shown]
	s_and_saveexec_b32 s1, s0
	s_cbranch_execz .LBB131_11
; %bb.8:
	v_mad_u64_u32 v[7:8], null, v6, 26, 24
	v_mov_b32_e32 v8, 0
	v_mov_b32_e32 v10, 0
	;; [unrolled: 1-line block ×6, first 2 shown]
	s_mov_b32 s3, 0
.LBB131_9:                              ; =>This Inner Loop Header: Depth=1
	v_ashrrev_i32_e32 v15, 31, v14
	v_subrev_nc_u32_e32 v12, 24, v7
	v_lshlrev_b64 v[15:16], 2, v[14:15]
	v_lshlrev_b64 v[19:20], 3, v[12:13]
	v_subrev_nc_u32_e32 v12, 22, v7
	v_add_nc_u32_e32 v14, 4, v14
	v_add_co_u32 v15, vcc_lo, s10, v15
	v_add_co_ci_u32_e64 v16, null, s11, v16, vcc_lo
	v_lshlrev_b64 v[21:22], 3, v[12:13]
	v_add_co_u32 v19, vcc_lo, s12, v19
	global_load_dword v15, v[15:16], off
	v_mov_b32_e32 v16, v13
	v_add_co_ci_u32_e64 v20, null, s13, v20, vcc_lo
	v_add_co_u32 v23, vcc_lo, s12, v21
	v_add_co_ci_u32_e64 v24, null, s13, v22, vcc_lo
	s_clause 0x1
	global_load_dwordx4 v[19:22], v[19:20], off
	global_load_dwordx4 v[23:26], v[23:24], off
	s_waitcnt vmcnt(2)
	v_subrev_nc_u32_e32 v12, s2, v15
	v_mul_lo_u32 v15, v12, 13
	v_lshlrev_b64 v[16:17], 3, v[15:16]
	v_add_nc_u32_e32 v12, 1, v15
	v_lshlrev_b64 v[27:28], 3, v[12:13]
	v_add_co_u32 v16, vcc_lo, s14, v16
	v_add_co_ci_u32_e64 v17, null, s15, v17, vcc_lo
	v_subrev_nc_u32_e32 v12, 20, v7
	v_add_co_u32 v27, vcc_lo, s14, v27
	global_load_dwordx2 v[16:17], v[16:17], off
	v_add_co_ci_u32_e64 v28, null, s15, v28, vcc_lo
	v_lshlrev_b64 v[29:30], 3, v[12:13]
	v_add_nc_u32_e32 v12, 2, v15
	global_load_dwordx2 v[47:48], v[27:28], off
	v_lshlrev_b64 v[31:32], 3, v[12:13]
	v_add_co_u32 v27, vcc_lo, s12, v29
	v_add_co_ci_u32_e64 v28, null, s13, v30, vcc_lo
	v_subrev_nc_u32_e32 v12, 18, v7
	v_add_co_u32 v31, vcc_lo, s14, v31
	v_add_co_ci_u32_e64 v32, null, s15, v32, vcc_lo
	global_load_dwordx4 v[27:30], v[27:28], off
	v_lshlrev_b64 v[33:34], 3, v[12:13]
	v_add_nc_u32_e32 v12, 3, v15
	global_load_dwordx2 v[49:50], v[31:32], off
	v_lshlrev_b64 v[35:36], 3, v[12:13]
	v_add_co_u32 v31, vcc_lo, s12, v33
	v_add_co_ci_u32_e64 v32, null, s13, v34, vcc_lo
	v_add_nc_u32_e32 v12, -16, v7
	v_add_co_u32 v35, vcc_lo, s14, v35
	v_add_co_ci_u32_e64 v36, null, s15, v36, vcc_lo
	global_load_dwordx4 v[31:34], v[31:32], off
	v_lshlrev_b64 v[37:38], 3, v[12:13]
	v_add_nc_u32_e32 v12, 4, v15
	global_load_dwordx2 v[51:52], v[35:36], off
	v_lshlrev_b64 v[39:40], 3, v[12:13]
	v_add_co_u32 v35, vcc_lo, s12, v37
	v_add_co_ci_u32_e64 v36, null, s13, v38, vcc_lo
	v_add_nc_u32_e32 v12, -14, v7
	v_add_co_u32 v39, vcc_lo, s14, v39
	v_add_co_ci_u32_e64 v40, null, s15, v40, vcc_lo
	global_load_dwordx4 v[35:38], v[35:36], off
	global_load_dwordx2 v[53:54], v[39:40], off
	v_lshlrev_b64 v[41:42], 3, v[12:13]
	v_add_nc_u32_e32 v12, 5, v15
	v_lshlrev_b64 v[39:40], 3, v[12:13]
	v_add_co_u32 v41, vcc_lo, s12, v41
	v_add_co_ci_u32_e64 v42, null, s13, v42, vcc_lo
	v_add_nc_u32_e32 v12, -12, v7
	v_add_co_u32 v45, vcc_lo, s14, v39
	v_add_co_ci_u32_e64 v46, null, s15, v40, vcc_lo
	global_load_dwordx4 v[39:42], v[41:42], off
	global_load_dwordx2 v[55:56], v[45:46], off
	v_lshlrev_b64 v[43:44], 3, v[12:13]
	v_add_nc_u32_e32 v12, 6, v15
	v_lshlrev_b64 v[45:46], 3, v[12:13]
	v_add_co_u32 v43, vcc_lo, s12, v43
	v_add_co_ci_u32_e64 v44, null, s13, v44, vcc_lo
	v_add_nc_u32_e32 v12, -10, v7
	v_add_co_u32 v59, vcc_lo, s14, v45
	v_add_co_ci_u32_e64 v60, null, s15, v46, vcc_lo
	global_load_dwordx4 v[43:46], v[43:44], off
	global_load_dwordx2 v[59:60], v[59:60], off
	v_lshlrev_b64 v[57:58], 3, v[12:13]
	v_add_nc_u32_e32 v12, 7, v15
	v_lshlrev_b64 v[61:62], 3, v[12:13]
	v_add_co_u32 v57, vcc_lo, s12, v57
	v_add_co_ci_u32_e64 v58, null, s13, v58, vcc_lo
	v_add_nc_u32_e32 v12, -8, v7
	v_add_co_u32 v61, vcc_lo, s14, v61
	v_add_co_ci_u32_e64 v62, null, s15, v62, vcc_lo
	s_waitcnt vmcnt(11)
	v_fma_f64 v[8:9], v[19:20], v[16:17], v[8:9]
	v_fma_f64 v[10:11], v[21:22], v[16:17], v[10:11]
	global_load_dwordx4 v[19:22], v[57:58], off
	global_load_dwordx2 v[57:58], v[61:62], off
	v_lshlrev_b64 v[16:17], 3, v[12:13]
	v_add_nc_u32_e32 v12, 8, v15
	v_lshlrev_b64 v[61:62], 3, v[12:13]
	v_add_co_u32 v16, vcc_lo, s12, v16
	v_add_co_ci_u32_e64 v17, null, s13, v17, vcc_lo
	v_add_nc_u32_e32 v12, -6, v7
	v_add_co_u32 v61, vcc_lo, s14, v61
	v_add_co_ci_u32_e64 v62, null, s15, v62, vcc_lo
	s_waitcnt vmcnt(12)
	v_fma_f64 v[8:9], v[23:24], v[47:48], v[8:9]
	v_fma_f64 v[10:11], v[25:26], v[47:48], v[10:11]
	global_load_dwordx4 v[23:26], v[16:17], off
	global_load_dwordx2 v[16:17], v[61:62], off
	v_lshlrev_b64 v[47:48], 3, v[12:13]
	v_add_nc_u32_e32 v12, 9, v15
	v_add_co_u32 v47, vcc_lo, s12, v47
	v_lshlrev_b64 v[61:62], 3, v[12:13]
	v_add_co_ci_u32_e64 v48, null, s13, v48, vcc_lo
	v_add_nc_u32_e32 v12, -4, v7
	s_waitcnt vmcnt(12)
	v_fma_f64 v[8:9], v[27:28], v[49:50], v[8:9]
	v_fma_f64 v[10:11], v[29:30], v[49:50], v[10:11]
	global_load_dwordx4 v[27:30], v[47:48], off
	v_add_co_u32 v47, vcc_lo, s14, v61
	v_add_co_ci_u32_e64 v48, null, s15, v62, vcc_lo
	v_lshlrev_b64 v[49:50], 3, v[12:13]
	v_add_nc_u32_e32 v12, 10, v15
	global_load_dwordx2 v[47:48], v[47:48], off
	v_lshlrev_b64 v[61:62], 3, v[12:13]
	v_add_nc_u32_e32 v12, -2, v7
	v_add_co_u32 v49, vcc_lo, s12, v49
	v_add_co_ci_u32_e64 v50, null, s13, v50, vcc_lo
	s_waitcnt vmcnt(12)
	v_fma_f64 v[63:64], v[31:32], v[51:52], v[8:9]
	v_lshlrev_b64 v[31:32], 3, v[12:13]
	v_fma_f64 v[9:10], v[33:34], v[51:52], v[10:11]
	v_add_co_u32 v51, vcc_lo, s14, v61
	v_add_co_ci_u32_e64 v52, null, s15, v62, vcc_lo
	v_add_co_u32 v61, vcc_lo, s12, v31
	v_add_co_ci_u32_e64 v62, null, s13, v32, vcc_lo
	global_load_dwordx4 v[31:34], v[49:50], off
	global_load_dwordx2 v[49:50], v[51:52], off
	v_add_nc_u32_e32 v12, 11, v15
	v_mov_b32_e32 v8, v13
	v_lshlrev_b64 v[11:12], 3, v[12:13]
	s_waitcnt vmcnt(12)
	v_fma_f64 v[51:52], v[35:36], v[53:54], v[63:64]
	v_add_co_u32 v11, vcc_lo, s14, v11
	v_add_co_ci_u32_e64 v12, null, s15, v12, vcc_lo
	v_fma_f64 v[53:54], v[37:38], v[53:54], v[9:10]
	global_load_dwordx4 v[35:38], v[61:62], off
	global_load_dwordx2 v[61:62], v[11:12], off
	v_add_nc_u32_e32 v12, 12, v15
	v_lshlrev_b64 v[8:9], 3, v[7:8]
	v_add_nc_u32_e32 v7, 0x68, v7
	v_lshlrev_b64 v[10:11], 3, v[12:13]
	v_add_co_u32 v8, vcc_lo, s12, v8
	v_add_co_ci_u32_e64 v9, null, s13, v9, vcc_lo
	v_add_co_u32 v63, vcc_lo, s14, v10
	v_add_co_ci_u32_e64 v64, null, s15, v11, vcc_lo
	global_load_dwordx4 v[8:11], v[8:9], off
	global_load_dwordx2 v[63:64], v[63:64], off
	s_waitcnt vmcnt(14)
	v_fma_f64 v[39:40], v[39:40], v[55:56], v[51:52]
	v_fma_f64 v[41:42], v[41:42], v[55:56], v[53:54]
	v_cmp_ge_i32_e32 vcc_lo, v14, v18
	s_or_b32 s3, vcc_lo, s3
	s_waitcnt vmcnt(12)
	v_fma_f64 v[39:40], v[43:44], v[59:60], v[39:40]
	v_fma_f64 v[41:42], v[45:46], v[59:60], v[41:42]
	s_waitcnt vmcnt(10)
	v_fma_f64 v[19:20], v[19:20], v[57:58], v[39:40]
	v_fma_f64 v[21:22], v[21:22], v[57:58], v[41:42]
	;; [unrolled: 3-line block ×7, first 2 shown]
	s_andn2_b32 exec_lo, exec_lo, s3
	s_cbranch_execnz .LBB131_9
; %bb.10:
	s_or_b32 exec_lo, exec_lo, s3
.LBB131_11:
	s_or_b32 exec_lo, exec_lo, s1
	s_cbranch_execz .LBB131_13
	s_branch .LBB131_18
.LBB131_12:
                                        ; implicit-def: $vgpr8_vgpr9
                                        ; implicit-def: $vgpr10_vgpr11
.LBB131_13:
	v_mov_b32_e32 v8, 0
	v_mov_b32_e32 v10, 0
	;; [unrolled: 1-line block ×4, first 2 shown]
	s_and_saveexec_b32 s1, s0
	s_cbranch_execz .LBB131_17
; %bb.14:
	v_mad_u64_u32 v[12:13], null, v6, 26, 25
	v_mov_b32_e32 v8, 0
	v_mov_b32_e32 v10, 0
	;; [unrolled: 1-line block ×5, first 2 shown]
	s_mov_b32 s0, 0
.LBB131_15:                             ; =>This Inner Loop Header: Depth=1
	v_ashrrev_i32_e32 v7, 31, v6
	v_subrev_nc_u32_e32 v14, 25, v12
	v_add_nc_u32_e32 v19, -12, v12
	v_mov_b32_e32 v20, v15
	v_mov_b32_e32 v13, v15
	v_lshlrev_b64 v[21:22], 2, v[6:7]
	v_lshlrev_b64 v[23:24], 3, v[14:15]
	v_mov_b32_e32 v17, v15
	v_lshlrev_b64 v[19:20], 3, v[19:20]
	v_lshlrev_b64 v[13:14], 3, v[12:13]
	v_add_nc_u32_e32 v6, 4, v6
	v_add_co_u32 v21, vcc_lo, s10, v21
	v_add_co_ci_u32_e64 v22, null, s11, v22, vcc_lo
	v_add_co_u32 v23, vcc_lo, s12, v23
	v_add_co_ci_u32_e64 v24, null, s13, v24, vcc_lo
	global_load_dword v7, v[21:22], off
	v_add_co_u32 v19, vcc_lo, s12, v19
	v_add_co_ci_u32_e64 v20, null, s13, v20, vcc_lo
	v_add_co_u32 v25, vcc_lo, s12, v13
	v_add_co_ci_u32_e64 v26, null, s13, v14, vcc_lo
	s_waitcnt vmcnt(0)
	v_subrev_nc_u32_e32 v7, s2, v7
	v_mul_lo_u32 v16, v7, 13
	v_add_nc_u32_e32 v14, 1, v16
	v_lshlrev_b64 v[21:22], 3, v[16:17]
	v_lshlrev_b64 v[27:28], 3, v[14:15]
	v_add_nc_u32_e32 v14, -11, v12
	v_add_co_u32 v21, vcc_lo, s14, v21
	v_add_co_ci_u32_e64 v22, null, s15, v22, vcc_lo
	v_lshlrev_b64 v[29:30], 3, v[14:15]
	v_subrev_nc_u32_e32 v14, 23, v12
	v_add_co_u32 v27, vcc_lo, s14, v27
	v_add_co_ci_u32_e64 v28, null, s15, v28, vcc_lo
	v_lshlrev_b64 v[31:32], 3, v[14:15]
	v_add_nc_u32_e32 v14, 2, v16
	v_add_co_u32 v29, vcc_lo, s12, v29
	v_add_co_ci_u32_e64 v30, null, s13, v30, vcc_lo
	v_lshlrev_b64 v[33:34], 3, v[14:15]
	v_add_nc_u32_e32 v14, -10, v12
	v_add_co_u32 v31, vcc_lo, s12, v31
	v_add_co_ci_u32_e64 v32, null, s13, v32, vcc_lo
	v_lshlrev_b64 v[35:36], 3, v[14:15]
	v_subrev_nc_u32_e32 v14, 22, v12
	v_add_co_u32 v33, vcc_lo, s14, v33
	v_add_co_ci_u32_e64 v34, null, s15, v34, vcc_lo
	v_lshlrev_b64 v[37:38], 3, v[14:15]
	v_add_nc_u32_e32 v14, 3, v16
	v_add_co_u32 v35, vcc_lo, s12, v35
	v_add_co_ci_u32_e64 v36, null, s13, v36, vcc_lo
	;; [unrolled: 12-line block ×6, first 2 shown]
	v_lshlrev_b64 v[13:14], 3, v[14:15]
	v_add_co_u32 v61, vcc_lo, s12, v61
	v_add_co_ci_u32_e64 v62, null, s13, v62, vcc_lo
	v_add_co_u32 v63, vcc_lo, s14, v13
	v_add_co_ci_u32_e64 v64, null, s15, v14, vcc_lo
	global_load_dwordx2 v[13:14], v[19:20], off
	global_load_dwordx2 v[65:66], v[21:22], off
	global_load_dwordx4 v[19:22], v[23:24], off
	global_load_dwordx2 v[23:24], v[27:28], off
	s_clause 0x1
	global_load_dwordx2 v[27:28], v[29:30], off
	global_load_dwordx2 v[29:30], v[31:32], off
	global_load_dwordx2 v[33:34], v[33:34], off
	s_clause 0x1
	global_load_dwordx2 v[35:36], v[35:36], off
	global_load_dwordx2 v[37:38], v[37:38], off
	;; [unrolled: 4-line block ×4, first 2 shown]
	s_waitcnt vmcnt(12)
	v_fma_f64 v[7:8], v[19:20], v[65:66], v[8:9]
	v_fma_f64 v[10:11], v[13:14], v[65:66], v[10:11]
	v_add_nc_u32_e32 v14, -5, v12
	v_lshlrev_b64 v[19:20], 3, v[14:15]
	v_subrev_nc_u32_e32 v14, 17, v12
	v_add_co_u32 v19, vcc_lo, s12, v19
	v_add_co_ci_u32_e64 v20, null, s13, v20, vcc_lo
	s_waitcnt vmcnt(11)
	v_fma_f64 v[7:8], v[21:22], v[23:24], v[7:8]
	v_lshlrev_b64 v[21:22], 3, v[14:15]
	v_add_nc_u32_e32 v14, 8, v16
	s_waitcnt vmcnt(10)
	v_fma_f64 v[9:10], v[27:28], v[23:24], v[10:11]
	v_lshlrev_b64 v[31:32], 3, v[14:15]
	v_add_nc_u32_e32 v14, -4, v12
	v_add_co_u32 v21, vcc_lo, s12, v21
	v_add_co_ci_u32_e64 v22, null, s13, v22, vcc_lo
	v_lshlrev_b64 v[23:24], 3, v[14:15]
	v_add_nc_u32_e32 v14, -16, v12
	v_add_co_u32 v27, vcc_lo, s14, v31
	v_add_co_ci_u32_e64 v28, null, s15, v32, vcc_lo
	v_lshlrev_b64 v[13:14], 3, v[14:15]
	v_add_co_u32 v23, vcc_lo, s12, v23
	v_add_co_ci_u32_e64 v24, null, s13, v24, vcc_lo
	s_waitcnt vmcnt(8)
	v_fma_f64 v[7:8], v[29:30], v[33:34], v[7:8]
	v_add_co_u32 v31, vcc_lo, s12, v13
	v_add_co_ci_u32_e64 v32, null, s13, v14, vcc_lo
	v_add_nc_u32_e32 v14, 9, v16
	s_waitcnt vmcnt(7)
	v_fma_f64 v[9:10], v[35:36], v[33:34], v[9:10]
	v_lshlrev_b64 v[29:30], 3, v[14:15]
	v_add_nc_u32_e32 v14, -3, v12
	v_lshlrev_b64 v[33:34], 3, v[14:15]
	v_add_nc_u32_e32 v14, -15, v12
	v_add_co_u32 v29, vcc_lo, s14, v29
	v_add_co_ci_u32_e64 v30, null, s15, v30, vcc_lo
	v_lshlrev_b64 v[13:14], 3, v[14:15]
	v_add_co_u32 v33, vcc_lo, s12, v33
	v_add_co_ci_u32_e64 v34, null, s13, v34, vcc_lo
	s_waitcnt vmcnt(5)
	v_fma_f64 v[7:8], v[37:38], v[39:40], v[7:8]
	v_add_co_u32 v35, vcc_lo, s12, v13
	v_add_co_ci_u32_e64 v36, null, s13, v14, vcc_lo
	v_add_nc_u32_e32 v14, 10, v16
	s_waitcnt vmcnt(4)
	v_fma_f64 v[9:10], v[41:42], v[39:40], v[9:10]
	v_lshlrev_b64 v[37:38], 3, v[14:15]
	v_add_nc_u32_e32 v14, -2, v12
	;; [unrolled: 16-line block ×3, first 2 shown]
	v_lshlrev_b64 v[45:46], 3, v[14:15]
	v_add_nc_u32_e32 v14, -13, v12
	v_add_co_u32 v43, vcc_lo, s14, v43
	v_add_co_ci_u32_e64 v44, null, s15, v44, vcc_lo
	v_lshlrev_b64 v[47:48], 3, v[14:15]
	v_add_nc_u32_e32 v14, 12, v16
	v_add_co_u32 v16, vcc_lo, s12, v45
	v_add_co_ci_u32_e64 v17, null, s13, v46, vcc_lo
	v_lshlrev_b64 v[13:14], 3, v[14:15]
	v_add_co_u32 v45, vcc_lo, s12, v47
	v_add_co_ci_u32_e64 v46, null, s13, v48, vcc_lo
	v_add_nc_u32_e32 v12, 0x68, v12
	v_add_co_u32 v13, vcc_lo, s14, v13
	v_add_co_ci_u32_e64 v14, null, s15, v14, vcc_lo
	global_load_dwordx2 v[47:48], v[51:52], off
	s_clause 0x1
	global_load_dwordx2 v[51:52], v[53:54], off
	global_load_dwordx2 v[53:54], v[55:56], off
	global_load_dwordx2 v[55:56], v[57:58], off
	s_clause 0x1
	global_load_dwordx2 v[57:58], v[59:60], off
	global_load_dwordx2 v[59:60], v[61:62], off
	;; [unrolled: 4-line block ×7, first 2 shown]
	global_load_dwordx2 v[45:46], v[45:46], off
	global_load_dwordx2 v[13:14], v[13:14], off
	v_cmp_ge_i32_e32 vcc_lo, v6, v18
	s_or_b32 s0, vcc_lo, s0
	s_waitcnt vmcnt(22)
	v_fma_f64 v[7:8], v[49:50], v[47:48], v[7:8]
	s_waitcnt vmcnt(21)
	v_fma_f64 v[9:10], v[51:52], v[47:48], v[9:10]
	;; [unrolled: 2-line block ×15, first 2 shown]
	v_fma_f64 v[10:11], v[25:26], v[13:14], v[10:11]
	s_andn2_b32 exec_lo, exec_lo, s0
	s_cbranch_execnz .LBB131_15
; %bb.16:
	s_or_b32 exec_lo, exec_lo, s0
.LBB131_17:
	s_or_b32 exec_lo, exec_lo, s1
.LBB131_18:
	v_mbcnt_lo_u32_b32 v14, -1, 0
	v_xor_b32_e32 v6, 2, v14
	v_cmp_gt_i32_e32 vcc_lo, 32, v6
	v_cndmask_b32_e32 v6, v14, v6, vcc_lo
	v_lshlrev_b32_e32 v13, 2, v6
	ds_bpermute_b32 v6, v13, v8
	ds_bpermute_b32 v7, v13, v9
	;; [unrolled: 1-line block ×4, first 2 shown]
	s_waitcnt lgkmcnt(2)
	v_add_f64 v[6:7], v[8:9], v[6:7]
	v_xor_b32_e32 v8, 1, v14
	s_waitcnt lgkmcnt(0)
	v_add_f64 v[10:11], v[10:11], v[12:13]
	v_cmp_gt_i32_e32 vcc_lo, 32, v8
	v_cndmask_b32_e32 v8, v14, v8, vcc_lo
	v_cmp_eq_u32_e32 vcc_lo, 3, v0
	v_lshlrev_b32_e32 v13, 2, v8
	ds_bpermute_b32 v8, v13, v6
	ds_bpermute_b32 v9, v13, v7
	;; [unrolled: 1-line block ×4, first 2 shown]
	s_and_b32 exec_lo, exec_lo, vcc_lo
	s_cbranch_execz .LBB131_23
; %bb.19:
	s_waitcnt lgkmcnt(2)
	v_add_f64 v[8:9], v[6:7], v[8:9]
	s_waitcnt lgkmcnt(0)
	v_add_f64 v[6:7], v[10:11], v[12:13]
	s_load_dwordx2 s[0:1], s[4:5], 0x38
	s_mov_b32 s2, exec_lo
	v_cmpx_eq_f64_e32 0, v[3:4]
	s_xor_b32 s2, exec_lo, s2
	s_cbranch_execz .LBB131_21
; %bb.20:
	v_lshlrev_b32_e32 v0, 1, v5
	v_mul_f64 v[3:4], v[1:2], v[8:9]
	v_mul_f64 v[5:6], v[1:2], v[6:7]
                                        ; implicit-def: $vgpr8_vgpr9
	v_ashrrev_i32_e32 v1, 31, v0
	v_lshlrev_b64 v[0:1], 3, v[0:1]
	s_waitcnt lgkmcnt(0)
	v_add_co_u32 v0, vcc_lo, s0, v0
	v_add_co_ci_u32_e64 v1, null, s1, v1, vcc_lo
	global_store_dwordx4 v[0:1], v[3:6], off
                                        ; implicit-def: $vgpr5
                                        ; implicit-def: $vgpr1_vgpr2
                                        ; implicit-def: $vgpr3_vgpr4
                                        ; implicit-def: $vgpr6_vgpr7
.LBB131_21:
	s_andn2_saveexec_b32 s2, s2
	s_cbranch_execz .LBB131_23
; %bb.22:
	v_lshlrev_b32_e32 v10, 1, v5
	v_mul_f64 v[8:9], v[1:2], v[8:9]
	v_mul_f64 v[5:6], v[1:2], v[6:7]
	v_ashrrev_i32_e32 v11, 31, v10
	v_lshlrev_b64 v[10:11], 3, v[10:11]
	s_waitcnt lgkmcnt(0)
	v_add_co_u32 v14, vcc_lo, s0, v10
	v_add_co_ci_u32_e64 v15, null, s1, v11, vcc_lo
	global_load_dwordx4 v[10:13], v[14:15], off
	s_waitcnt vmcnt(0)
	v_fma_f64 v[0:1], v[3:4], v[10:11], v[8:9]
	v_fma_f64 v[2:3], v[3:4], v[12:13], v[5:6]
	global_store_dwordx4 v[14:15], v[0:3], off
.LBB131_23:
	s_endpgm
	.section	.rodata,"a",@progbits
	.p2align	6, 0x0
	.amdhsa_kernel _ZN9rocsparseL19gebsrmvn_2xn_kernelILj128ELj13ELj4EdEEvi20rocsparse_direction_NS_24const_host_device_scalarIT2_EEPKiS6_PKS3_S8_S4_PS3_21rocsparse_index_base_b
		.amdhsa_group_segment_fixed_size 0
		.amdhsa_private_segment_fixed_size 0
		.amdhsa_kernarg_size 72
		.amdhsa_user_sgpr_count 6
		.amdhsa_user_sgpr_private_segment_buffer 1
		.amdhsa_user_sgpr_dispatch_ptr 0
		.amdhsa_user_sgpr_queue_ptr 0
		.amdhsa_user_sgpr_kernarg_segment_ptr 1
		.amdhsa_user_sgpr_dispatch_id 0
		.amdhsa_user_sgpr_flat_scratch_init 0
		.amdhsa_user_sgpr_private_segment_size 0
		.amdhsa_wavefront_size32 1
		.amdhsa_uses_dynamic_stack 0
		.amdhsa_system_sgpr_private_segment_wavefront_offset 0
		.amdhsa_system_sgpr_workgroup_id_x 1
		.amdhsa_system_sgpr_workgroup_id_y 0
		.amdhsa_system_sgpr_workgroup_id_z 0
		.amdhsa_system_sgpr_workgroup_info 0
		.amdhsa_system_vgpr_workitem_id 0
		.amdhsa_next_free_vgpr 67
		.amdhsa_next_free_sgpr 16
		.amdhsa_reserve_vcc 1
		.amdhsa_reserve_flat_scratch 0
		.amdhsa_float_round_mode_32 0
		.amdhsa_float_round_mode_16_64 0
		.amdhsa_float_denorm_mode_32 3
		.amdhsa_float_denorm_mode_16_64 3
		.amdhsa_dx10_clamp 1
		.amdhsa_ieee_mode 1
		.amdhsa_fp16_overflow 0
		.amdhsa_workgroup_processor_mode 1
		.amdhsa_memory_ordered 1
		.amdhsa_forward_progress 1
		.amdhsa_shared_vgpr_count 0
		.amdhsa_exception_fp_ieee_invalid_op 0
		.amdhsa_exception_fp_denorm_src 0
		.amdhsa_exception_fp_ieee_div_zero 0
		.amdhsa_exception_fp_ieee_overflow 0
		.amdhsa_exception_fp_ieee_underflow 0
		.amdhsa_exception_fp_ieee_inexact 0
		.amdhsa_exception_int_div_zero 0
	.end_amdhsa_kernel
	.section	.text._ZN9rocsparseL19gebsrmvn_2xn_kernelILj128ELj13ELj4EdEEvi20rocsparse_direction_NS_24const_host_device_scalarIT2_EEPKiS6_PKS3_S8_S4_PS3_21rocsparse_index_base_b,"axG",@progbits,_ZN9rocsparseL19gebsrmvn_2xn_kernelILj128ELj13ELj4EdEEvi20rocsparse_direction_NS_24const_host_device_scalarIT2_EEPKiS6_PKS3_S8_S4_PS3_21rocsparse_index_base_b,comdat
.Lfunc_end131:
	.size	_ZN9rocsparseL19gebsrmvn_2xn_kernelILj128ELj13ELj4EdEEvi20rocsparse_direction_NS_24const_host_device_scalarIT2_EEPKiS6_PKS3_S8_S4_PS3_21rocsparse_index_base_b, .Lfunc_end131-_ZN9rocsparseL19gebsrmvn_2xn_kernelILj128ELj13ELj4EdEEvi20rocsparse_direction_NS_24const_host_device_scalarIT2_EEPKiS6_PKS3_S8_S4_PS3_21rocsparse_index_base_b
                                        ; -- End function
	.set _ZN9rocsparseL19gebsrmvn_2xn_kernelILj128ELj13ELj4EdEEvi20rocsparse_direction_NS_24const_host_device_scalarIT2_EEPKiS6_PKS3_S8_S4_PS3_21rocsparse_index_base_b.num_vgpr, 67
	.set _ZN9rocsparseL19gebsrmvn_2xn_kernelILj128ELj13ELj4EdEEvi20rocsparse_direction_NS_24const_host_device_scalarIT2_EEPKiS6_PKS3_S8_S4_PS3_21rocsparse_index_base_b.num_agpr, 0
	.set _ZN9rocsparseL19gebsrmvn_2xn_kernelILj128ELj13ELj4EdEEvi20rocsparse_direction_NS_24const_host_device_scalarIT2_EEPKiS6_PKS3_S8_S4_PS3_21rocsparse_index_base_b.numbered_sgpr, 16
	.set _ZN9rocsparseL19gebsrmvn_2xn_kernelILj128ELj13ELj4EdEEvi20rocsparse_direction_NS_24const_host_device_scalarIT2_EEPKiS6_PKS3_S8_S4_PS3_21rocsparse_index_base_b.num_named_barrier, 0
	.set _ZN9rocsparseL19gebsrmvn_2xn_kernelILj128ELj13ELj4EdEEvi20rocsparse_direction_NS_24const_host_device_scalarIT2_EEPKiS6_PKS3_S8_S4_PS3_21rocsparse_index_base_b.private_seg_size, 0
	.set _ZN9rocsparseL19gebsrmvn_2xn_kernelILj128ELj13ELj4EdEEvi20rocsparse_direction_NS_24const_host_device_scalarIT2_EEPKiS6_PKS3_S8_S4_PS3_21rocsparse_index_base_b.uses_vcc, 1
	.set _ZN9rocsparseL19gebsrmvn_2xn_kernelILj128ELj13ELj4EdEEvi20rocsparse_direction_NS_24const_host_device_scalarIT2_EEPKiS6_PKS3_S8_S4_PS3_21rocsparse_index_base_b.uses_flat_scratch, 0
	.set _ZN9rocsparseL19gebsrmvn_2xn_kernelILj128ELj13ELj4EdEEvi20rocsparse_direction_NS_24const_host_device_scalarIT2_EEPKiS6_PKS3_S8_S4_PS3_21rocsparse_index_base_b.has_dyn_sized_stack, 0
	.set _ZN9rocsparseL19gebsrmvn_2xn_kernelILj128ELj13ELj4EdEEvi20rocsparse_direction_NS_24const_host_device_scalarIT2_EEPKiS6_PKS3_S8_S4_PS3_21rocsparse_index_base_b.has_recursion, 0
	.set _ZN9rocsparseL19gebsrmvn_2xn_kernelILj128ELj13ELj4EdEEvi20rocsparse_direction_NS_24const_host_device_scalarIT2_EEPKiS6_PKS3_S8_S4_PS3_21rocsparse_index_base_b.has_indirect_call, 0
	.section	.AMDGPU.csdata,"",@progbits
; Kernel info:
; codeLenInByte = 3824
; TotalNumSgprs: 18
; NumVgprs: 67
; ScratchSize: 0
; MemoryBound: 0
; FloatMode: 240
; IeeeMode: 1
; LDSByteSize: 0 bytes/workgroup (compile time only)
; SGPRBlocks: 0
; VGPRBlocks: 8
; NumSGPRsForWavesPerEU: 18
; NumVGPRsForWavesPerEU: 67
; Occupancy: 12
; WaveLimiterHint : 1
; COMPUTE_PGM_RSRC2:SCRATCH_EN: 0
; COMPUTE_PGM_RSRC2:USER_SGPR: 6
; COMPUTE_PGM_RSRC2:TRAP_HANDLER: 0
; COMPUTE_PGM_RSRC2:TGID_X_EN: 1
; COMPUTE_PGM_RSRC2:TGID_Y_EN: 0
; COMPUTE_PGM_RSRC2:TGID_Z_EN: 0
; COMPUTE_PGM_RSRC2:TIDIG_COMP_CNT: 0
	.section	.text._ZN9rocsparseL19gebsrmvn_2xn_kernelILj128ELj13ELj8EdEEvi20rocsparse_direction_NS_24const_host_device_scalarIT2_EEPKiS6_PKS3_S8_S4_PS3_21rocsparse_index_base_b,"axG",@progbits,_ZN9rocsparseL19gebsrmvn_2xn_kernelILj128ELj13ELj8EdEEvi20rocsparse_direction_NS_24const_host_device_scalarIT2_EEPKiS6_PKS3_S8_S4_PS3_21rocsparse_index_base_b,comdat
	.globl	_ZN9rocsparseL19gebsrmvn_2xn_kernelILj128ELj13ELj8EdEEvi20rocsparse_direction_NS_24const_host_device_scalarIT2_EEPKiS6_PKS3_S8_S4_PS3_21rocsparse_index_base_b ; -- Begin function _ZN9rocsparseL19gebsrmvn_2xn_kernelILj128ELj13ELj8EdEEvi20rocsparse_direction_NS_24const_host_device_scalarIT2_EEPKiS6_PKS3_S8_S4_PS3_21rocsparse_index_base_b
	.p2align	8
	.type	_ZN9rocsparseL19gebsrmvn_2xn_kernelILj128ELj13ELj8EdEEvi20rocsparse_direction_NS_24const_host_device_scalarIT2_EEPKiS6_PKS3_S8_S4_PS3_21rocsparse_index_base_b,@function
_ZN9rocsparseL19gebsrmvn_2xn_kernelILj128ELj13ELj8EdEEvi20rocsparse_direction_NS_24const_host_device_scalarIT2_EEPKiS6_PKS3_S8_S4_PS3_21rocsparse_index_base_b: ; @_ZN9rocsparseL19gebsrmvn_2xn_kernelILj128ELj13ELj8EdEEvi20rocsparse_direction_NS_24const_host_device_scalarIT2_EEPKiS6_PKS3_S8_S4_PS3_21rocsparse_index_base_b
; %bb.0:
	s_clause 0x2
	s_load_dwordx2 s[2:3], s[4:5], 0x40
	s_load_dwordx2 s[8:9], s[4:5], 0x8
	;; [unrolled: 1-line block ×3, first 2 shown]
	s_waitcnt lgkmcnt(0)
	s_bitcmp1_b32 s3, 0
	v_mov_b32_e32 v1, s8
	v_mov_b32_e32 v2, s9
	s_cselect_b32 s3, -1, 0
	s_and_b32 vcc_lo, exec_lo, s3
	s_xor_b32 s3, s3, -1
	s_cbranch_vccnz .LBB132_2
; %bb.1:
	v_mov_b32_e32 v1, s8
	v_mov_b32_e32 v2, s9
	flat_load_dwordx2 v[1:2], v[1:2]
.LBB132_2:
	v_mov_b32_e32 v4, s1
	v_mov_b32_e32 v3, s0
	s_andn2_b32 vcc_lo, exec_lo, s3
	s_cbranch_vccnz .LBB132_4
; %bb.3:
	v_mov_b32_e32 v4, s1
	v_mov_b32_e32 v3, s0
	flat_load_dwordx2 v[3:4], v[3:4]
.LBB132_4:
	s_waitcnt vmcnt(0) lgkmcnt(0)
	v_cmp_neq_f64_e32 vcc_lo, 0, v[1:2]
	v_cmp_neq_f64_e64 s0, 1.0, v[3:4]
	s_or_b32 s0, vcc_lo, s0
	s_and_saveexec_b32 s1, s0
	s_cbranch_execz .LBB132_23
; %bb.5:
	s_load_dwordx2 s[0:1], s[4:5], 0x0
	v_lshrrev_b32_e32 v5, 3, v0
	v_lshl_or_b32 v5, s6, 4, v5
	s_waitcnt lgkmcnt(0)
	v_cmp_gt_i32_e32 vcc_lo, s0, v5
	s_and_b32 exec_lo, exec_lo, vcc_lo
	s_cbranch_execz .LBB132_23
; %bb.6:
	s_load_dwordx8 s[8:15], s[4:5], 0x10
	v_ashrrev_i32_e32 v6, 31, v5
	v_and_b32_e32 v0, 7, v0
	s_cmp_lg_u32 s1, 0
	v_lshlrev_b64 v[6:7], 2, v[5:6]
	s_waitcnt lgkmcnt(0)
	v_add_co_u32 v6, vcc_lo, s8, v6
	v_add_co_ci_u32_e64 v7, null, s9, v7, vcc_lo
	global_load_dwordx2 v[6:7], v[6:7], off
	s_waitcnt vmcnt(0)
	v_subrev_nc_u32_e32 v6, s2, v6
	v_subrev_nc_u32_e32 v18, s2, v7
	v_add_nc_u32_e32 v6, v6, v0
	v_cmp_lt_i32_e64 s0, v6, v18
	s_cbranch_scc0 .LBB132_12
; %bb.7:
	v_mov_b32_e32 v8, 0
	v_mov_b32_e32 v10, 0
	;; [unrolled: 1-line block ×4, first 2 shown]
	s_and_saveexec_b32 s1, s0
	s_cbranch_execz .LBB132_11
; %bb.8:
	v_mad_u64_u32 v[7:8], null, v6, 26, 24
	v_mov_b32_e32 v8, 0
	v_mov_b32_e32 v10, 0
	;; [unrolled: 1-line block ×6, first 2 shown]
	s_mov_b32 s3, 0
.LBB132_9:                              ; =>This Inner Loop Header: Depth=1
	v_ashrrev_i32_e32 v15, 31, v14
	v_subrev_nc_u32_e32 v12, 24, v7
	v_lshlrev_b64 v[15:16], 2, v[14:15]
	v_lshlrev_b64 v[19:20], 3, v[12:13]
	v_subrev_nc_u32_e32 v12, 22, v7
	v_add_nc_u32_e32 v14, 8, v14
	v_add_co_u32 v15, vcc_lo, s10, v15
	v_add_co_ci_u32_e64 v16, null, s11, v16, vcc_lo
	v_lshlrev_b64 v[21:22], 3, v[12:13]
	v_add_co_u32 v19, vcc_lo, s12, v19
	global_load_dword v15, v[15:16], off
	v_mov_b32_e32 v16, v13
	v_add_co_ci_u32_e64 v20, null, s13, v20, vcc_lo
	v_add_co_u32 v23, vcc_lo, s12, v21
	v_add_co_ci_u32_e64 v24, null, s13, v22, vcc_lo
	s_clause 0x1
	global_load_dwordx4 v[19:22], v[19:20], off
	global_load_dwordx4 v[23:26], v[23:24], off
	s_waitcnt vmcnt(2)
	v_subrev_nc_u32_e32 v12, s2, v15
	v_mul_lo_u32 v15, v12, 13
	v_lshlrev_b64 v[16:17], 3, v[15:16]
	v_add_nc_u32_e32 v12, 1, v15
	v_lshlrev_b64 v[27:28], 3, v[12:13]
	v_add_co_u32 v16, vcc_lo, s14, v16
	v_add_co_ci_u32_e64 v17, null, s15, v17, vcc_lo
	v_subrev_nc_u32_e32 v12, 20, v7
	v_add_co_u32 v27, vcc_lo, s14, v27
	global_load_dwordx2 v[16:17], v[16:17], off
	v_add_co_ci_u32_e64 v28, null, s15, v28, vcc_lo
	v_lshlrev_b64 v[29:30], 3, v[12:13]
	v_add_nc_u32_e32 v12, 2, v15
	global_load_dwordx2 v[47:48], v[27:28], off
	v_lshlrev_b64 v[31:32], 3, v[12:13]
	v_add_co_u32 v27, vcc_lo, s12, v29
	v_add_co_ci_u32_e64 v28, null, s13, v30, vcc_lo
	v_subrev_nc_u32_e32 v12, 18, v7
	v_add_co_u32 v31, vcc_lo, s14, v31
	v_add_co_ci_u32_e64 v32, null, s15, v32, vcc_lo
	global_load_dwordx4 v[27:30], v[27:28], off
	v_lshlrev_b64 v[33:34], 3, v[12:13]
	v_add_nc_u32_e32 v12, 3, v15
	global_load_dwordx2 v[49:50], v[31:32], off
	v_lshlrev_b64 v[35:36], 3, v[12:13]
	v_add_co_u32 v31, vcc_lo, s12, v33
	v_add_co_ci_u32_e64 v32, null, s13, v34, vcc_lo
	v_add_nc_u32_e32 v12, -16, v7
	v_add_co_u32 v35, vcc_lo, s14, v35
	v_add_co_ci_u32_e64 v36, null, s15, v36, vcc_lo
	global_load_dwordx4 v[31:34], v[31:32], off
	v_lshlrev_b64 v[37:38], 3, v[12:13]
	v_add_nc_u32_e32 v12, 4, v15
	global_load_dwordx2 v[51:52], v[35:36], off
	v_lshlrev_b64 v[39:40], 3, v[12:13]
	v_add_co_u32 v35, vcc_lo, s12, v37
	v_add_co_ci_u32_e64 v36, null, s13, v38, vcc_lo
	v_add_nc_u32_e32 v12, -14, v7
	v_add_co_u32 v39, vcc_lo, s14, v39
	v_add_co_ci_u32_e64 v40, null, s15, v40, vcc_lo
	global_load_dwordx4 v[35:38], v[35:36], off
	global_load_dwordx2 v[53:54], v[39:40], off
	v_lshlrev_b64 v[41:42], 3, v[12:13]
	v_add_nc_u32_e32 v12, 5, v15
	v_lshlrev_b64 v[39:40], 3, v[12:13]
	v_add_co_u32 v41, vcc_lo, s12, v41
	v_add_co_ci_u32_e64 v42, null, s13, v42, vcc_lo
	v_add_nc_u32_e32 v12, -12, v7
	v_add_co_u32 v45, vcc_lo, s14, v39
	v_add_co_ci_u32_e64 v46, null, s15, v40, vcc_lo
	global_load_dwordx4 v[39:42], v[41:42], off
	global_load_dwordx2 v[55:56], v[45:46], off
	v_lshlrev_b64 v[43:44], 3, v[12:13]
	v_add_nc_u32_e32 v12, 6, v15
	;; [unrolled: 10-line block ×3, first 2 shown]
	v_lshlrev_b64 v[61:62], 3, v[12:13]
	v_add_co_u32 v57, vcc_lo, s12, v57
	v_add_co_ci_u32_e64 v58, null, s13, v58, vcc_lo
	v_add_nc_u32_e32 v12, -8, v7
	v_add_co_u32 v61, vcc_lo, s14, v61
	v_add_co_ci_u32_e64 v62, null, s15, v62, vcc_lo
	s_waitcnt vmcnt(11)
	v_fma_f64 v[8:9], v[19:20], v[16:17], v[8:9]
	v_fma_f64 v[10:11], v[21:22], v[16:17], v[10:11]
	global_load_dwordx4 v[19:22], v[57:58], off
	global_load_dwordx2 v[57:58], v[61:62], off
	v_lshlrev_b64 v[16:17], 3, v[12:13]
	v_add_nc_u32_e32 v12, 8, v15
	v_lshlrev_b64 v[61:62], 3, v[12:13]
	v_add_co_u32 v16, vcc_lo, s12, v16
	v_add_co_ci_u32_e64 v17, null, s13, v17, vcc_lo
	v_add_nc_u32_e32 v12, -6, v7
	v_add_co_u32 v61, vcc_lo, s14, v61
	v_add_co_ci_u32_e64 v62, null, s15, v62, vcc_lo
	s_waitcnt vmcnt(12)
	v_fma_f64 v[8:9], v[23:24], v[47:48], v[8:9]
	v_fma_f64 v[10:11], v[25:26], v[47:48], v[10:11]
	global_load_dwordx4 v[23:26], v[16:17], off
	global_load_dwordx2 v[16:17], v[61:62], off
	v_lshlrev_b64 v[47:48], 3, v[12:13]
	v_add_nc_u32_e32 v12, 9, v15
	v_add_co_u32 v47, vcc_lo, s12, v47
	v_lshlrev_b64 v[61:62], 3, v[12:13]
	v_add_co_ci_u32_e64 v48, null, s13, v48, vcc_lo
	v_add_nc_u32_e32 v12, -4, v7
	s_waitcnt vmcnt(12)
	v_fma_f64 v[8:9], v[27:28], v[49:50], v[8:9]
	v_fma_f64 v[10:11], v[29:30], v[49:50], v[10:11]
	global_load_dwordx4 v[27:30], v[47:48], off
	v_add_co_u32 v47, vcc_lo, s14, v61
	v_add_co_ci_u32_e64 v48, null, s15, v62, vcc_lo
	v_lshlrev_b64 v[49:50], 3, v[12:13]
	v_add_nc_u32_e32 v12, 10, v15
	global_load_dwordx2 v[47:48], v[47:48], off
	v_lshlrev_b64 v[61:62], 3, v[12:13]
	v_add_nc_u32_e32 v12, -2, v7
	v_add_co_u32 v49, vcc_lo, s12, v49
	v_add_co_ci_u32_e64 v50, null, s13, v50, vcc_lo
	s_waitcnt vmcnt(12)
	v_fma_f64 v[63:64], v[31:32], v[51:52], v[8:9]
	v_lshlrev_b64 v[31:32], 3, v[12:13]
	v_fma_f64 v[9:10], v[33:34], v[51:52], v[10:11]
	v_add_co_u32 v51, vcc_lo, s14, v61
	v_add_co_ci_u32_e64 v52, null, s15, v62, vcc_lo
	v_add_co_u32 v61, vcc_lo, s12, v31
	v_add_co_ci_u32_e64 v62, null, s13, v32, vcc_lo
	global_load_dwordx4 v[31:34], v[49:50], off
	global_load_dwordx2 v[49:50], v[51:52], off
	v_add_nc_u32_e32 v12, 11, v15
	v_mov_b32_e32 v8, v13
	v_lshlrev_b64 v[11:12], 3, v[12:13]
	s_waitcnt vmcnt(12)
	v_fma_f64 v[51:52], v[35:36], v[53:54], v[63:64]
	v_add_co_u32 v11, vcc_lo, s14, v11
	v_add_co_ci_u32_e64 v12, null, s15, v12, vcc_lo
	v_fma_f64 v[53:54], v[37:38], v[53:54], v[9:10]
	global_load_dwordx4 v[35:38], v[61:62], off
	global_load_dwordx2 v[61:62], v[11:12], off
	v_add_nc_u32_e32 v12, 12, v15
	v_lshlrev_b64 v[8:9], 3, v[7:8]
	v_add_nc_u32_e32 v7, 0xd0, v7
	v_lshlrev_b64 v[10:11], 3, v[12:13]
	v_add_co_u32 v8, vcc_lo, s12, v8
	v_add_co_ci_u32_e64 v9, null, s13, v9, vcc_lo
	v_add_co_u32 v63, vcc_lo, s14, v10
	v_add_co_ci_u32_e64 v64, null, s15, v11, vcc_lo
	global_load_dwordx4 v[8:11], v[8:9], off
	global_load_dwordx2 v[63:64], v[63:64], off
	s_waitcnt vmcnt(14)
	v_fma_f64 v[39:40], v[39:40], v[55:56], v[51:52]
	v_fma_f64 v[41:42], v[41:42], v[55:56], v[53:54]
	v_cmp_ge_i32_e32 vcc_lo, v14, v18
	s_or_b32 s3, vcc_lo, s3
	s_waitcnt vmcnt(12)
	v_fma_f64 v[39:40], v[43:44], v[59:60], v[39:40]
	v_fma_f64 v[41:42], v[45:46], v[59:60], v[41:42]
	s_waitcnt vmcnt(10)
	v_fma_f64 v[19:20], v[19:20], v[57:58], v[39:40]
	v_fma_f64 v[21:22], v[21:22], v[57:58], v[41:42]
	;; [unrolled: 3-line block ×7, first 2 shown]
	s_andn2_b32 exec_lo, exec_lo, s3
	s_cbranch_execnz .LBB132_9
; %bb.10:
	s_or_b32 exec_lo, exec_lo, s3
.LBB132_11:
	s_or_b32 exec_lo, exec_lo, s1
	s_cbranch_execz .LBB132_13
	s_branch .LBB132_18
.LBB132_12:
                                        ; implicit-def: $vgpr8_vgpr9
                                        ; implicit-def: $vgpr10_vgpr11
.LBB132_13:
	v_mov_b32_e32 v8, 0
	v_mov_b32_e32 v10, 0
	;; [unrolled: 1-line block ×4, first 2 shown]
	s_and_saveexec_b32 s1, s0
	s_cbranch_execz .LBB132_17
; %bb.14:
	v_mad_u64_u32 v[12:13], null, v6, 26, 25
	v_mov_b32_e32 v8, 0
	v_mov_b32_e32 v10, 0
	v_mov_b32_e32 v9, 0
	v_mov_b32_e32 v11, 0
	v_mov_b32_e32 v15, 0
	s_mov_b32 s0, 0
.LBB132_15:                             ; =>This Inner Loop Header: Depth=1
	v_ashrrev_i32_e32 v7, 31, v6
	v_subrev_nc_u32_e32 v14, 25, v12
	v_add_nc_u32_e32 v19, -12, v12
	v_mov_b32_e32 v20, v15
	v_mov_b32_e32 v13, v15
	v_lshlrev_b64 v[21:22], 2, v[6:7]
	v_lshlrev_b64 v[23:24], 3, v[14:15]
	v_mov_b32_e32 v17, v15
	v_lshlrev_b64 v[19:20], 3, v[19:20]
	v_lshlrev_b64 v[13:14], 3, v[12:13]
	v_add_nc_u32_e32 v6, 8, v6
	v_add_co_u32 v21, vcc_lo, s10, v21
	v_add_co_ci_u32_e64 v22, null, s11, v22, vcc_lo
	v_add_co_u32 v23, vcc_lo, s12, v23
	v_add_co_ci_u32_e64 v24, null, s13, v24, vcc_lo
	global_load_dword v7, v[21:22], off
	v_add_co_u32 v19, vcc_lo, s12, v19
	v_add_co_ci_u32_e64 v20, null, s13, v20, vcc_lo
	v_add_co_u32 v25, vcc_lo, s12, v13
	v_add_co_ci_u32_e64 v26, null, s13, v14, vcc_lo
	s_waitcnt vmcnt(0)
	v_subrev_nc_u32_e32 v7, s2, v7
	v_mul_lo_u32 v16, v7, 13
	v_add_nc_u32_e32 v14, 1, v16
	v_lshlrev_b64 v[21:22], 3, v[16:17]
	v_lshlrev_b64 v[27:28], 3, v[14:15]
	v_add_nc_u32_e32 v14, -11, v12
	v_add_co_u32 v21, vcc_lo, s14, v21
	v_add_co_ci_u32_e64 v22, null, s15, v22, vcc_lo
	v_lshlrev_b64 v[29:30], 3, v[14:15]
	v_subrev_nc_u32_e32 v14, 23, v12
	v_add_co_u32 v27, vcc_lo, s14, v27
	v_add_co_ci_u32_e64 v28, null, s15, v28, vcc_lo
	v_lshlrev_b64 v[31:32], 3, v[14:15]
	v_add_nc_u32_e32 v14, 2, v16
	v_add_co_u32 v29, vcc_lo, s12, v29
	v_add_co_ci_u32_e64 v30, null, s13, v30, vcc_lo
	v_lshlrev_b64 v[33:34], 3, v[14:15]
	v_add_nc_u32_e32 v14, -10, v12
	v_add_co_u32 v31, vcc_lo, s12, v31
	v_add_co_ci_u32_e64 v32, null, s13, v32, vcc_lo
	v_lshlrev_b64 v[35:36], 3, v[14:15]
	v_subrev_nc_u32_e32 v14, 22, v12
	v_add_co_u32 v33, vcc_lo, s14, v33
	v_add_co_ci_u32_e64 v34, null, s15, v34, vcc_lo
	v_lshlrev_b64 v[37:38], 3, v[14:15]
	v_add_nc_u32_e32 v14, 3, v16
	v_add_co_u32 v35, vcc_lo, s12, v35
	v_add_co_ci_u32_e64 v36, null, s13, v36, vcc_lo
	;; [unrolled: 12-line block ×6, first 2 shown]
	v_lshlrev_b64 v[13:14], 3, v[14:15]
	v_add_co_u32 v61, vcc_lo, s12, v61
	v_add_co_ci_u32_e64 v62, null, s13, v62, vcc_lo
	v_add_co_u32 v63, vcc_lo, s14, v13
	v_add_co_ci_u32_e64 v64, null, s15, v14, vcc_lo
	global_load_dwordx2 v[13:14], v[19:20], off
	global_load_dwordx2 v[65:66], v[21:22], off
	global_load_dwordx4 v[19:22], v[23:24], off
	global_load_dwordx2 v[23:24], v[27:28], off
	s_clause 0x1
	global_load_dwordx2 v[27:28], v[29:30], off
	global_load_dwordx2 v[29:30], v[31:32], off
	global_load_dwordx2 v[33:34], v[33:34], off
	s_clause 0x1
	global_load_dwordx2 v[35:36], v[35:36], off
	global_load_dwordx2 v[37:38], v[37:38], off
	;; [unrolled: 4-line block ×4, first 2 shown]
	s_waitcnt vmcnt(12)
	v_fma_f64 v[7:8], v[19:20], v[65:66], v[8:9]
	v_fma_f64 v[10:11], v[13:14], v[65:66], v[10:11]
	v_add_nc_u32_e32 v14, -5, v12
	v_lshlrev_b64 v[19:20], 3, v[14:15]
	v_subrev_nc_u32_e32 v14, 17, v12
	v_add_co_u32 v19, vcc_lo, s12, v19
	v_add_co_ci_u32_e64 v20, null, s13, v20, vcc_lo
	s_waitcnt vmcnt(11)
	v_fma_f64 v[7:8], v[21:22], v[23:24], v[7:8]
	v_lshlrev_b64 v[21:22], 3, v[14:15]
	v_add_nc_u32_e32 v14, 8, v16
	s_waitcnt vmcnt(10)
	v_fma_f64 v[9:10], v[27:28], v[23:24], v[10:11]
	v_lshlrev_b64 v[31:32], 3, v[14:15]
	v_add_nc_u32_e32 v14, -4, v12
	v_add_co_u32 v21, vcc_lo, s12, v21
	v_add_co_ci_u32_e64 v22, null, s13, v22, vcc_lo
	v_lshlrev_b64 v[23:24], 3, v[14:15]
	v_add_nc_u32_e32 v14, -16, v12
	v_add_co_u32 v27, vcc_lo, s14, v31
	v_add_co_ci_u32_e64 v28, null, s15, v32, vcc_lo
	v_lshlrev_b64 v[13:14], 3, v[14:15]
	v_add_co_u32 v23, vcc_lo, s12, v23
	v_add_co_ci_u32_e64 v24, null, s13, v24, vcc_lo
	s_waitcnt vmcnt(8)
	v_fma_f64 v[7:8], v[29:30], v[33:34], v[7:8]
	v_add_co_u32 v31, vcc_lo, s12, v13
	v_add_co_ci_u32_e64 v32, null, s13, v14, vcc_lo
	v_add_nc_u32_e32 v14, 9, v16
	s_waitcnt vmcnt(7)
	v_fma_f64 v[9:10], v[35:36], v[33:34], v[9:10]
	v_lshlrev_b64 v[29:30], 3, v[14:15]
	v_add_nc_u32_e32 v14, -3, v12
	v_lshlrev_b64 v[33:34], 3, v[14:15]
	v_add_nc_u32_e32 v14, -15, v12
	v_add_co_u32 v29, vcc_lo, s14, v29
	v_add_co_ci_u32_e64 v30, null, s15, v30, vcc_lo
	v_lshlrev_b64 v[13:14], 3, v[14:15]
	v_add_co_u32 v33, vcc_lo, s12, v33
	v_add_co_ci_u32_e64 v34, null, s13, v34, vcc_lo
	s_waitcnt vmcnt(5)
	v_fma_f64 v[7:8], v[37:38], v[39:40], v[7:8]
	v_add_co_u32 v35, vcc_lo, s12, v13
	v_add_co_ci_u32_e64 v36, null, s13, v14, vcc_lo
	v_add_nc_u32_e32 v14, 10, v16
	s_waitcnt vmcnt(4)
	v_fma_f64 v[9:10], v[41:42], v[39:40], v[9:10]
	v_lshlrev_b64 v[37:38], 3, v[14:15]
	v_add_nc_u32_e32 v14, -2, v12
	;; [unrolled: 16-line block ×3, first 2 shown]
	v_lshlrev_b64 v[45:46], 3, v[14:15]
	v_add_nc_u32_e32 v14, -13, v12
	v_add_co_u32 v43, vcc_lo, s14, v43
	v_add_co_ci_u32_e64 v44, null, s15, v44, vcc_lo
	v_lshlrev_b64 v[47:48], 3, v[14:15]
	v_add_nc_u32_e32 v14, 12, v16
	v_add_co_u32 v16, vcc_lo, s12, v45
	v_add_co_ci_u32_e64 v17, null, s13, v46, vcc_lo
	v_lshlrev_b64 v[13:14], 3, v[14:15]
	v_add_co_u32 v45, vcc_lo, s12, v47
	v_add_co_ci_u32_e64 v46, null, s13, v48, vcc_lo
	v_add_nc_u32_e32 v12, 0xd0, v12
	v_add_co_u32 v13, vcc_lo, s14, v13
	v_add_co_ci_u32_e64 v14, null, s15, v14, vcc_lo
	global_load_dwordx2 v[47:48], v[51:52], off
	s_clause 0x1
	global_load_dwordx2 v[51:52], v[53:54], off
	global_load_dwordx2 v[53:54], v[55:56], off
	global_load_dwordx2 v[55:56], v[57:58], off
	s_clause 0x1
	global_load_dwordx2 v[57:58], v[59:60], off
	global_load_dwordx2 v[59:60], v[61:62], off
	;; [unrolled: 4-line block ×7, first 2 shown]
	global_load_dwordx2 v[45:46], v[45:46], off
	global_load_dwordx2 v[13:14], v[13:14], off
	v_cmp_ge_i32_e32 vcc_lo, v6, v18
	s_or_b32 s0, vcc_lo, s0
	s_waitcnt vmcnt(22)
	v_fma_f64 v[7:8], v[49:50], v[47:48], v[7:8]
	s_waitcnt vmcnt(21)
	v_fma_f64 v[9:10], v[51:52], v[47:48], v[9:10]
	;; [unrolled: 2-line block ×15, first 2 shown]
	v_fma_f64 v[10:11], v[25:26], v[13:14], v[10:11]
	s_andn2_b32 exec_lo, exec_lo, s0
	s_cbranch_execnz .LBB132_15
; %bb.16:
	s_or_b32 exec_lo, exec_lo, s0
.LBB132_17:
	s_or_b32 exec_lo, exec_lo, s1
.LBB132_18:
	v_mbcnt_lo_u32_b32 v14, -1, 0
	v_xor_b32_e32 v6, 4, v14
	v_cmp_gt_i32_e32 vcc_lo, 32, v6
	v_cndmask_b32_e32 v6, v14, v6, vcc_lo
	v_lshlrev_b32_e32 v13, 2, v6
	ds_bpermute_b32 v6, v13, v8
	ds_bpermute_b32 v7, v13, v9
	;; [unrolled: 1-line block ×4, first 2 shown]
	s_waitcnt lgkmcnt(2)
	v_add_f64 v[6:7], v[8:9], v[6:7]
	s_waitcnt lgkmcnt(0)
	v_add_f64 v[8:9], v[10:11], v[12:13]
	v_xor_b32_e32 v10, 2, v14
	v_cmp_gt_i32_e32 vcc_lo, 32, v10
	v_cndmask_b32_e32 v10, v14, v10, vcc_lo
	v_lshlrev_b32_e32 v13, 2, v10
	ds_bpermute_b32 v10, v13, v6
	ds_bpermute_b32 v11, v13, v7
	;; [unrolled: 1-line block ×4, first 2 shown]
	s_waitcnt lgkmcnt(2)
	v_add_f64 v[6:7], v[6:7], v[10:11]
	s_waitcnt lgkmcnt(0)
	v_add_f64 v[10:11], v[8:9], v[12:13]
	v_xor_b32_e32 v8, 1, v14
	v_cmp_gt_i32_e32 vcc_lo, 32, v8
	v_cndmask_b32_e32 v8, v14, v8, vcc_lo
	v_cmp_eq_u32_e32 vcc_lo, 7, v0
	v_lshlrev_b32_e32 v13, 2, v8
	ds_bpermute_b32 v8, v13, v6
	ds_bpermute_b32 v9, v13, v7
	;; [unrolled: 1-line block ×4, first 2 shown]
	s_and_b32 exec_lo, exec_lo, vcc_lo
	s_cbranch_execz .LBB132_23
; %bb.19:
	s_waitcnt lgkmcnt(2)
	v_add_f64 v[8:9], v[6:7], v[8:9]
	s_waitcnt lgkmcnt(0)
	v_add_f64 v[6:7], v[10:11], v[12:13]
	s_load_dwordx2 s[0:1], s[4:5], 0x38
	s_mov_b32 s2, exec_lo
	v_cmpx_eq_f64_e32 0, v[3:4]
	s_xor_b32 s2, exec_lo, s2
	s_cbranch_execz .LBB132_21
; %bb.20:
	v_lshlrev_b32_e32 v0, 1, v5
	v_mul_f64 v[3:4], v[1:2], v[8:9]
	v_mul_f64 v[5:6], v[1:2], v[6:7]
                                        ; implicit-def: $vgpr8_vgpr9
	v_ashrrev_i32_e32 v1, 31, v0
	v_lshlrev_b64 v[0:1], 3, v[0:1]
	s_waitcnt lgkmcnt(0)
	v_add_co_u32 v0, vcc_lo, s0, v0
	v_add_co_ci_u32_e64 v1, null, s1, v1, vcc_lo
	global_store_dwordx4 v[0:1], v[3:6], off
                                        ; implicit-def: $vgpr5
                                        ; implicit-def: $vgpr1_vgpr2
                                        ; implicit-def: $vgpr3_vgpr4
                                        ; implicit-def: $vgpr6_vgpr7
.LBB132_21:
	s_andn2_saveexec_b32 s2, s2
	s_cbranch_execz .LBB132_23
; %bb.22:
	v_lshlrev_b32_e32 v10, 1, v5
	v_mul_f64 v[8:9], v[1:2], v[8:9]
	v_mul_f64 v[5:6], v[1:2], v[6:7]
	v_ashrrev_i32_e32 v11, 31, v10
	v_lshlrev_b64 v[10:11], 3, v[10:11]
	s_waitcnt lgkmcnt(0)
	v_add_co_u32 v14, vcc_lo, s0, v10
	v_add_co_ci_u32_e64 v15, null, s1, v11, vcc_lo
	global_load_dwordx4 v[10:13], v[14:15], off
	s_waitcnt vmcnt(0)
	v_fma_f64 v[0:1], v[3:4], v[10:11], v[8:9]
	v_fma_f64 v[2:3], v[3:4], v[12:13], v[5:6]
	global_store_dwordx4 v[14:15], v[0:3], off
.LBB132_23:
	s_endpgm
	.section	.rodata,"a",@progbits
	.p2align	6, 0x0
	.amdhsa_kernel _ZN9rocsparseL19gebsrmvn_2xn_kernelILj128ELj13ELj8EdEEvi20rocsparse_direction_NS_24const_host_device_scalarIT2_EEPKiS6_PKS3_S8_S4_PS3_21rocsparse_index_base_b
		.amdhsa_group_segment_fixed_size 0
		.amdhsa_private_segment_fixed_size 0
		.amdhsa_kernarg_size 72
		.amdhsa_user_sgpr_count 6
		.amdhsa_user_sgpr_private_segment_buffer 1
		.amdhsa_user_sgpr_dispatch_ptr 0
		.amdhsa_user_sgpr_queue_ptr 0
		.amdhsa_user_sgpr_kernarg_segment_ptr 1
		.amdhsa_user_sgpr_dispatch_id 0
		.amdhsa_user_sgpr_flat_scratch_init 0
		.amdhsa_user_sgpr_private_segment_size 0
		.amdhsa_wavefront_size32 1
		.amdhsa_uses_dynamic_stack 0
		.amdhsa_system_sgpr_private_segment_wavefront_offset 0
		.amdhsa_system_sgpr_workgroup_id_x 1
		.amdhsa_system_sgpr_workgroup_id_y 0
		.amdhsa_system_sgpr_workgroup_id_z 0
		.amdhsa_system_sgpr_workgroup_info 0
		.amdhsa_system_vgpr_workitem_id 0
		.amdhsa_next_free_vgpr 67
		.amdhsa_next_free_sgpr 16
		.amdhsa_reserve_vcc 1
		.amdhsa_reserve_flat_scratch 0
		.amdhsa_float_round_mode_32 0
		.amdhsa_float_round_mode_16_64 0
		.amdhsa_float_denorm_mode_32 3
		.amdhsa_float_denorm_mode_16_64 3
		.amdhsa_dx10_clamp 1
		.amdhsa_ieee_mode 1
		.amdhsa_fp16_overflow 0
		.amdhsa_workgroup_processor_mode 1
		.amdhsa_memory_ordered 1
		.amdhsa_forward_progress 1
		.amdhsa_shared_vgpr_count 0
		.amdhsa_exception_fp_ieee_invalid_op 0
		.amdhsa_exception_fp_denorm_src 0
		.amdhsa_exception_fp_ieee_div_zero 0
		.amdhsa_exception_fp_ieee_overflow 0
		.amdhsa_exception_fp_ieee_underflow 0
		.amdhsa_exception_fp_ieee_inexact 0
		.amdhsa_exception_int_div_zero 0
	.end_amdhsa_kernel
	.section	.text._ZN9rocsparseL19gebsrmvn_2xn_kernelILj128ELj13ELj8EdEEvi20rocsparse_direction_NS_24const_host_device_scalarIT2_EEPKiS6_PKS3_S8_S4_PS3_21rocsparse_index_base_b,"axG",@progbits,_ZN9rocsparseL19gebsrmvn_2xn_kernelILj128ELj13ELj8EdEEvi20rocsparse_direction_NS_24const_host_device_scalarIT2_EEPKiS6_PKS3_S8_S4_PS3_21rocsparse_index_base_b,comdat
.Lfunc_end132:
	.size	_ZN9rocsparseL19gebsrmvn_2xn_kernelILj128ELj13ELj8EdEEvi20rocsparse_direction_NS_24const_host_device_scalarIT2_EEPKiS6_PKS3_S8_S4_PS3_21rocsparse_index_base_b, .Lfunc_end132-_ZN9rocsparseL19gebsrmvn_2xn_kernelILj128ELj13ELj8EdEEvi20rocsparse_direction_NS_24const_host_device_scalarIT2_EEPKiS6_PKS3_S8_S4_PS3_21rocsparse_index_base_b
                                        ; -- End function
	.set _ZN9rocsparseL19gebsrmvn_2xn_kernelILj128ELj13ELj8EdEEvi20rocsparse_direction_NS_24const_host_device_scalarIT2_EEPKiS6_PKS3_S8_S4_PS3_21rocsparse_index_base_b.num_vgpr, 67
	.set _ZN9rocsparseL19gebsrmvn_2xn_kernelILj128ELj13ELj8EdEEvi20rocsparse_direction_NS_24const_host_device_scalarIT2_EEPKiS6_PKS3_S8_S4_PS3_21rocsparse_index_base_b.num_agpr, 0
	.set _ZN9rocsparseL19gebsrmvn_2xn_kernelILj128ELj13ELj8EdEEvi20rocsparse_direction_NS_24const_host_device_scalarIT2_EEPKiS6_PKS3_S8_S4_PS3_21rocsparse_index_base_b.numbered_sgpr, 16
	.set _ZN9rocsparseL19gebsrmvn_2xn_kernelILj128ELj13ELj8EdEEvi20rocsparse_direction_NS_24const_host_device_scalarIT2_EEPKiS6_PKS3_S8_S4_PS3_21rocsparse_index_base_b.num_named_barrier, 0
	.set _ZN9rocsparseL19gebsrmvn_2xn_kernelILj128ELj13ELj8EdEEvi20rocsparse_direction_NS_24const_host_device_scalarIT2_EEPKiS6_PKS3_S8_S4_PS3_21rocsparse_index_base_b.private_seg_size, 0
	.set _ZN9rocsparseL19gebsrmvn_2xn_kernelILj128ELj13ELj8EdEEvi20rocsparse_direction_NS_24const_host_device_scalarIT2_EEPKiS6_PKS3_S8_S4_PS3_21rocsparse_index_base_b.uses_vcc, 1
	.set _ZN9rocsparseL19gebsrmvn_2xn_kernelILj128ELj13ELj8EdEEvi20rocsparse_direction_NS_24const_host_device_scalarIT2_EEPKiS6_PKS3_S8_S4_PS3_21rocsparse_index_base_b.uses_flat_scratch, 0
	.set _ZN9rocsparseL19gebsrmvn_2xn_kernelILj128ELj13ELj8EdEEvi20rocsparse_direction_NS_24const_host_device_scalarIT2_EEPKiS6_PKS3_S8_S4_PS3_21rocsparse_index_base_b.has_dyn_sized_stack, 0
	.set _ZN9rocsparseL19gebsrmvn_2xn_kernelILj128ELj13ELj8EdEEvi20rocsparse_direction_NS_24const_host_device_scalarIT2_EEPKiS6_PKS3_S8_S4_PS3_21rocsparse_index_base_b.has_recursion, 0
	.set _ZN9rocsparseL19gebsrmvn_2xn_kernelILj128ELj13ELj8EdEEvi20rocsparse_direction_NS_24const_host_device_scalarIT2_EEPKiS6_PKS3_S8_S4_PS3_21rocsparse_index_base_b.has_indirect_call, 0
	.section	.AMDGPU.csdata,"",@progbits
; Kernel info:
; codeLenInByte = 3896
; TotalNumSgprs: 18
; NumVgprs: 67
; ScratchSize: 0
; MemoryBound: 0
; FloatMode: 240
; IeeeMode: 1
; LDSByteSize: 0 bytes/workgroup (compile time only)
; SGPRBlocks: 0
; VGPRBlocks: 8
; NumSGPRsForWavesPerEU: 18
; NumVGPRsForWavesPerEU: 67
; Occupancy: 12
; WaveLimiterHint : 1
; COMPUTE_PGM_RSRC2:SCRATCH_EN: 0
; COMPUTE_PGM_RSRC2:USER_SGPR: 6
; COMPUTE_PGM_RSRC2:TRAP_HANDLER: 0
; COMPUTE_PGM_RSRC2:TGID_X_EN: 1
; COMPUTE_PGM_RSRC2:TGID_Y_EN: 0
; COMPUTE_PGM_RSRC2:TGID_Z_EN: 0
; COMPUTE_PGM_RSRC2:TIDIG_COMP_CNT: 0
	.section	.text._ZN9rocsparseL19gebsrmvn_2xn_kernelILj128ELj13ELj16EdEEvi20rocsparse_direction_NS_24const_host_device_scalarIT2_EEPKiS6_PKS3_S8_S4_PS3_21rocsparse_index_base_b,"axG",@progbits,_ZN9rocsparseL19gebsrmvn_2xn_kernelILj128ELj13ELj16EdEEvi20rocsparse_direction_NS_24const_host_device_scalarIT2_EEPKiS6_PKS3_S8_S4_PS3_21rocsparse_index_base_b,comdat
	.globl	_ZN9rocsparseL19gebsrmvn_2xn_kernelILj128ELj13ELj16EdEEvi20rocsparse_direction_NS_24const_host_device_scalarIT2_EEPKiS6_PKS3_S8_S4_PS3_21rocsparse_index_base_b ; -- Begin function _ZN9rocsparseL19gebsrmvn_2xn_kernelILj128ELj13ELj16EdEEvi20rocsparse_direction_NS_24const_host_device_scalarIT2_EEPKiS6_PKS3_S8_S4_PS3_21rocsparse_index_base_b
	.p2align	8
	.type	_ZN9rocsparseL19gebsrmvn_2xn_kernelILj128ELj13ELj16EdEEvi20rocsparse_direction_NS_24const_host_device_scalarIT2_EEPKiS6_PKS3_S8_S4_PS3_21rocsparse_index_base_b,@function
_ZN9rocsparseL19gebsrmvn_2xn_kernelILj128ELj13ELj16EdEEvi20rocsparse_direction_NS_24const_host_device_scalarIT2_EEPKiS6_PKS3_S8_S4_PS3_21rocsparse_index_base_b: ; @_ZN9rocsparseL19gebsrmvn_2xn_kernelILj128ELj13ELj16EdEEvi20rocsparse_direction_NS_24const_host_device_scalarIT2_EEPKiS6_PKS3_S8_S4_PS3_21rocsparse_index_base_b
; %bb.0:
	s_clause 0x2
	s_load_dwordx2 s[2:3], s[4:5], 0x40
	s_load_dwordx2 s[8:9], s[4:5], 0x8
	;; [unrolled: 1-line block ×3, first 2 shown]
	s_waitcnt lgkmcnt(0)
	s_bitcmp1_b32 s3, 0
	v_mov_b32_e32 v1, s8
	v_mov_b32_e32 v2, s9
	s_cselect_b32 s3, -1, 0
	s_and_b32 vcc_lo, exec_lo, s3
	s_xor_b32 s3, s3, -1
	s_cbranch_vccnz .LBB133_2
; %bb.1:
	v_mov_b32_e32 v1, s8
	v_mov_b32_e32 v2, s9
	flat_load_dwordx2 v[1:2], v[1:2]
.LBB133_2:
	v_mov_b32_e32 v4, s1
	v_mov_b32_e32 v3, s0
	s_andn2_b32 vcc_lo, exec_lo, s3
	s_cbranch_vccnz .LBB133_4
; %bb.3:
	v_mov_b32_e32 v4, s1
	v_mov_b32_e32 v3, s0
	flat_load_dwordx2 v[3:4], v[3:4]
.LBB133_4:
	s_waitcnt vmcnt(0) lgkmcnt(0)
	v_cmp_neq_f64_e32 vcc_lo, 0, v[1:2]
	v_cmp_neq_f64_e64 s0, 1.0, v[3:4]
	s_or_b32 s0, vcc_lo, s0
	s_and_saveexec_b32 s1, s0
	s_cbranch_execz .LBB133_23
; %bb.5:
	s_load_dwordx2 s[0:1], s[4:5], 0x0
	v_lshrrev_b32_e32 v5, 4, v0
	v_lshl_or_b32 v5, s6, 3, v5
	s_waitcnt lgkmcnt(0)
	v_cmp_gt_i32_e32 vcc_lo, s0, v5
	s_and_b32 exec_lo, exec_lo, vcc_lo
	s_cbranch_execz .LBB133_23
; %bb.6:
	s_load_dwordx8 s[8:15], s[4:5], 0x10
	v_ashrrev_i32_e32 v6, 31, v5
	v_and_b32_e32 v0, 15, v0
	s_cmp_lg_u32 s1, 0
	v_lshlrev_b64 v[6:7], 2, v[5:6]
	s_waitcnt lgkmcnt(0)
	v_add_co_u32 v6, vcc_lo, s8, v6
	v_add_co_ci_u32_e64 v7, null, s9, v7, vcc_lo
	global_load_dwordx2 v[6:7], v[6:7], off
	s_waitcnt vmcnt(0)
	v_subrev_nc_u32_e32 v6, s2, v6
	v_subrev_nc_u32_e32 v18, s2, v7
	v_add_nc_u32_e32 v6, v6, v0
	v_cmp_lt_i32_e64 s0, v6, v18
	s_cbranch_scc0 .LBB133_12
; %bb.7:
	v_mov_b32_e32 v8, 0
	v_mov_b32_e32 v10, 0
	;; [unrolled: 1-line block ×4, first 2 shown]
	s_and_saveexec_b32 s1, s0
	s_cbranch_execz .LBB133_11
; %bb.8:
	v_mad_u64_u32 v[7:8], null, v6, 26, 24
	v_mov_b32_e32 v8, 0
	v_mov_b32_e32 v10, 0
	;; [unrolled: 1-line block ×6, first 2 shown]
	s_mov_b32 s3, 0
.LBB133_9:                              ; =>This Inner Loop Header: Depth=1
	v_ashrrev_i32_e32 v15, 31, v14
	v_subrev_nc_u32_e32 v12, 24, v7
	v_lshlrev_b64 v[15:16], 2, v[14:15]
	v_lshlrev_b64 v[19:20], 3, v[12:13]
	v_subrev_nc_u32_e32 v12, 22, v7
	v_add_nc_u32_e32 v14, 16, v14
	v_add_co_u32 v15, vcc_lo, s10, v15
	v_add_co_ci_u32_e64 v16, null, s11, v16, vcc_lo
	v_lshlrev_b64 v[21:22], 3, v[12:13]
	v_add_co_u32 v19, vcc_lo, s12, v19
	global_load_dword v15, v[15:16], off
	v_mov_b32_e32 v16, v13
	v_add_co_ci_u32_e64 v20, null, s13, v20, vcc_lo
	v_add_co_u32 v23, vcc_lo, s12, v21
	v_add_co_ci_u32_e64 v24, null, s13, v22, vcc_lo
	s_clause 0x1
	global_load_dwordx4 v[19:22], v[19:20], off
	global_load_dwordx4 v[23:26], v[23:24], off
	s_waitcnt vmcnt(2)
	v_subrev_nc_u32_e32 v12, s2, v15
	v_mul_lo_u32 v15, v12, 13
	v_lshlrev_b64 v[16:17], 3, v[15:16]
	v_add_nc_u32_e32 v12, 1, v15
	v_lshlrev_b64 v[27:28], 3, v[12:13]
	v_add_co_u32 v16, vcc_lo, s14, v16
	v_add_co_ci_u32_e64 v17, null, s15, v17, vcc_lo
	v_subrev_nc_u32_e32 v12, 20, v7
	v_add_co_u32 v27, vcc_lo, s14, v27
	global_load_dwordx2 v[16:17], v[16:17], off
	v_add_co_ci_u32_e64 v28, null, s15, v28, vcc_lo
	v_lshlrev_b64 v[29:30], 3, v[12:13]
	v_add_nc_u32_e32 v12, 2, v15
	global_load_dwordx2 v[47:48], v[27:28], off
	v_lshlrev_b64 v[31:32], 3, v[12:13]
	v_add_co_u32 v27, vcc_lo, s12, v29
	v_add_co_ci_u32_e64 v28, null, s13, v30, vcc_lo
	v_subrev_nc_u32_e32 v12, 18, v7
	v_add_co_u32 v31, vcc_lo, s14, v31
	v_add_co_ci_u32_e64 v32, null, s15, v32, vcc_lo
	global_load_dwordx4 v[27:30], v[27:28], off
	v_lshlrev_b64 v[33:34], 3, v[12:13]
	v_add_nc_u32_e32 v12, 3, v15
	global_load_dwordx2 v[49:50], v[31:32], off
	v_lshlrev_b64 v[35:36], 3, v[12:13]
	v_add_co_u32 v31, vcc_lo, s12, v33
	v_add_co_ci_u32_e64 v32, null, s13, v34, vcc_lo
	v_add_nc_u32_e32 v12, -16, v7
	v_add_co_u32 v35, vcc_lo, s14, v35
	v_add_co_ci_u32_e64 v36, null, s15, v36, vcc_lo
	global_load_dwordx4 v[31:34], v[31:32], off
	v_lshlrev_b64 v[37:38], 3, v[12:13]
	v_add_nc_u32_e32 v12, 4, v15
	global_load_dwordx2 v[51:52], v[35:36], off
	v_lshlrev_b64 v[39:40], 3, v[12:13]
	v_add_co_u32 v35, vcc_lo, s12, v37
	v_add_co_ci_u32_e64 v36, null, s13, v38, vcc_lo
	v_add_nc_u32_e32 v12, -14, v7
	v_add_co_u32 v39, vcc_lo, s14, v39
	v_add_co_ci_u32_e64 v40, null, s15, v40, vcc_lo
	global_load_dwordx4 v[35:38], v[35:36], off
	global_load_dwordx2 v[53:54], v[39:40], off
	v_lshlrev_b64 v[41:42], 3, v[12:13]
	v_add_nc_u32_e32 v12, 5, v15
	v_lshlrev_b64 v[39:40], 3, v[12:13]
	v_add_co_u32 v41, vcc_lo, s12, v41
	v_add_co_ci_u32_e64 v42, null, s13, v42, vcc_lo
	v_add_nc_u32_e32 v12, -12, v7
	v_add_co_u32 v45, vcc_lo, s14, v39
	v_add_co_ci_u32_e64 v46, null, s15, v40, vcc_lo
	global_load_dwordx4 v[39:42], v[41:42], off
	global_load_dwordx2 v[55:56], v[45:46], off
	v_lshlrev_b64 v[43:44], 3, v[12:13]
	v_add_nc_u32_e32 v12, 6, v15
	;; [unrolled: 10-line block ×3, first 2 shown]
	v_lshlrev_b64 v[61:62], 3, v[12:13]
	v_add_co_u32 v57, vcc_lo, s12, v57
	v_add_co_ci_u32_e64 v58, null, s13, v58, vcc_lo
	v_add_nc_u32_e32 v12, -8, v7
	v_add_co_u32 v61, vcc_lo, s14, v61
	v_add_co_ci_u32_e64 v62, null, s15, v62, vcc_lo
	s_waitcnt vmcnt(11)
	v_fma_f64 v[8:9], v[19:20], v[16:17], v[8:9]
	v_fma_f64 v[10:11], v[21:22], v[16:17], v[10:11]
	global_load_dwordx4 v[19:22], v[57:58], off
	global_load_dwordx2 v[57:58], v[61:62], off
	v_lshlrev_b64 v[16:17], 3, v[12:13]
	v_add_nc_u32_e32 v12, 8, v15
	v_lshlrev_b64 v[61:62], 3, v[12:13]
	v_add_co_u32 v16, vcc_lo, s12, v16
	v_add_co_ci_u32_e64 v17, null, s13, v17, vcc_lo
	v_add_nc_u32_e32 v12, -6, v7
	v_add_co_u32 v61, vcc_lo, s14, v61
	v_add_co_ci_u32_e64 v62, null, s15, v62, vcc_lo
	s_waitcnt vmcnt(12)
	v_fma_f64 v[8:9], v[23:24], v[47:48], v[8:9]
	v_fma_f64 v[10:11], v[25:26], v[47:48], v[10:11]
	global_load_dwordx4 v[23:26], v[16:17], off
	global_load_dwordx2 v[16:17], v[61:62], off
	v_lshlrev_b64 v[47:48], 3, v[12:13]
	v_add_nc_u32_e32 v12, 9, v15
	v_add_co_u32 v47, vcc_lo, s12, v47
	v_lshlrev_b64 v[61:62], 3, v[12:13]
	v_add_co_ci_u32_e64 v48, null, s13, v48, vcc_lo
	v_add_nc_u32_e32 v12, -4, v7
	s_waitcnt vmcnt(12)
	v_fma_f64 v[8:9], v[27:28], v[49:50], v[8:9]
	v_fma_f64 v[10:11], v[29:30], v[49:50], v[10:11]
	global_load_dwordx4 v[27:30], v[47:48], off
	v_add_co_u32 v47, vcc_lo, s14, v61
	v_add_co_ci_u32_e64 v48, null, s15, v62, vcc_lo
	v_lshlrev_b64 v[49:50], 3, v[12:13]
	v_add_nc_u32_e32 v12, 10, v15
	global_load_dwordx2 v[47:48], v[47:48], off
	v_lshlrev_b64 v[61:62], 3, v[12:13]
	v_add_nc_u32_e32 v12, -2, v7
	v_add_co_u32 v49, vcc_lo, s12, v49
	v_add_co_ci_u32_e64 v50, null, s13, v50, vcc_lo
	s_waitcnt vmcnt(12)
	v_fma_f64 v[63:64], v[31:32], v[51:52], v[8:9]
	v_lshlrev_b64 v[31:32], 3, v[12:13]
	v_fma_f64 v[9:10], v[33:34], v[51:52], v[10:11]
	v_add_co_u32 v51, vcc_lo, s14, v61
	v_add_co_ci_u32_e64 v52, null, s15, v62, vcc_lo
	v_add_co_u32 v61, vcc_lo, s12, v31
	v_add_co_ci_u32_e64 v62, null, s13, v32, vcc_lo
	global_load_dwordx4 v[31:34], v[49:50], off
	global_load_dwordx2 v[49:50], v[51:52], off
	v_add_nc_u32_e32 v12, 11, v15
	v_mov_b32_e32 v8, v13
	v_lshlrev_b64 v[11:12], 3, v[12:13]
	s_waitcnt vmcnt(12)
	v_fma_f64 v[51:52], v[35:36], v[53:54], v[63:64]
	v_add_co_u32 v11, vcc_lo, s14, v11
	v_add_co_ci_u32_e64 v12, null, s15, v12, vcc_lo
	v_fma_f64 v[53:54], v[37:38], v[53:54], v[9:10]
	global_load_dwordx4 v[35:38], v[61:62], off
	global_load_dwordx2 v[61:62], v[11:12], off
	v_add_nc_u32_e32 v12, 12, v15
	v_lshlrev_b64 v[8:9], 3, v[7:8]
	v_add_nc_u32_e32 v7, 0x1a0, v7
	v_lshlrev_b64 v[10:11], 3, v[12:13]
	v_add_co_u32 v8, vcc_lo, s12, v8
	v_add_co_ci_u32_e64 v9, null, s13, v9, vcc_lo
	v_add_co_u32 v63, vcc_lo, s14, v10
	v_add_co_ci_u32_e64 v64, null, s15, v11, vcc_lo
	global_load_dwordx4 v[8:11], v[8:9], off
	global_load_dwordx2 v[63:64], v[63:64], off
	s_waitcnt vmcnt(14)
	v_fma_f64 v[39:40], v[39:40], v[55:56], v[51:52]
	v_fma_f64 v[41:42], v[41:42], v[55:56], v[53:54]
	v_cmp_ge_i32_e32 vcc_lo, v14, v18
	s_or_b32 s3, vcc_lo, s3
	s_waitcnt vmcnt(12)
	v_fma_f64 v[39:40], v[43:44], v[59:60], v[39:40]
	v_fma_f64 v[41:42], v[45:46], v[59:60], v[41:42]
	s_waitcnt vmcnt(10)
	v_fma_f64 v[19:20], v[19:20], v[57:58], v[39:40]
	v_fma_f64 v[21:22], v[21:22], v[57:58], v[41:42]
	;; [unrolled: 3-line block ×7, first 2 shown]
	s_andn2_b32 exec_lo, exec_lo, s3
	s_cbranch_execnz .LBB133_9
; %bb.10:
	s_or_b32 exec_lo, exec_lo, s3
.LBB133_11:
	s_or_b32 exec_lo, exec_lo, s1
	s_cbranch_execz .LBB133_13
	s_branch .LBB133_18
.LBB133_12:
                                        ; implicit-def: $vgpr8_vgpr9
                                        ; implicit-def: $vgpr10_vgpr11
.LBB133_13:
	v_mov_b32_e32 v8, 0
	v_mov_b32_e32 v10, 0
	v_mov_b32_e32 v9, 0
	v_mov_b32_e32 v11, 0
	s_and_saveexec_b32 s1, s0
	s_cbranch_execz .LBB133_17
; %bb.14:
	v_mad_u64_u32 v[12:13], null, v6, 26, 25
	v_mov_b32_e32 v8, 0
	v_mov_b32_e32 v10, 0
	;; [unrolled: 1-line block ×5, first 2 shown]
	s_mov_b32 s0, 0
.LBB133_15:                             ; =>This Inner Loop Header: Depth=1
	v_ashrrev_i32_e32 v7, 31, v6
	v_subrev_nc_u32_e32 v14, 25, v12
	v_add_nc_u32_e32 v19, -12, v12
	v_mov_b32_e32 v20, v15
	v_mov_b32_e32 v13, v15
	v_lshlrev_b64 v[21:22], 2, v[6:7]
	v_lshlrev_b64 v[23:24], 3, v[14:15]
	v_mov_b32_e32 v17, v15
	v_lshlrev_b64 v[19:20], 3, v[19:20]
	v_lshlrev_b64 v[13:14], 3, v[12:13]
	v_add_nc_u32_e32 v6, 16, v6
	v_add_co_u32 v21, vcc_lo, s10, v21
	v_add_co_ci_u32_e64 v22, null, s11, v22, vcc_lo
	v_add_co_u32 v23, vcc_lo, s12, v23
	v_add_co_ci_u32_e64 v24, null, s13, v24, vcc_lo
	global_load_dword v7, v[21:22], off
	v_add_co_u32 v19, vcc_lo, s12, v19
	v_add_co_ci_u32_e64 v20, null, s13, v20, vcc_lo
	v_add_co_u32 v25, vcc_lo, s12, v13
	v_add_co_ci_u32_e64 v26, null, s13, v14, vcc_lo
	s_waitcnt vmcnt(0)
	v_subrev_nc_u32_e32 v7, s2, v7
	v_mul_lo_u32 v16, v7, 13
	v_add_nc_u32_e32 v14, 1, v16
	v_lshlrev_b64 v[21:22], 3, v[16:17]
	v_lshlrev_b64 v[27:28], 3, v[14:15]
	v_add_nc_u32_e32 v14, -11, v12
	v_add_co_u32 v21, vcc_lo, s14, v21
	v_add_co_ci_u32_e64 v22, null, s15, v22, vcc_lo
	v_lshlrev_b64 v[29:30], 3, v[14:15]
	v_subrev_nc_u32_e32 v14, 23, v12
	v_add_co_u32 v27, vcc_lo, s14, v27
	v_add_co_ci_u32_e64 v28, null, s15, v28, vcc_lo
	v_lshlrev_b64 v[31:32], 3, v[14:15]
	v_add_nc_u32_e32 v14, 2, v16
	v_add_co_u32 v29, vcc_lo, s12, v29
	v_add_co_ci_u32_e64 v30, null, s13, v30, vcc_lo
	v_lshlrev_b64 v[33:34], 3, v[14:15]
	v_add_nc_u32_e32 v14, -10, v12
	v_add_co_u32 v31, vcc_lo, s12, v31
	v_add_co_ci_u32_e64 v32, null, s13, v32, vcc_lo
	v_lshlrev_b64 v[35:36], 3, v[14:15]
	v_subrev_nc_u32_e32 v14, 22, v12
	v_add_co_u32 v33, vcc_lo, s14, v33
	v_add_co_ci_u32_e64 v34, null, s15, v34, vcc_lo
	v_lshlrev_b64 v[37:38], 3, v[14:15]
	v_add_nc_u32_e32 v14, 3, v16
	v_add_co_u32 v35, vcc_lo, s12, v35
	v_add_co_ci_u32_e64 v36, null, s13, v36, vcc_lo
	;; [unrolled: 12-line block ×6, first 2 shown]
	v_lshlrev_b64 v[13:14], 3, v[14:15]
	v_add_co_u32 v61, vcc_lo, s12, v61
	v_add_co_ci_u32_e64 v62, null, s13, v62, vcc_lo
	v_add_co_u32 v63, vcc_lo, s14, v13
	v_add_co_ci_u32_e64 v64, null, s15, v14, vcc_lo
	global_load_dwordx2 v[13:14], v[19:20], off
	global_load_dwordx2 v[65:66], v[21:22], off
	global_load_dwordx4 v[19:22], v[23:24], off
	global_load_dwordx2 v[23:24], v[27:28], off
	s_clause 0x1
	global_load_dwordx2 v[27:28], v[29:30], off
	global_load_dwordx2 v[29:30], v[31:32], off
	global_load_dwordx2 v[33:34], v[33:34], off
	s_clause 0x1
	global_load_dwordx2 v[35:36], v[35:36], off
	global_load_dwordx2 v[37:38], v[37:38], off
	;; [unrolled: 4-line block ×4, first 2 shown]
	s_waitcnt vmcnt(12)
	v_fma_f64 v[7:8], v[19:20], v[65:66], v[8:9]
	v_fma_f64 v[10:11], v[13:14], v[65:66], v[10:11]
	v_add_nc_u32_e32 v14, -5, v12
	v_lshlrev_b64 v[19:20], 3, v[14:15]
	v_subrev_nc_u32_e32 v14, 17, v12
	v_add_co_u32 v19, vcc_lo, s12, v19
	v_add_co_ci_u32_e64 v20, null, s13, v20, vcc_lo
	s_waitcnt vmcnt(11)
	v_fma_f64 v[7:8], v[21:22], v[23:24], v[7:8]
	v_lshlrev_b64 v[21:22], 3, v[14:15]
	v_add_nc_u32_e32 v14, 8, v16
	s_waitcnt vmcnt(10)
	v_fma_f64 v[9:10], v[27:28], v[23:24], v[10:11]
	v_lshlrev_b64 v[31:32], 3, v[14:15]
	v_add_nc_u32_e32 v14, -4, v12
	v_add_co_u32 v21, vcc_lo, s12, v21
	v_add_co_ci_u32_e64 v22, null, s13, v22, vcc_lo
	v_lshlrev_b64 v[23:24], 3, v[14:15]
	v_add_nc_u32_e32 v14, -16, v12
	v_add_co_u32 v27, vcc_lo, s14, v31
	v_add_co_ci_u32_e64 v28, null, s15, v32, vcc_lo
	v_lshlrev_b64 v[13:14], 3, v[14:15]
	v_add_co_u32 v23, vcc_lo, s12, v23
	v_add_co_ci_u32_e64 v24, null, s13, v24, vcc_lo
	s_waitcnt vmcnt(8)
	v_fma_f64 v[7:8], v[29:30], v[33:34], v[7:8]
	v_add_co_u32 v31, vcc_lo, s12, v13
	v_add_co_ci_u32_e64 v32, null, s13, v14, vcc_lo
	v_add_nc_u32_e32 v14, 9, v16
	s_waitcnt vmcnt(7)
	v_fma_f64 v[9:10], v[35:36], v[33:34], v[9:10]
	v_lshlrev_b64 v[29:30], 3, v[14:15]
	v_add_nc_u32_e32 v14, -3, v12
	v_lshlrev_b64 v[33:34], 3, v[14:15]
	v_add_nc_u32_e32 v14, -15, v12
	v_add_co_u32 v29, vcc_lo, s14, v29
	v_add_co_ci_u32_e64 v30, null, s15, v30, vcc_lo
	v_lshlrev_b64 v[13:14], 3, v[14:15]
	v_add_co_u32 v33, vcc_lo, s12, v33
	v_add_co_ci_u32_e64 v34, null, s13, v34, vcc_lo
	s_waitcnt vmcnt(5)
	v_fma_f64 v[7:8], v[37:38], v[39:40], v[7:8]
	v_add_co_u32 v35, vcc_lo, s12, v13
	v_add_co_ci_u32_e64 v36, null, s13, v14, vcc_lo
	v_add_nc_u32_e32 v14, 10, v16
	s_waitcnt vmcnt(4)
	v_fma_f64 v[9:10], v[41:42], v[39:40], v[9:10]
	v_lshlrev_b64 v[37:38], 3, v[14:15]
	v_add_nc_u32_e32 v14, -2, v12
	;; [unrolled: 16-line block ×3, first 2 shown]
	v_lshlrev_b64 v[45:46], 3, v[14:15]
	v_add_nc_u32_e32 v14, -13, v12
	v_add_co_u32 v43, vcc_lo, s14, v43
	v_add_co_ci_u32_e64 v44, null, s15, v44, vcc_lo
	v_lshlrev_b64 v[47:48], 3, v[14:15]
	v_add_nc_u32_e32 v14, 12, v16
	v_add_co_u32 v16, vcc_lo, s12, v45
	v_add_co_ci_u32_e64 v17, null, s13, v46, vcc_lo
	v_lshlrev_b64 v[13:14], 3, v[14:15]
	v_add_co_u32 v45, vcc_lo, s12, v47
	v_add_co_ci_u32_e64 v46, null, s13, v48, vcc_lo
	v_add_nc_u32_e32 v12, 0x1a0, v12
	v_add_co_u32 v13, vcc_lo, s14, v13
	v_add_co_ci_u32_e64 v14, null, s15, v14, vcc_lo
	global_load_dwordx2 v[47:48], v[51:52], off
	s_clause 0x1
	global_load_dwordx2 v[51:52], v[53:54], off
	global_load_dwordx2 v[53:54], v[55:56], off
	global_load_dwordx2 v[55:56], v[57:58], off
	s_clause 0x1
	global_load_dwordx2 v[57:58], v[59:60], off
	global_load_dwordx2 v[59:60], v[61:62], off
	global_load_dwordx2 v[61:62], v[63:64], off
	s_clause 0x1
	global_load_dwordx2 v[19:20], v[19:20], off
	global_load_dwordx2 v[21:22], v[21:22], off
	global_load_dwordx2 v[27:28], v[27:28], off
	s_clause 0x1
	global_load_dwordx2 v[23:24], v[23:24], off
	global_load_dwordx2 v[31:32], v[31:32], off
	global_load_dwordx2 v[29:30], v[29:30], off
	s_clause 0x1
	global_load_dwordx2 v[33:34], v[33:34], off
	global_load_dwordx2 v[35:36], v[35:36], off
	global_load_dwordx2 v[37:38], v[37:38], off
	s_clause 0x1
	global_load_dwordx2 v[39:40], v[39:40], off
	global_load_dwordx2 v[41:42], v[41:42], off
	global_load_dwordx2 v[43:44], v[43:44], off
	s_clause 0x2
	global_load_dwordx2 v[16:17], v[16:17], off
	global_load_dwordx2 v[25:26], v[25:26], off
	global_load_dwordx2 v[45:46], v[45:46], off
	global_load_dwordx2 v[13:14], v[13:14], off
	v_cmp_ge_i32_e32 vcc_lo, v6, v18
	s_or_b32 s0, vcc_lo, s0
	s_waitcnt vmcnt(22)
	v_fma_f64 v[7:8], v[49:50], v[47:48], v[7:8]
	s_waitcnt vmcnt(21)
	v_fma_f64 v[9:10], v[51:52], v[47:48], v[9:10]
	;; [unrolled: 2-line block ×15, first 2 shown]
	v_fma_f64 v[10:11], v[25:26], v[13:14], v[10:11]
	s_andn2_b32 exec_lo, exec_lo, s0
	s_cbranch_execnz .LBB133_15
; %bb.16:
	s_or_b32 exec_lo, exec_lo, s0
.LBB133_17:
	s_or_b32 exec_lo, exec_lo, s1
.LBB133_18:
	v_mbcnt_lo_u32_b32 v14, -1, 0
	v_xor_b32_e32 v6, 8, v14
	v_cmp_gt_i32_e32 vcc_lo, 32, v6
	v_cndmask_b32_e32 v6, v14, v6, vcc_lo
	v_lshlrev_b32_e32 v13, 2, v6
	ds_bpermute_b32 v6, v13, v8
	ds_bpermute_b32 v7, v13, v9
	;; [unrolled: 1-line block ×4, first 2 shown]
	s_waitcnt lgkmcnt(2)
	v_add_f64 v[6:7], v[8:9], v[6:7]
	s_waitcnt lgkmcnt(0)
	v_add_f64 v[8:9], v[10:11], v[12:13]
	v_xor_b32_e32 v10, 4, v14
	v_cmp_gt_i32_e32 vcc_lo, 32, v10
	v_cndmask_b32_e32 v10, v14, v10, vcc_lo
	v_lshlrev_b32_e32 v13, 2, v10
	ds_bpermute_b32 v10, v13, v6
	ds_bpermute_b32 v11, v13, v7
	ds_bpermute_b32 v12, v13, v8
	ds_bpermute_b32 v13, v13, v9
	s_waitcnt lgkmcnt(2)
	v_add_f64 v[6:7], v[6:7], v[10:11]
	v_xor_b32_e32 v10, 2, v14
	s_waitcnt lgkmcnt(0)
	v_add_f64 v[8:9], v[8:9], v[12:13]
	v_cmp_gt_i32_e32 vcc_lo, 32, v10
	v_cndmask_b32_e32 v10, v14, v10, vcc_lo
	v_lshlrev_b32_e32 v13, 2, v10
	ds_bpermute_b32 v10, v13, v6
	ds_bpermute_b32 v11, v13, v7
	ds_bpermute_b32 v12, v13, v8
	ds_bpermute_b32 v13, v13, v9
	s_waitcnt lgkmcnt(2)
	v_add_f64 v[6:7], v[6:7], v[10:11]
	s_waitcnt lgkmcnt(0)
	v_add_f64 v[10:11], v[8:9], v[12:13]
	v_xor_b32_e32 v8, 1, v14
	v_cmp_gt_i32_e32 vcc_lo, 32, v8
	v_cndmask_b32_e32 v8, v14, v8, vcc_lo
	v_cmp_eq_u32_e32 vcc_lo, 15, v0
	v_lshlrev_b32_e32 v13, 2, v8
	ds_bpermute_b32 v8, v13, v6
	ds_bpermute_b32 v9, v13, v7
	;; [unrolled: 1-line block ×4, first 2 shown]
	s_and_b32 exec_lo, exec_lo, vcc_lo
	s_cbranch_execz .LBB133_23
; %bb.19:
	s_waitcnt lgkmcnt(2)
	v_add_f64 v[8:9], v[6:7], v[8:9]
	s_waitcnt lgkmcnt(0)
	v_add_f64 v[6:7], v[10:11], v[12:13]
	s_load_dwordx2 s[0:1], s[4:5], 0x38
	s_mov_b32 s2, exec_lo
	v_cmpx_eq_f64_e32 0, v[3:4]
	s_xor_b32 s2, exec_lo, s2
	s_cbranch_execz .LBB133_21
; %bb.20:
	v_lshlrev_b32_e32 v0, 1, v5
	v_mul_f64 v[3:4], v[1:2], v[8:9]
	v_mul_f64 v[5:6], v[1:2], v[6:7]
                                        ; implicit-def: $vgpr8_vgpr9
	v_ashrrev_i32_e32 v1, 31, v0
	v_lshlrev_b64 v[0:1], 3, v[0:1]
	s_waitcnt lgkmcnt(0)
	v_add_co_u32 v0, vcc_lo, s0, v0
	v_add_co_ci_u32_e64 v1, null, s1, v1, vcc_lo
	global_store_dwordx4 v[0:1], v[3:6], off
                                        ; implicit-def: $vgpr5
                                        ; implicit-def: $vgpr1_vgpr2
                                        ; implicit-def: $vgpr3_vgpr4
                                        ; implicit-def: $vgpr6_vgpr7
.LBB133_21:
	s_andn2_saveexec_b32 s2, s2
	s_cbranch_execz .LBB133_23
; %bb.22:
	v_lshlrev_b32_e32 v10, 1, v5
	v_mul_f64 v[8:9], v[1:2], v[8:9]
	v_mul_f64 v[5:6], v[1:2], v[6:7]
	v_ashrrev_i32_e32 v11, 31, v10
	v_lshlrev_b64 v[10:11], 3, v[10:11]
	s_waitcnt lgkmcnt(0)
	v_add_co_u32 v14, vcc_lo, s0, v10
	v_add_co_ci_u32_e64 v15, null, s1, v11, vcc_lo
	global_load_dwordx4 v[10:13], v[14:15], off
	s_waitcnt vmcnt(0)
	v_fma_f64 v[0:1], v[3:4], v[10:11], v[8:9]
	v_fma_f64 v[2:3], v[3:4], v[12:13], v[5:6]
	global_store_dwordx4 v[14:15], v[0:3], off
.LBB133_23:
	s_endpgm
	.section	.rodata,"a",@progbits
	.p2align	6, 0x0
	.amdhsa_kernel _ZN9rocsparseL19gebsrmvn_2xn_kernelILj128ELj13ELj16EdEEvi20rocsparse_direction_NS_24const_host_device_scalarIT2_EEPKiS6_PKS3_S8_S4_PS3_21rocsparse_index_base_b
		.amdhsa_group_segment_fixed_size 0
		.amdhsa_private_segment_fixed_size 0
		.amdhsa_kernarg_size 72
		.amdhsa_user_sgpr_count 6
		.amdhsa_user_sgpr_private_segment_buffer 1
		.amdhsa_user_sgpr_dispatch_ptr 0
		.amdhsa_user_sgpr_queue_ptr 0
		.amdhsa_user_sgpr_kernarg_segment_ptr 1
		.amdhsa_user_sgpr_dispatch_id 0
		.amdhsa_user_sgpr_flat_scratch_init 0
		.amdhsa_user_sgpr_private_segment_size 0
		.amdhsa_wavefront_size32 1
		.amdhsa_uses_dynamic_stack 0
		.amdhsa_system_sgpr_private_segment_wavefront_offset 0
		.amdhsa_system_sgpr_workgroup_id_x 1
		.amdhsa_system_sgpr_workgroup_id_y 0
		.amdhsa_system_sgpr_workgroup_id_z 0
		.amdhsa_system_sgpr_workgroup_info 0
		.amdhsa_system_vgpr_workitem_id 0
		.amdhsa_next_free_vgpr 67
		.amdhsa_next_free_sgpr 16
		.amdhsa_reserve_vcc 1
		.amdhsa_reserve_flat_scratch 0
		.amdhsa_float_round_mode_32 0
		.amdhsa_float_round_mode_16_64 0
		.amdhsa_float_denorm_mode_32 3
		.amdhsa_float_denorm_mode_16_64 3
		.amdhsa_dx10_clamp 1
		.amdhsa_ieee_mode 1
		.amdhsa_fp16_overflow 0
		.amdhsa_workgroup_processor_mode 1
		.amdhsa_memory_ordered 1
		.amdhsa_forward_progress 1
		.amdhsa_shared_vgpr_count 0
		.amdhsa_exception_fp_ieee_invalid_op 0
		.amdhsa_exception_fp_denorm_src 0
		.amdhsa_exception_fp_ieee_div_zero 0
		.amdhsa_exception_fp_ieee_overflow 0
		.amdhsa_exception_fp_ieee_underflow 0
		.amdhsa_exception_fp_ieee_inexact 0
		.amdhsa_exception_int_div_zero 0
	.end_amdhsa_kernel
	.section	.text._ZN9rocsparseL19gebsrmvn_2xn_kernelILj128ELj13ELj16EdEEvi20rocsparse_direction_NS_24const_host_device_scalarIT2_EEPKiS6_PKS3_S8_S4_PS3_21rocsparse_index_base_b,"axG",@progbits,_ZN9rocsparseL19gebsrmvn_2xn_kernelILj128ELj13ELj16EdEEvi20rocsparse_direction_NS_24const_host_device_scalarIT2_EEPKiS6_PKS3_S8_S4_PS3_21rocsparse_index_base_b,comdat
.Lfunc_end133:
	.size	_ZN9rocsparseL19gebsrmvn_2xn_kernelILj128ELj13ELj16EdEEvi20rocsparse_direction_NS_24const_host_device_scalarIT2_EEPKiS6_PKS3_S8_S4_PS3_21rocsparse_index_base_b, .Lfunc_end133-_ZN9rocsparseL19gebsrmvn_2xn_kernelILj128ELj13ELj16EdEEvi20rocsparse_direction_NS_24const_host_device_scalarIT2_EEPKiS6_PKS3_S8_S4_PS3_21rocsparse_index_base_b
                                        ; -- End function
	.set _ZN9rocsparseL19gebsrmvn_2xn_kernelILj128ELj13ELj16EdEEvi20rocsparse_direction_NS_24const_host_device_scalarIT2_EEPKiS6_PKS3_S8_S4_PS3_21rocsparse_index_base_b.num_vgpr, 67
	.set _ZN9rocsparseL19gebsrmvn_2xn_kernelILj128ELj13ELj16EdEEvi20rocsparse_direction_NS_24const_host_device_scalarIT2_EEPKiS6_PKS3_S8_S4_PS3_21rocsparse_index_base_b.num_agpr, 0
	.set _ZN9rocsparseL19gebsrmvn_2xn_kernelILj128ELj13ELj16EdEEvi20rocsparse_direction_NS_24const_host_device_scalarIT2_EEPKiS6_PKS3_S8_S4_PS3_21rocsparse_index_base_b.numbered_sgpr, 16
	.set _ZN9rocsparseL19gebsrmvn_2xn_kernelILj128ELj13ELj16EdEEvi20rocsparse_direction_NS_24const_host_device_scalarIT2_EEPKiS6_PKS3_S8_S4_PS3_21rocsparse_index_base_b.num_named_barrier, 0
	.set _ZN9rocsparseL19gebsrmvn_2xn_kernelILj128ELj13ELj16EdEEvi20rocsparse_direction_NS_24const_host_device_scalarIT2_EEPKiS6_PKS3_S8_S4_PS3_21rocsparse_index_base_b.private_seg_size, 0
	.set _ZN9rocsparseL19gebsrmvn_2xn_kernelILj128ELj13ELj16EdEEvi20rocsparse_direction_NS_24const_host_device_scalarIT2_EEPKiS6_PKS3_S8_S4_PS3_21rocsparse_index_base_b.uses_vcc, 1
	.set _ZN9rocsparseL19gebsrmvn_2xn_kernelILj128ELj13ELj16EdEEvi20rocsparse_direction_NS_24const_host_device_scalarIT2_EEPKiS6_PKS3_S8_S4_PS3_21rocsparse_index_base_b.uses_flat_scratch, 0
	.set _ZN9rocsparseL19gebsrmvn_2xn_kernelILj128ELj13ELj16EdEEvi20rocsparse_direction_NS_24const_host_device_scalarIT2_EEPKiS6_PKS3_S8_S4_PS3_21rocsparse_index_base_b.has_dyn_sized_stack, 0
	.set _ZN9rocsparseL19gebsrmvn_2xn_kernelILj128ELj13ELj16EdEEvi20rocsparse_direction_NS_24const_host_device_scalarIT2_EEPKiS6_PKS3_S8_S4_PS3_21rocsparse_index_base_b.has_recursion, 0
	.set _ZN9rocsparseL19gebsrmvn_2xn_kernelILj128ELj13ELj16EdEEvi20rocsparse_direction_NS_24const_host_device_scalarIT2_EEPKiS6_PKS3_S8_S4_PS3_21rocsparse_index_base_b.has_indirect_call, 0
	.section	.AMDGPU.csdata,"",@progbits
; Kernel info:
; codeLenInByte = 3968
; TotalNumSgprs: 18
; NumVgprs: 67
; ScratchSize: 0
; MemoryBound: 0
; FloatMode: 240
; IeeeMode: 1
; LDSByteSize: 0 bytes/workgroup (compile time only)
; SGPRBlocks: 0
; VGPRBlocks: 8
; NumSGPRsForWavesPerEU: 18
; NumVGPRsForWavesPerEU: 67
; Occupancy: 12
; WaveLimiterHint : 1
; COMPUTE_PGM_RSRC2:SCRATCH_EN: 0
; COMPUTE_PGM_RSRC2:USER_SGPR: 6
; COMPUTE_PGM_RSRC2:TRAP_HANDLER: 0
; COMPUTE_PGM_RSRC2:TGID_X_EN: 1
; COMPUTE_PGM_RSRC2:TGID_Y_EN: 0
; COMPUTE_PGM_RSRC2:TGID_Z_EN: 0
; COMPUTE_PGM_RSRC2:TIDIG_COMP_CNT: 0
	.section	.text._ZN9rocsparseL19gebsrmvn_2xn_kernelILj128ELj13ELj32EdEEvi20rocsparse_direction_NS_24const_host_device_scalarIT2_EEPKiS6_PKS3_S8_S4_PS3_21rocsparse_index_base_b,"axG",@progbits,_ZN9rocsparseL19gebsrmvn_2xn_kernelILj128ELj13ELj32EdEEvi20rocsparse_direction_NS_24const_host_device_scalarIT2_EEPKiS6_PKS3_S8_S4_PS3_21rocsparse_index_base_b,comdat
	.globl	_ZN9rocsparseL19gebsrmvn_2xn_kernelILj128ELj13ELj32EdEEvi20rocsparse_direction_NS_24const_host_device_scalarIT2_EEPKiS6_PKS3_S8_S4_PS3_21rocsparse_index_base_b ; -- Begin function _ZN9rocsparseL19gebsrmvn_2xn_kernelILj128ELj13ELj32EdEEvi20rocsparse_direction_NS_24const_host_device_scalarIT2_EEPKiS6_PKS3_S8_S4_PS3_21rocsparse_index_base_b
	.p2align	8
	.type	_ZN9rocsparseL19gebsrmvn_2xn_kernelILj128ELj13ELj32EdEEvi20rocsparse_direction_NS_24const_host_device_scalarIT2_EEPKiS6_PKS3_S8_S4_PS3_21rocsparse_index_base_b,@function
_ZN9rocsparseL19gebsrmvn_2xn_kernelILj128ELj13ELj32EdEEvi20rocsparse_direction_NS_24const_host_device_scalarIT2_EEPKiS6_PKS3_S8_S4_PS3_21rocsparse_index_base_b: ; @_ZN9rocsparseL19gebsrmvn_2xn_kernelILj128ELj13ELj32EdEEvi20rocsparse_direction_NS_24const_host_device_scalarIT2_EEPKiS6_PKS3_S8_S4_PS3_21rocsparse_index_base_b
; %bb.0:
	s_clause 0x2
	s_load_dwordx2 s[2:3], s[4:5], 0x40
	s_load_dwordx2 s[8:9], s[4:5], 0x8
	;; [unrolled: 1-line block ×3, first 2 shown]
	s_waitcnt lgkmcnt(0)
	s_bitcmp1_b32 s3, 0
	v_mov_b32_e32 v1, s8
	v_mov_b32_e32 v2, s9
	s_cselect_b32 s3, -1, 0
	s_and_b32 vcc_lo, exec_lo, s3
	s_xor_b32 s3, s3, -1
	s_cbranch_vccnz .LBB134_2
; %bb.1:
	v_mov_b32_e32 v1, s8
	v_mov_b32_e32 v2, s9
	flat_load_dwordx2 v[1:2], v[1:2]
.LBB134_2:
	v_mov_b32_e32 v4, s1
	v_mov_b32_e32 v3, s0
	s_andn2_b32 vcc_lo, exec_lo, s3
	s_cbranch_vccnz .LBB134_4
; %bb.3:
	v_mov_b32_e32 v4, s1
	v_mov_b32_e32 v3, s0
	flat_load_dwordx2 v[3:4], v[3:4]
.LBB134_4:
	s_waitcnt vmcnt(0) lgkmcnt(0)
	v_cmp_neq_f64_e32 vcc_lo, 0, v[1:2]
	v_cmp_neq_f64_e64 s0, 1.0, v[3:4]
	s_or_b32 s0, vcc_lo, s0
	s_and_saveexec_b32 s1, s0
	s_cbranch_execz .LBB134_23
; %bb.5:
	s_load_dwordx2 s[0:1], s[4:5], 0x0
	v_lshrrev_b32_e32 v5, 5, v0
	v_lshl_or_b32 v5, s6, 2, v5
	s_waitcnt lgkmcnt(0)
	v_cmp_gt_i32_e32 vcc_lo, s0, v5
	s_and_b32 exec_lo, exec_lo, vcc_lo
	s_cbranch_execz .LBB134_23
; %bb.6:
	s_load_dwordx8 s[8:15], s[4:5], 0x10
	v_ashrrev_i32_e32 v6, 31, v5
	v_and_b32_e32 v0, 31, v0
	s_cmp_lg_u32 s1, 0
	v_lshlrev_b64 v[6:7], 2, v[5:6]
	s_waitcnt lgkmcnt(0)
	v_add_co_u32 v6, vcc_lo, s8, v6
	v_add_co_ci_u32_e64 v7, null, s9, v7, vcc_lo
	global_load_dwordx2 v[6:7], v[6:7], off
	s_waitcnt vmcnt(0)
	v_subrev_nc_u32_e32 v6, s2, v6
	v_subrev_nc_u32_e32 v18, s2, v7
	v_add_nc_u32_e32 v6, v6, v0
	v_cmp_lt_i32_e64 s0, v6, v18
	s_cbranch_scc0 .LBB134_12
; %bb.7:
	v_mov_b32_e32 v8, 0
	v_mov_b32_e32 v10, 0
	;; [unrolled: 1-line block ×4, first 2 shown]
	s_and_saveexec_b32 s1, s0
	s_cbranch_execz .LBB134_11
; %bb.8:
	v_mad_u64_u32 v[7:8], null, v6, 26, 24
	v_mov_b32_e32 v8, 0
	v_mov_b32_e32 v10, 0
	;; [unrolled: 1-line block ×6, first 2 shown]
	s_mov_b32 s3, 0
.LBB134_9:                              ; =>This Inner Loop Header: Depth=1
	v_ashrrev_i32_e32 v15, 31, v14
	v_subrev_nc_u32_e32 v12, 24, v7
	v_lshlrev_b64 v[15:16], 2, v[14:15]
	v_lshlrev_b64 v[19:20], 3, v[12:13]
	v_subrev_nc_u32_e32 v12, 22, v7
	v_add_nc_u32_e32 v14, 32, v14
	v_add_co_u32 v15, vcc_lo, s10, v15
	v_add_co_ci_u32_e64 v16, null, s11, v16, vcc_lo
	v_lshlrev_b64 v[21:22], 3, v[12:13]
	v_add_co_u32 v19, vcc_lo, s12, v19
	global_load_dword v15, v[15:16], off
	v_mov_b32_e32 v16, v13
	v_add_co_ci_u32_e64 v20, null, s13, v20, vcc_lo
	v_add_co_u32 v23, vcc_lo, s12, v21
	v_add_co_ci_u32_e64 v24, null, s13, v22, vcc_lo
	s_clause 0x1
	global_load_dwordx4 v[19:22], v[19:20], off
	global_load_dwordx4 v[23:26], v[23:24], off
	s_waitcnt vmcnt(2)
	v_subrev_nc_u32_e32 v12, s2, v15
	v_mul_lo_u32 v15, v12, 13
	v_lshlrev_b64 v[16:17], 3, v[15:16]
	v_add_nc_u32_e32 v12, 1, v15
	v_lshlrev_b64 v[27:28], 3, v[12:13]
	v_add_co_u32 v16, vcc_lo, s14, v16
	v_add_co_ci_u32_e64 v17, null, s15, v17, vcc_lo
	v_subrev_nc_u32_e32 v12, 20, v7
	v_add_co_u32 v27, vcc_lo, s14, v27
	global_load_dwordx2 v[16:17], v[16:17], off
	v_add_co_ci_u32_e64 v28, null, s15, v28, vcc_lo
	v_lshlrev_b64 v[29:30], 3, v[12:13]
	v_add_nc_u32_e32 v12, 2, v15
	global_load_dwordx2 v[47:48], v[27:28], off
	v_lshlrev_b64 v[31:32], 3, v[12:13]
	v_add_co_u32 v27, vcc_lo, s12, v29
	v_add_co_ci_u32_e64 v28, null, s13, v30, vcc_lo
	v_subrev_nc_u32_e32 v12, 18, v7
	v_add_co_u32 v31, vcc_lo, s14, v31
	v_add_co_ci_u32_e64 v32, null, s15, v32, vcc_lo
	global_load_dwordx4 v[27:30], v[27:28], off
	v_lshlrev_b64 v[33:34], 3, v[12:13]
	v_add_nc_u32_e32 v12, 3, v15
	global_load_dwordx2 v[49:50], v[31:32], off
	v_lshlrev_b64 v[35:36], 3, v[12:13]
	v_add_co_u32 v31, vcc_lo, s12, v33
	v_add_co_ci_u32_e64 v32, null, s13, v34, vcc_lo
	v_add_nc_u32_e32 v12, -16, v7
	v_add_co_u32 v35, vcc_lo, s14, v35
	v_add_co_ci_u32_e64 v36, null, s15, v36, vcc_lo
	global_load_dwordx4 v[31:34], v[31:32], off
	v_lshlrev_b64 v[37:38], 3, v[12:13]
	v_add_nc_u32_e32 v12, 4, v15
	global_load_dwordx2 v[51:52], v[35:36], off
	v_lshlrev_b64 v[39:40], 3, v[12:13]
	v_add_co_u32 v35, vcc_lo, s12, v37
	v_add_co_ci_u32_e64 v36, null, s13, v38, vcc_lo
	v_add_nc_u32_e32 v12, -14, v7
	v_add_co_u32 v39, vcc_lo, s14, v39
	v_add_co_ci_u32_e64 v40, null, s15, v40, vcc_lo
	global_load_dwordx4 v[35:38], v[35:36], off
	global_load_dwordx2 v[53:54], v[39:40], off
	v_lshlrev_b64 v[41:42], 3, v[12:13]
	v_add_nc_u32_e32 v12, 5, v15
	v_lshlrev_b64 v[39:40], 3, v[12:13]
	v_add_co_u32 v41, vcc_lo, s12, v41
	v_add_co_ci_u32_e64 v42, null, s13, v42, vcc_lo
	v_add_nc_u32_e32 v12, -12, v7
	v_add_co_u32 v45, vcc_lo, s14, v39
	v_add_co_ci_u32_e64 v46, null, s15, v40, vcc_lo
	global_load_dwordx4 v[39:42], v[41:42], off
	global_load_dwordx2 v[55:56], v[45:46], off
	v_lshlrev_b64 v[43:44], 3, v[12:13]
	v_add_nc_u32_e32 v12, 6, v15
	;; [unrolled: 10-line block ×3, first 2 shown]
	v_lshlrev_b64 v[61:62], 3, v[12:13]
	v_add_co_u32 v57, vcc_lo, s12, v57
	v_add_co_ci_u32_e64 v58, null, s13, v58, vcc_lo
	v_add_nc_u32_e32 v12, -8, v7
	v_add_co_u32 v61, vcc_lo, s14, v61
	v_add_co_ci_u32_e64 v62, null, s15, v62, vcc_lo
	s_waitcnt vmcnt(11)
	v_fma_f64 v[8:9], v[19:20], v[16:17], v[8:9]
	v_fma_f64 v[10:11], v[21:22], v[16:17], v[10:11]
	global_load_dwordx4 v[19:22], v[57:58], off
	global_load_dwordx2 v[57:58], v[61:62], off
	v_lshlrev_b64 v[16:17], 3, v[12:13]
	v_add_nc_u32_e32 v12, 8, v15
	v_lshlrev_b64 v[61:62], 3, v[12:13]
	v_add_co_u32 v16, vcc_lo, s12, v16
	v_add_co_ci_u32_e64 v17, null, s13, v17, vcc_lo
	v_add_nc_u32_e32 v12, -6, v7
	v_add_co_u32 v61, vcc_lo, s14, v61
	v_add_co_ci_u32_e64 v62, null, s15, v62, vcc_lo
	s_waitcnt vmcnt(12)
	v_fma_f64 v[8:9], v[23:24], v[47:48], v[8:9]
	v_fma_f64 v[10:11], v[25:26], v[47:48], v[10:11]
	global_load_dwordx4 v[23:26], v[16:17], off
	global_load_dwordx2 v[16:17], v[61:62], off
	v_lshlrev_b64 v[47:48], 3, v[12:13]
	v_add_nc_u32_e32 v12, 9, v15
	v_add_co_u32 v47, vcc_lo, s12, v47
	v_lshlrev_b64 v[61:62], 3, v[12:13]
	v_add_co_ci_u32_e64 v48, null, s13, v48, vcc_lo
	v_add_nc_u32_e32 v12, -4, v7
	s_waitcnt vmcnt(12)
	v_fma_f64 v[8:9], v[27:28], v[49:50], v[8:9]
	v_fma_f64 v[10:11], v[29:30], v[49:50], v[10:11]
	global_load_dwordx4 v[27:30], v[47:48], off
	v_add_co_u32 v47, vcc_lo, s14, v61
	v_add_co_ci_u32_e64 v48, null, s15, v62, vcc_lo
	v_lshlrev_b64 v[49:50], 3, v[12:13]
	v_add_nc_u32_e32 v12, 10, v15
	global_load_dwordx2 v[47:48], v[47:48], off
	v_lshlrev_b64 v[61:62], 3, v[12:13]
	v_add_nc_u32_e32 v12, -2, v7
	v_add_co_u32 v49, vcc_lo, s12, v49
	v_add_co_ci_u32_e64 v50, null, s13, v50, vcc_lo
	s_waitcnt vmcnt(12)
	v_fma_f64 v[63:64], v[31:32], v[51:52], v[8:9]
	v_lshlrev_b64 v[31:32], 3, v[12:13]
	v_fma_f64 v[9:10], v[33:34], v[51:52], v[10:11]
	v_add_co_u32 v51, vcc_lo, s14, v61
	v_add_co_ci_u32_e64 v52, null, s15, v62, vcc_lo
	v_add_co_u32 v61, vcc_lo, s12, v31
	v_add_co_ci_u32_e64 v62, null, s13, v32, vcc_lo
	global_load_dwordx4 v[31:34], v[49:50], off
	global_load_dwordx2 v[49:50], v[51:52], off
	v_add_nc_u32_e32 v12, 11, v15
	v_mov_b32_e32 v8, v13
	v_lshlrev_b64 v[11:12], 3, v[12:13]
	s_waitcnt vmcnt(12)
	v_fma_f64 v[51:52], v[35:36], v[53:54], v[63:64]
	v_add_co_u32 v11, vcc_lo, s14, v11
	v_add_co_ci_u32_e64 v12, null, s15, v12, vcc_lo
	v_fma_f64 v[53:54], v[37:38], v[53:54], v[9:10]
	global_load_dwordx4 v[35:38], v[61:62], off
	global_load_dwordx2 v[61:62], v[11:12], off
	v_add_nc_u32_e32 v12, 12, v15
	v_lshlrev_b64 v[8:9], 3, v[7:8]
	v_add_nc_u32_e32 v7, 0x340, v7
	v_lshlrev_b64 v[10:11], 3, v[12:13]
	v_add_co_u32 v8, vcc_lo, s12, v8
	v_add_co_ci_u32_e64 v9, null, s13, v9, vcc_lo
	v_add_co_u32 v63, vcc_lo, s14, v10
	v_add_co_ci_u32_e64 v64, null, s15, v11, vcc_lo
	global_load_dwordx4 v[8:11], v[8:9], off
	global_load_dwordx2 v[63:64], v[63:64], off
	s_waitcnt vmcnt(14)
	v_fma_f64 v[39:40], v[39:40], v[55:56], v[51:52]
	v_fma_f64 v[41:42], v[41:42], v[55:56], v[53:54]
	v_cmp_ge_i32_e32 vcc_lo, v14, v18
	s_or_b32 s3, vcc_lo, s3
	s_waitcnt vmcnt(12)
	v_fma_f64 v[39:40], v[43:44], v[59:60], v[39:40]
	v_fma_f64 v[41:42], v[45:46], v[59:60], v[41:42]
	s_waitcnt vmcnt(10)
	v_fma_f64 v[19:20], v[19:20], v[57:58], v[39:40]
	v_fma_f64 v[21:22], v[21:22], v[57:58], v[41:42]
	;; [unrolled: 3-line block ×7, first 2 shown]
	s_andn2_b32 exec_lo, exec_lo, s3
	s_cbranch_execnz .LBB134_9
; %bb.10:
	s_or_b32 exec_lo, exec_lo, s3
.LBB134_11:
	s_or_b32 exec_lo, exec_lo, s1
	s_cbranch_execz .LBB134_13
	s_branch .LBB134_18
.LBB134_12:
                                        ; implicit-def: $vgpr8_vgpr9
                                        ; implicit-def: $vgpr10_vgpr11
.LBB134_13:
	v_mov_b32_e32 v8, 0
	v_mov_b32_e32 v10, 0
	v_mov_b32_e32 v9, 0
	v_mov_b32_e32 v11, 0
	s_and_saveexec_b32 s1, s0
	s_cbranch_execz .LBB134_17
; %bb.14:
	v_mad_u64_u32 v[12:13], null, v6, 26, 25
	v_mov_b32_e32 v8, 0
	v_mov_b32_e32 v10, 0
	;; [unrolled: 1-line block ×5, first 2 shown]
	s_mov_b32 s0, 0
.LBB134_15:                             ; =>This Inner Loop Header: Depth=1
	v_ashrrev_i32_e32 v7, 31, v6
	v_subrev_nc_u32_e32 v14, 25, v12
	v_add_nc_u32_e32 v19, -12, v12
	v_mov_b32_e32 v20, v15
	v_mov_b32_e32 v13, v15
	v_lshlrev_b64 v[21:22], 2, v[6:7]
	v_lshlrev_b64 v[23:24], 3, v[14:15]
	v_mov_b32_e32 v17, v15
	v_lshlrev_b64 v[19:20], 3, v[19:20]
	v_lshlrev_b64 v[13:14], 3, v[12:13]
	v_add_nc_u32_e32 v6, 32, v6
	v_add_co_u32 v21, vcc_lo, s10, v21
	v_add_co_ci_u32_e64 v22, null, s11, v22, vcc_lo
	v_add_co_u32 v23, vcc_lo, s12, v23
	v_add_co_ci_u32_e64 v24, null, s13, v24, vcc_lo
	global_load_dword v7, v[21:22], off
	v_add_co_u32 v19, vcc_lo, s12, v19
	v_add_co_ci_u32_e64 v20, null, s13, v20, vcc_lo
	v_add_co_u32 v25, vcc_lo, s12, v13
	v_add_co_ci_u32_e64 v26, null, s13, v14, vcc_lo
	s_waitcnt vmcnt(0)
	v_subrev_nc_u32_e32 v7, s2, v7
	v_mul_lo_u32 v16, v7, 13
	v_add_nc_u32_e32 v14, 1, v16
	v_lshlrev_b64 v[21:22], 3, v[16:17]
	v_lshlrev_b64 v[27:28], 3, v[14:15]
	v_add_nc_u32_e32 v14, -11, v12
	v_add_co_u32 v21, vcc_lo, s14, v21
	v_add_co_ci_u32_e64 v22, null, s15, v22, vcc_lo
	v_lshlrev_b64 v[29:30], 3, v[14:15]
	v_subrev_nc_u32_e32 v14, 23, v12
	v_add_co_u32 v27, vcc_lo, s14, v27
	v_add_co_ci_u32_e64 v28, null, s15, v28, vcc_lo
	v_lshlrev_b64 v[31:32], 3, v[14:15]
	v_add_nc_u32_e32 v14, 2, v16
	v_add_co_u32 v29, vcc_lo, s12, v29
	v_add_co_ci_u32_e64 v30, null, s13, v30, vcc_lo
	v_lshlrev_b64 v[33:34], 3, v[14:15]
	v_add_nc_u32_e32 v14, -10, v12
	v_add_co_u32 v31, vcc_lo, s12, v31
	v_add_co_ci_u32_e64 v32, null, s13, v32, vcc_lo
	v_lshlrev_b64 v[35:36], 3, v[14:15]
	v_subrev_nc_u32_e32 v14, 22, v12
	v_add_co_u32 v33, vcc_lo, s14, v33
	v_add_co_ci_u32_e64 v34, null, s15, v34, vcc_lo
	v_lshlrev_b64 v[37:38], 3, v[14:15]
	v_add_nc_u32_e32 v14, 3, v16
	v_add_co_u32 v35, vcc_lo, s12, v35
	v_add_co_ci_u32_e64 v36, null, s13, v36, vcc_lo
	v_lshlrev_b64 v[39:40], 3, v[14:15]
	v_add_nc_u32_e32 v14, -9, v12
	v_add_co_u32 v37, vcc_lo, s12, v37
	v_add_co_ci_u32_e64 v38, null, s13, v38, vcc_lo
	v_lshlrev_b64 v[41:42], 3, v[14:15]
	v_subrev_nc_u32_e32 v14, 21, v12
	v_add_co_u32 v39, vcc_lo, s14, v39
	v_add_co_ci_u32_e64 v40, null, s15, v40, vcc_lo
	v_lshlrev_b64 v[43:44], 3, v[14:15]
	v_add_nc_u32_e32 v14, 4, v16
	v_add_co_u32 v41, vcc_lo, s12, v41
	v_add_co_ci_u32_e64 v42, null, s13, v42, vcc_lo
	v_lshlrev_b64 v[45:46], 3, v[14:15]
	v_add_nc_u32_e32 v14, -8, v12
	v_add_co_u32 v43, vcc_lo, s12, v43
	v_add_co_ci_u32_e64 v44, null, s13, v44, vcc_lo
	v_lshlrev_b64 v[47:48], 3, v[14:15]
	v_subrev_nc_u32_e32 v14, 20, v12
	v_add_co_u32 v45, vcc_lo, s14, v45
	v_add_co_ci_u32_e64 v46, null, s15, v46, vcc_lo
	v_lshlrev_b64 v[49:50], 3, v[14:15]
	v_add_nc_u32_e32 v14, 5, v16
	v_add_co_u32 v47, vcc_lo, s12, v47
	v_add_co_ci_u32_e64 v48, null, s13, v48, vcc_lo
	v_lshlrev_b64 v[51:52], 3, v[14:15]
	v_add_nc_u32_e32 v14, -7, v12
	v_add_co_u32 v49, vcc_lo, s12, v49
	v_add_co_ci_u32_e64 v50, null, s13, v50, vcc_lo
	v_lshlrev_b64 v[53:54], 3, v[14:15]
	v_subrev_nc_u32_e32 v14, 19, v12
	v_add_co_u32 v51, vcc_lo, s14, v51
	v_add_co_ci_u32_e64 v52, null, s15, v52, vcc_lo
	v_lshlrev_b64 v[55:56], 3, v[14:15]
	v_add_nc_u32_e32 v14, 6, v16
	v_add_co_u32 v53, vcc_lo, s12, v53
	v_add_co_ci_u32_e64 v54, null, s13, v54, vcc_lo
	v_lshlrev_b64 v[57:58], 3, v[14:15]
	v_add_nc_u32_e32 v14, -6, v12
	v_add_co_u32 v55, vcc_lo, s12, v55
	v_add_co_ci_u32_e64 v56, null, s13, v56, vcc_lo
	v_lshlrev_b64 v[59:60], 3, v[14:15]
	v_subrev_nc_u32_e32 v14, 18, v12
	v_add_co_u32 v57, vcc_lo, s14, v57
	v_add_co_ci_u32_e64 v58, null, s15, v58, vcc_lo
	v_lshlrev_b64 v[61:62], 3, v[14:15]
	v_add_nc_u32_e32 v14, 7, v16
	v_add_co_u32 v59, vcc_lo, s12, v59
	v_add_co_ci_u32_e64 v60, null, s13, v60, vcc_lo
	v_lshlrev_b64 v[13:14], 3, v[14:15]
	v_add_co_u32 v61, vcc_lo, s12, v61
	v_add_co_ci_u32_e64 v62, null, s13, v62, vcc_lo
	v_add_co_u32 v63, vcc_lo, s14, v13
	v_add_co_ci_u32_e64 v64, null, s15, v14, vcc_lo
	global_load_dwordx2 v[13:14], v[19:20], off
	global_load_dwordx2 v[65:66], v[21:22], off
	global_load_dwordx4 v[19:22], v[23:24], off
	global_load_dwordx2 v[23:24], v[27:28], off
	s_clause 0x1
	global_load_dwordx2 v[27:28], v[29:30], off
	global_load_dwordx2 v[29:30], v[31:32], off
	global_load_dwordx2 v[33:34], v[33:34], off
	s_clause 0x1
	global_load_dwordx2 v[35:36], v[35:36], off
	global_load_dwordx2 v[37:38], v[37:38], off
	;; [unrolled: 4-line block ×4, first 2 shown]
	s_waitcnt vmcnt(12)
	v_fma_f64 v[7:8], v[19:20], v[65:66], v[8:9]
	v_fma_f64 v[10:11], v[13:14], v[65:66], v[10:11]
	v_add_nc_u32_e32 v14, -5, v12
	v_lshlrev_b64 v[19:20], 3, v[14:15]
	v_subrev_nc_u32_e32 v14, 17, v12
	v_add_co_u32 v19, vcc_lo, s12, v19
	v_add_co_ci_u32_e64 v20, null, s13, v20, vcc_lo
	s_waitcnt vmcnt(11)
	v_fma_f64 v[7:8], v[21:22], v[23:24], v[7:8]
	v_lshlrev_b64 v[21:22], 3, v[14:15]
	v_add_nc_u32_e32 v14, 8, v16
	s_waitcnt vmcnt(10)
	v_fma_f64 v[9:10], v[27:28], v[23:24], v[10:11]
	v_lshlrev_b64 v[31:32], 3, v[14:15]
	v_add_nc_u32_e32 v14, -4, v12
	v_add_co_u32 v21, vcc_lo, s12, v21
	v_add_co_ci_u32_e64 v22, null, s13, v22, vcc_lo
	v_lshlrev_b64 v[23:24], 3, v[14:15]
	v_add_nc_u32_e32 v14, -16, v12
	v_add_co_u32 v27, vcc_lo, s14, v31
	v_add_co_ci_u32_e64 v28, null, s15, v32, vcc_lo
	v_lshlrev_b64 v[13:14], 3, v[14:15]
	v_add_co_u32 v23, vcc_lo, s12, v23
	v_add_co_ci_u32_e64 v24, null, s13, v24, vcc_lo
	s_waitcnt vmcnt(8)
	v_fma_f64 v[7:8], v[29:30], v[33:34], v[7:8]
	v_add_co_u32 v31, vcc_lo, s12, v13
	v_add_co_ci_u32_e64 v32, null, s13, v14, vcc_lo
	v_add_nc_u32_e32 v14, 9, v16
	s_waitcnt vmcnt(7)
	v_fma_f64 v[9:10], v[35:36], v[33:34], v[9:10]
	v_lshlrev_b64 v[29:30], 3, v[14:15]
	v_add_nc_u32_e32 v14, -3, v12
	v_lshlrev_b64 v[33:34], 3, v[14:15]
	v_add_nc_u32_e32 v14, -15, v12
	v_add_co_u32 v29, vcc_lo, s14, v29
	v_add_co_ci_u32_e64 v30, null, s15, v30, vcc_lo
	v_lshlrev_b64 v[13:14], 3, v[14:15]
	v_add_co_u32 v33, vcc_lo, s12, v33
	v_add_co_ci_u32_e64 v34, null, s13, v34, vcc_lo
	s_waitcnt vmcnt(5)
	v_fma_f64 v[7:8], v[37:38], v[39:40], v[7:8]
	v_add_co_u32 v35, vcc_lo, s12, v13
	v_add_co_ci_u32_e64 v36, null, s13, v14, vcc_lo
	v_add_nc_u32_e32 v14, 10, v16
	s_waitcnt vmcnt(4)
	v_fma_f64 v[9:10], v[41:42], v[39:40], v[9:10]
	v_lshlrev_b64 v[37:38], 3, v[14:15]
	v_add_nc_u32_e32 v14, -2, v12
	;; [unrolled: 16-line block ×3, first 2 shown]
	v_lshlrev_b64 v[45:46], 3, v[14:15]
	v_add_nc_u32_e32 v14, -13, v12
	v_add_co_u32 v43, vcc_lo, s14, v43
	v_add_co_ci_u32_e64 v44, null, s15, v44, vcc_lo
	v_lshlrev_b64 v[47:48], 3, v[14:15]
	v_add_nc_u32_e32 v14, 12, v16
	v_add_co_u32 v16, vcc_lo, s12, v45
	v_add_co_ci_u32_e64 v17, null, s13, v46, vcc_lo
	v_lshlrev_b64 v[13:14], 3, v[14:15]
	v_add_co_u32 v45, vcc_lo, s12, v47
	v_add_co_ci_u32_e64 v46, null, s13, v48, vcc_lo
	v_add_nc_u32_e32 v12, 0x340, v12
	v_add_co_u32 v13, vcc_lo, s14, v13
	v_add_co_ci_u32_e64 v14, null, s15, v14, vcc_lo
	global_load_dwordx2 v[47:48], v[51:52], off
	s_clause 0x1
	global_load_dwordx2 v[51:52], v[53:54], off
	global_load_dwordx2 v[53:54], v[55:56], off
	global_load_dwordx2 v[55:56], v[57:58], off
	s_clause 0x1
	global_load_dwordx2 v[57:58], v[59:60], off
	global_load_dwordx2 v[59:60], v[61:62], off
	;; [unrolled: 4-line block ×7, first 2 shown]
	global_load_dwordx2 v[45:46], v[45:46], off
	global_load_dwordx2 v[13:14], v[13:14], off
	v_cmp_ge_i32_e32 vcc_lo, v6, v18
	s_or_b32 s0, vcc_lo, s0
	s_waitcnt vmcnt(22)
	v_fma_f64 v[7:8], v[49:50], v[47:48], v[7:8]
	s_waitcnt vmcnt(21)
	v_fma_f64 v[9:10], v[51:52], v[47:48], v[9:10]
	;; [unrolled: 2-line block ×15, first 2 shown]
	v_fma_f64 v[10:11], v[25:26], v[13:14], v[10:11]
	s_andn2_b32 exec_lo, exec_lo, s0
	s_cbranch_execnz .LBB134_15
; %bb.16:
	s_or_b32 exec_lo, exec_lo, s0
.LBB134_17:
	s_or_b32 exec_lo, exec_lo, s1
.LBB134_18:
	v_mbcnt_lo_u32_b32 v14, -1, 0
	v_xor_b32_e32 v6, 16, v14
	v_cmp_gt_i32_e32 vcc_lo, 32, v6
	v_cndmask_b32_e32 v6, v14, v6, vcc_lo
	v_lshlrev_b32_e32 v13, 2, v6
	ds_bpermute_b32 v6, v13, v8
	ds_bpermute_b32 v7, v13, v9
	;; [unrolled: 1-line block ×4, first 2 shown]
	s_waitcnt lgkmcnt(2)
	v_add_f64 v[6:7], v[8:9], v[6:7]
	s_waitcnt lgkmcnt(0)
	v_add_f64 v[8:9], v[10:11], v[12:13]
	v_xor_b32_e32 v10, 8, v14
	v_cmp_gt_i32_e32 vcc_lo, 32, v10
	v_cndmask_b32_e32 v10, v14, v10, vcc_lo
	v_lshlrev_b32_e32 v13, 2, v10
	ds_bpermute_b32 v10, v13, v6
	ds_bpermute_b32 v11, v13, v7
	;; [unrolled: 1-line block ×4, first 2 shown]
	s_waitcnt lgkmcnt(2)
	v_add_f64 v[6:7], v[6:7], v[10:11]
	v_xor_b32_e32 v10, 4, v14
	s_waitcnt lgkmcnt(0)
	v_add_f64 v[8:9], v[8:9], v[12:13]
	v_cmp_gt_i32_e32 vcc_lo, 32, v10
	v_cndmask_b32_e32 v10, v14, v10, vcc_lo
	v_lshlrev_b32_e32 v13, 2, v10
	ds_bpermute_b32 v10, v13, v6
	ds_bpermute_b32 v11, v13, v7
	ds_bpermute_b32 v12, v13, v8
	ds_bpermute_b32 v13, v13, v9
	s_waitcnt lgkmcnt(2)
	v_add_f64 v[6:7], v[6:7], v[10:11]
	v_xor_b32_e32 v10, 2, v14
	s_waitcnt lgkmcnt(0)
	v_add_f64 v[8:9], v[8:9], v[12:13]
	v_cmp_gt_i32_e32 vcc_lo, 32, v10
	v_cndmask_b32_e32 v10, v14, v10, vcc_lo
	v_lshlrev_b32_e32 v13, 2, v10
	ds_bpermute_b32 v10, v13, v6
	ds_bpermute_b32 v11, v13, v7
	;; [unrolled: 1-line block ×4, first 2 shown]
	s_waitcnt lgkmcnt(2)
	v_add_f64 v[6:7], v[6:7], v[10:11]
	s_waitcnt lgkmcnt(0)
	v_add_f64 v[10:11], v[8:9], v[12:13]
	v_xor_b32_e32 v8, 1, v14
	v_cmp_gt_i32_e32 vcc_lo, 32, v8
	v_cndmask_b32_e32 v8, v14, v8, vcc_lo
	v_cmp_eq_u32_e32 vcc_lo, 31, v0
	v_lshlrev_b32_e32 v13, 2, v8
	ds_bpermute_b32 v8, v13, v6
	ds_bpermute_b32 v9, v13, v7
	;; [unrolled: 1-line block ×4, first 2 shown]
	s_and_b32 exec_lo, exec_lo, vcc_lo
	s_cbranch_execz .LBB134_23
; %bb.19:
	s_waitcnt lgkmcnt(2)
	v_add_f64 v[8:9], v[6:7], v[8:9]
	s_waitcnt lgkmcnt(0)
	v_add_f64 v[6:7], v[10:11], v[12:13]
	s_load_dwordx2 s[0:1], s[4:5], 0x38
	s_mov_b32 s2, exec_lo
	v_cmpx_eq_f64_e32 0, v[3:4]
	s_xor_b32 s2, exec_lo, s2
	s_cbranch_execz .LBB134_21
; %bb.20:
	v_lshlrev_b32_e32 v0, 1, v5
	v_mul_f64 v[3:4], v[1:2], v[8:9]
	v_mul_f64 v[5:6], v[1:2], v[6:7]
                                        ; implicit-def: $vgpr8_vgpr9
	v_ashrrev_i32_e32 v1, 31, v0
	v_lshlrev_b64 v[0:1], 3, v[0:1]
	s_waitcnt lgkmcnt(0)
	v_add_co_u32 v0, vcc_lo, s0, v0
	v_add_co_ci_u32_e64 v1, null, s1, v1, vcc_lo
	global_store_dwordx4 v[0:1], v[3:6], off
                                        ; implicit-def: $vgpr5
                                        ; implicit-def: $vgpr1_vgpr2
                                        ; implicit-def: $vgpr3_vgpr4
                                        ; implicit-def: $vgpr6_vgpr7
.LBB134_21:
	s_andn2_saveexec_b32 s2, s2
	s_cbranch_execz .LBB134_23
; %bb.22:
	v_lshlrev_b32_e32 v10, 1, v5
	v_mul_f64 v[8:9], v[1:2], v[8:9]
	v_mul_f64 v[5:6], v[1:2], v[6:7]
	v_ashrrev_i32_e32 v11, 31, v10
	v_lshlrev_b64 v[10:11], 3, v[10:11]
	s_waitcnt lgkmcnt(0)
	v_add_co_u32 v14, vcc_lo, s0, v10
	v_add_co_ci_u32_e64 v15, null, s1, v11, vcc_lo
	global_load_dwordx4 v[10:13], v[14:15], off
	s_waitcnt vmcnt(0)
	v_fma_f64 v[0:1], v[3:4], v[10:11], v[8:9]
	v_fma_f64 v[2:3], v[3:4], v[12:13], v[5:6]
	global_store_dwordx4 v[14:15], v[0:3], off
.LBB134_23:
	s_endpgm
	.section	.rodata,"a",@progbits
	.p2align	6, 0x0
	.amdhsa_kernel _ZN9rocsparseL19gebsrmvn_2xn_kernelILj128ELj13ELj32EdEEvi20rocsparse_direction_NS_24const_host_device_scalarIT2_EEPKiS6_PKS3_S8_S4_PS3_21rocsparse_index_base_b
		.amdhsa_group_segment_fixed_size 0
		.amdhsa_private_segment_fixed_size 0
		.amdhsa_kernarg_size 72
		.amdhsa_user_sgpr_count 6
		.amdhsa_user_sgpr_private_segment_buffer 1
		.amdhsa_user_sgpr_dispatch_ptr 0
		.amdhsa_user_sgpr_queue_ptr 0
		.amdhsa_user_sgpr_kernarg_segment_ptr 1
		.amdhsa_user_sgpr_dispatch_id 0
		.amdhsa_user_sgpr_flat_scratch_init 0
		.amdhsa_user_sgpr_private_segment_size 0
		.amdhsa_wavefront_size32 1
		.amdhsa_uses_dynamic_stack 0
		.amdhsa_system_sgpr_private_segment_wavefront_offset 0
		.amdhsa_system_sgpr_workgroup_id_x 1
		.amdhsa_system_sgpr_workgroup_id_y 0
		.amdhsa_system_sgpr_workgroup_id_z 0
		.amdhsa_system_sgpr_workgroup_info 0
		.amdhsa_system_vgpr_workitem_id 0
		.amdhsa_next_free_vgpr 67
		.amdhsa_next_free_sgpr 16
		.amdhsa_reserve_vcc 1
		.amdhsa_reserve_flat_scratch 0
		.amdhsa_float_round_mode_32 0
		.amdhsa_float_round_mode_16_64 0
		.amdhsa_float_denorm_mode_32 3
		.amdhsa_float_denorm_mode_16_64 3
		.amdhsa_dx10_clamp 1
		.amdhsa_ieee_mode 1
		.amdhsa_fp16_overflow 0
		.amdhsa_workgroup_processor_mode 1
		.amdhsa_memory_ordered 1
		.amdhsa_forward_progress 1
		.amdhsa_shared_vgpr_count 0
		.amdhsa_exception_fp_ieee_invalid_op 0
		.amdhsa_exception_fp_denorm_src 0
		.amdhsa_exception_fp_ieee_div_zero 0
		.amdhsa_exception_fp_ieee_overflow 0
		.amdhsa_exception_fp_ieee_underflow 0
		.amdhsa_exception_fp_ieee_inexact 0
		.amdhsa_exception_int_div_zero 0
	.end_amdhsa_kernel
	.section	.text._ZN9rocsparseL19gebsrmvn_2xn_kernelILj128ELj13ELj32EdEEvi20rocsparse_direction_NS_24const_host_device_scalarIT2_EEPKiS6_PKS3_S8_S4_PS3_21rocsparse_index_base_b,"axG",@progbits,_ZN9rocsparseL19gebsrmvn_2xn_kernelILj128ELj13ELj32EdEEvi20rocsparse_direction_NS_24const_host_device_scalarIT2_EEPKiS6_PKS3_S8_S4_PS3_21rocsparse_index_base_b,comdat
.Lfunc_end134:
	.size	_ZN9rocsparseL19gebsrmvn_2xn_kernelILj128ELj13ELj32EdEEvi20rocsparse_direction_NS_24const_host_device_scalarIT2_EEPKiS6_PKS3_S8_S4_PS3_21rocsparse_index_base_b, .Lfunc_end134-_ZN9rocsparseL19gebsrmvn_2xn_kernelILj128ELj13ELj32EdEEvi20rocsparse_direction_NS_24const_host_device_scalarIT2_EEPKiS6_PKS3_S8_S4_PS3_21rocsparse_index_base_b
                                        ; -- End function
	.set _ZN9rocsparseL19gebsrmvn_2xn_kernelILj128ELj13ELj32EdEEvi20rocsparse_direction_NS_24const_host_device_scalarIT2_EEPKiS6_PKS3_S8_S4_PS3_21rocsparse_index_base_b.num_vgpr, 67
	.set _ZN9rocsparseL19gebsrmvn_2xn_kernelILj128ELj13ELj32EdEEvi20rocsparse_direction_NS_24const_host_device_scalarIT2_EEPKiS6_PKS3_S8_S4_PS3_21rocsparse_index_base_b.num_agpr, 0
	.set _ZN9rocsparseL19gebsrmvn_2xn_kernelILj128ELj13ELj32EdEEvi20rocsparse_direction_NS_24const_host_device_scalarIT2_EEPKiS6_PKS3_S8_S4_PS3_21rocsparse_index_base_b.numbered_sgpr, 16
	.set _ZN9rocsparseL19gebsrmvn_2xn_kernelILj128ELj13ELj32EdEEvi20rocsparse_direction_NS_24const_host_device_scalarIT2_EEPKiS6_PKS3_S8_S4_PS3_21rocsparse_index_base_b.num_named_barrier, 0
	.set _ZN9rocsparseL19gebsrmvn_2xn_kernelILj128ELj13ELj32EdEEvi20rocsparse_direction_NS_24const_host_device_scalarIT2_EEPKiS6_PKS3_S8_S4_PS3_21rocsparse_index_base_b.private_seg_size, 0
	.set _ZN9rocsparseL19gebsrmvn_2xn_kernelILj128ELj13ELj32EdEEvi20rocsparse_direction_NS_24const_host_device_scalarIT2_EEPKiS6_PKS3_S8_S4_PS3_21rocsparse_index_base_b.uses_vcc, 1
	.set _ZN9rocsparseL19gebsrmvn_2xn_kernelILj128ELj13ELj32EdEEvi20rocsparse_direction_NS_24const_host_device_scalarIT2_EEPKiS6_PKS3_S8_S4_PS3_21rocsparse_index_base_b.uses_flat_scratch, 0
	.set _ZN9rocsparseL19gebsrmvn_2xn_kernelILj128ELj13ELj32EdEEvi20rocsparse_direction_NS_24const_host_device_scalarIT2_EEPKiS6_PKS3_S8_S4_PS3_21rocsparse_index_base_b.has_dyn_sized_stack, 0
	.set _ZN9rocsparseL19gebsrmvn_2xn_kernelILj128ELj13ELj32EdEEvi20rocsparse_direction_NS_24const_host_device_scalarIT2_EEPKiS6_PKS3_S8_S4_PS3_21rocsparse_index_base_b.has_recursion, 0
	.set _ZN9rocsparseL19gebsrmvn_2xn_kernelILj128ELj13ELj32EdEEvi20rocsparse_direction_NS_24const_host_device_scalarIT2_EEPKiS6_PKS3_S8_S4_PS3_21rocsparse_index_base_b.has_indirect_call, 0
	.section	.AMDGPU.csdata,"",@progbits
; Kernel info:
; codeLenInByte = 4040
; TotalNumSgprs: 18
; NumVgprs: 67
; ScratchSize: 0
; MemoryBound: 0
; FloatMode: 240
; IeeeMode: 1
; LDSByteSize: 0 bytes/workgroup (compile time only)
; SGPRBlocks: 0
; VGPRBlocks: 8
; NumSGPRsForWavesPerEU: 18
; NumVGPRsForWavesPerEU: 67
; Occupancy: 12
; WaveLimiterHint : 1
; COMPUTE_PGM_RSRC2:SCRATCH_EN: 0
; COMPUTE_PGM_RSRC2:USER_SGPR: 6
; COMPUTE_PGM_RSRC2:TRAP_HANDLER: 0
; COMPUTE_PGM_RSRC2:TGID_X_EN: 1
; COMPUTE_PGM_RSRC2:TGID_Y_EN: 0
; COMPUTE_PGM_RSRC2:TGID_Z_EN: 0
; COMPUTE_PGM_RSRC2:TIDIG_COMP_CNT: 0
	.section	.text._ZN9rocsparseL19gebsrmvn_2xn_kernelILj128ELj13ELj64EdEEvi20rocsparse_direction_NS_24const_host_device_scalarIT2_EEPKiS6_PKS3_S8_S4_PS3_21rocsparse_index_base_b,"axG",@progbits,_ZN9rocsparseL19gebsrmvn_2xn_kernelILj128ELj13ELj64EdEEvi20rocsparse_direction_NS_24const_host_device_scalarIT2_EEPKiS6_PKS3_S8_S4_PS3_21rocsparse_index_base_b,comdat
	.globl	_ZN9rocsparseL19gebsrmvn_2xn_kernelILj128ELj13ELj64EdEEvi20rocsparse_direction_NS_24const_host_device_scalarIT2_EEPKiS6_PKS3_S8_S4_PS3_21rocsparse_index_base_b ; -- Begin function _ZN9rocsparseL19gebsrmvn_2xn_kernelILj128ELj13ELj64EdEEvi20rocsparse_direction_NS_24const_host_device_scalarIT2_EEPKiS6_PKS3_S8_S4_PS3_21rocsparse_index_base_b
	.p2align	8
	.type	_ZN9rocsparseL19gebsrmvn_2xn_kernelILj128ELj13ELj64EdEEvi20rocsparse_direction_NS_24const_host_device_scalarIT2_EEPKiS6_PKS3_S8_S4_PS3_21rocsparse_index_base_b,@function
_ZN9rocsparseL19gebsrmvn_2xn_kernelILj128ELj13ELj64EdEEvi20rocsparse_direction_NS_24const_host_device_scalarIT2_EEPKiS6_PKS3_S8_S4_PS3_21rocsparse_index_base_b: ; @_ZN9rocsparseL19gebsrmvn_2xn_kernelILj128ELj13ELj64EdEEvi20rocsparse_direction_NS_24const_host_device_scalarIT2_EEPKiS6_PKS3_S8_S4_PS3_21rocsparse_index_base_b
; %bb.0:
	s_clause 0x2
	s_load_dwordx2 s[2:3], s[4:5], 0x40
	s_load_dwordx2 s[8:9], s[4:5], 0x8
	;; [unrolled: 1-line block ×3, first 2 shown]
	s_waitcnt lgkmcnt(0)
	s_bitcmp1_b32 s3, 0
	v_mov_b32_e32 v1, s8
	v_mov_b32_e32 v2, s9
	s_cselect_b32 s3, -1, 0
	s_and_b32 vcc_lo, exec_lo, s3
	s_xor_b32 s3, s3, -1
	s_cbranch_vccnz .LBB135_2
; %bb.1:
	v_mov_b32_e32 v1, s8
	v_mov_b32_e32 v2, s9
	flat_load_dwordx2 v[1:2], v[1:2]
.LBB135_2:
	v_mov_b32_e32 v4, s1
	v_mov_b32_e32 v3, s0
	s_andn2_b32 vcc_lo, exec_lo, s3
	s_cbranch_vccnz .LBB135_4
; %bb.3:
	v_mov_b32_e32 v4, s1
	v_mov_b32_e32 v3, s0
	flat_load_dwordx2 v[3:4], v[3:4]
.LBB135_4:
	s_waitcnt vmcnt(0) lgkmcnt(0)
	v_cmp_neq_f64_e32 vcc_lo, 0, v[1:2]
	v_cmp_neq_f64_e64 s0, 1.0, v[3:4]
	s_or_b32 s0, vcc_lo, s0
	s_and_saveexec_b32 s1, s0
	s_cbranch_execz .LBB135_23
; %bb.5:
	s_load_dwordx2 s[0:1], s[4:5], 0x0
	v_lshrrev_b32_e32 v5, 6, v0
	v_lshl_or_b32 v5, s6, 1, v5
	s_waitcnt lgkmcnt(0)
	v_cmp_gt_i32_e32 vcc_lo, s0, v5
	s_and_b32 exec_lo, exec_lo, vcc_lo
	s_cbranch_execz .LBB135_23
; %bb.6:
	s_load_dwordx8 s[8:15], s[4:5], 0x10
	v_ashrrev_i32_e32 v6, 31, v5
	v_and_b32_e32 v0, 63, v0
	s_cmp_lg_u32 s1, 0
	v_lshlrev_b64 v[6:7], 2, v[5:6]
	s_waitcnt lgkmcnt(0)
	v_add_co_u32 v6, vcc_lo, s8, v6
	v_add_co_ci_u32_e64 v7, null, s9, v7, vcc_lo
	global_load_dwordx2 v[6:7], v[6:7], off
	s_waitcnt vmcnt(0)
	v_subrev_nc_u32_e32 v6, s2, v6
	v_subrev_nc_u32_e32 v18, s2, v7
	v_add_nc_u32_e32 v6, v6, v0
	v_cmp_lt_i32_e64 s0, v6, v18
	s_cbranch_scc0 .LBB135_12
; %bb.7:
	v_mov_b32_e32 v8, 0
	v_mov_b32_e32 v10, 0
	;; [unrolled: 1-line block ×4, first 2 shown]
	s_and_saveexec_b32 s1, s0
	s_cbranch_execz .LBB135_11
; %bb.8:
	v_mad_u64_u32 v[7:8], null, v6, 26, 24
	v_mov_b32_e32 v8, 0
	v_mov_b32_e32 v10, 0
	;; [unrolled: 1-line block ×6, first 2 shown]
	s_mov_b32 s3, 0
.LBB135_9:                              ; =>This Inner Loop Header: Depth=1
	v_ashrrev_i32_e32 v15, 31, v14
	v_subrev_nc_u32_e32 v12, 24, v7
	v_lshlrev_b64 v[15:16], 2, v[14:15]
	v_lshlrev_b64 v[19:20], 3, v[12:13]
	v_subrev_nc_u32_e32 v12, 22, v7
	v_add_nc_u32_e32 v14, 64, v14
	v_add_co_u32 v15, vcc_lo, s10, v15
	v_add_co_ci_u32_e64 v16, null, s11, v16, vcc_lo
	v_lshlrev_b64 v[21:22], 3, v[12:13]
	v_add_co_u32 v19, vcc_lo, s12, v19
	global_load_dword v15, v[15:16], off
	v_mov_b32_e32 v16, v13
	v_add_co_ci_u32_e64 v20, null, s13, v20, vcc_lo
	v_add_co_u32 v23, vcc_lo, s12, v21
	v_add_co_ci_u32_e64 v24, null, s13, v22, vcc_lo
	s_clause 0x1
	global_load_dwordx4 v[19:22], v[19:20], off
	global_load_dwordx4 v[23:26], v[23:24], off
	s_waitcnt vmcnt(2)
	v_subrev_nc_u32_e32 v12, s2, v15
	v_mul_lo_u32 v15, v12, 13
	v_lshlrev_b64 v[16:17], 3, v[15:16]
	v_add_nc_u32_e32 v12, 1, v15
	v_lshlrev_b64 v[27:28], 3, v[12:13]
	v_add_co_u32 v16, vcc_lo, s14, v16
	v_add_co_ci_u32_e64 v17, null, s15, v17, vcc_lo
	v_subrev_nc_u32_e32 v12, 20, v7
	v_add_co_u32 v27, vcc_lo, s14, v27
	global_load_dwordx2 v[16:17], v[16:17], off
	v_add_co_ci_u32_e64 v28, null, s15, v28, vcc_lo
	v_lshlrev_b64 v[29:30], 3, v[12:13]
	v_add_nc_u32_e32 v12, 2, v15
	global_load_dwordx2 v[47:48], v[27:28], off
	v_lshlrev_b64 v[31:32], 3, v[12:13]
	v_add_co_u32 v27, vcc_lo, s12, v29
	v_add_co_ci_u32_e64 v28, null, s13, v30, vcc_lo
	v_subrev_nc_u32_e32 v12, 18, v7
	v_add_co_u32 v31, vcc_lo, s14, v31
	v_add_co_ci_u32_e64 v32, null, s15, v32, vcc_lo
	global_load_dwordx4 v[27:30], v[27:28], off
	v_lshlrev_b64 v[33:34], 3, v[12:13]
	v_add_nc_u32_e32 v12, 3, v15
	global_load_dwordx2 v[49:50], v[31:32], off
	v_lshlrev_b64 v[35:36], 3, v[12:13]
	v_add_co_u32 v31, vcc_lo, s12, v33
	v_add_co_ci_u32_e64 v32, null, s13, v34, vcc_lo
	v_add_nc_u32_e32 v12, -16, v7
	v_add_co_u32 v35, vcc_lo, s14, v35
	v_add_co_ci_u32_e64 v36, null, s15, v36, vcc_lo
	global_load_dwordx4 v[31:34], v[31:32], off
	v_lshlrev_b64 v[37:38], 3, v[12:13]
	v_add_nc_u32_e32 v12, 4, v15
	global_load_dwordx2 v[51:52], v[35:36], off
	v_lshlrev_b64 v[39:40], 3, v[12:13]
	v_add_co_u32 v35, vcc_lo, s12, v37
	v_add_co_ci_u32_e64 v36, null, s13, v38, vcc_lo
	v_add_nc_u32_e32 v12, -14, v7
	v_add_co_u32 v39, vcc_lo, s14, v39
	v_add_co_ci_u32_e64 v40, null, s15, v40, vcc_lo
	global_load_dwordx4 v[35:38], v[35:36], off
	global_load_dwordx2 v[53:54], v[39:40], off
	v_lshlrev_b64 v[41:42], 3, v[12:13]
	v_add_nc_u32_e32 v12, 5, v15
	v_lshlrev_b64 v[39:40], 3, v[12:13]
	v_add_co_u32 v41, vcc_lo, s12, v41
	v_add_co_ci_u32_e64 v42, null, s13, v42, vcc_lo
	v_add_nc_u32_e32 v12, -12, v7
	v_add_co_u32 v45, vcc_lo, s14, v39
	v_add_co_ci_u32_e64 v46, null, s15, v40, vcc_lo
	global_load_dwordx4 v[39:42], v[41:42], off
	global_load_dwordx2 v[55:56], v[45:46], off
	v_lshlrev_b64 v[43:44], 3, v[12:13]
	v_add_nc_u32_e32 v12, 6, v15
	;; [unrolled: 10-line block ×3, first 2 shown]
	v_lshlrev_b64 v[61:62], 3, v[12:13]
	v_add_co_u32 v57, vcc_lo, s12, v57
	v_add_co_ci_u32_e64 v58, null, s13, v58, vcc_lo
	v_add_nc_u32_e32 v12, -8, v7
	v_add_co_u32 v61, vcc_lo, s14, v61
	v_add_co_ci_u32_e64 v62, null, s15, v62, vcc_lo
	s_waitcnt vmcnt(11)
	v_fma_f64 v[8:9], v[19:20], v[16:17], v[8:9]
	v_fma_f64 v[10:11], v[21:22], v[16:17], v[10:11]
	global_load_dwordx4 v[19:22], v[57:58], off
	global_load_dwordx2 v[57:58], v[61:62], off
	v_lshlrev_b64 v[16:17], 3, v[12:13]
	v_add_nc_u32_e32 v12, 8, v15
	v_lshlrev_b64 v[61:62], 3, v[12:13]
	v_add_co_u32 v16, vcc_lo, s12, v16
	v_add_co_ci_u32_e64 v17, null, s13, v17, vcc_lo
	v_add_nc_u32_e32 v12, -6, v7
	v_add_co_u32 v61, vcc_lo, s14, v61
	v_add_co_ci_u32_e64 v62, null, s15, v62, vcc_lo
	s_waitcnt vmcnt(12)
	v_fma_f64 v[8:9], v[23:24], v[47:48], v[8:9]
	v_fma_f64 v[10:11], v[25:26], v[47:48], v[10:11]
	global_load_dwordx4 v[23:26], v[16:17], off
	global_load_dwordx2 v[16:17], v[61:62], off
	v_lshlrev_b64 v[47:48], 3, v[12:13]
	v_add_nc_u32_e32 v12, 9, v15
	v_add_co_u32 v47, vcc_lo, s12, v47
	v_lshlrev_b64 v[61:62], 3, v[12:13]
	v_add_co_ci_u32_e64 v48, null, s13, v48, vcc_lo
	v_add_nc_u32_e32 v12, -4, v7
	s_waitcnt vmcnt(12)
	v_fma_f64 v[8:9], v[27:28], v[49:50], v[8:9]
	v_fma_f64 v[10:11], v[29:30], v[49:50], v[10:11]
	global_load_dwordx4 v[27:30], v[47:48], off
	v_add_co_u32 v47, vcc_lo, s14, v61
	v_add_co_ci_u32_e64 v48, null, s15, v62, vcc_lo
	v_lshlrev_b64 v[49:50], 3, v[12:13]
	v_add_nc_u32_e32 v12, 10, v15
	global_load_dwordx2 v[47:48], v[47:48], off
	v_lshlrev_b64 v[61:62], 3, v[12:13]
	v_add_nc_u32_e32 v12, -2, v7
	v_add_co_u32 v49, vcc_lo, s12, v49
	v_add_co_ci_u32_e64 v50, null, s13, v50, vcc_lo
	s_waitcnt vmcnt(12)
	v_fma_f64 v[63:64], v[31:32], v[51:52], v[8:9]
	v_lshlrev_b64 v[31:32], 3, v[12:13]
	v_fma_f64 v[9:10], v[33:34], v[51:52], v[10:11]
	v_add_co_u32 v51, vcc_lo, s14, v61
	v_add_co_ci_u32_e64 v52, null, s15, v62, vcc_lo
	v_add_co_u32 v61, vcc_lo, s12, v31
	v_add_co_ci_u32_e64 v62, null, s13, v32, vcc_lo
	global_load_dwordx4 v[31:34], v[49:50], off
	global_load_dwordx2 v[49:50], v[51:52], off
	v_add_nc_u32_e32 v12, 11, v15
	v_mov_b32_e32 v8, v13
	v_lshlrev_b64 v[11:12], 3, v[12:13]
	s_waitcnt vmcnt(12)
	v_fma_f64 v[51:52], v[35:36], v[53:54], v[63:64]
	v_add_co_u32 v11, vcc_lo, s14, v11
	v_add_co_ci_u32_e64 v12, null, s15, v12, vcc_lo
	v_fma_f64 v[53:54], v[37:38], v[53:54], v[9:10]
	global_load_dwordx4 v[35:38], v[61:62], off
	global_load_dwordx2 v[61:62], v[11:12], off
	v_add_nc_u32_e32 v12, 12, v15
	v_lshlrev_b64 v[8:9], 3, v[7:8]
	v_add_nc_u32_e32 v7, 0x680, v7
	v_lshlrev_b64 v[10:11], 3, v[12:13]
	v_add_co_u32 v8, vcc_lo, s12, v8
	v_add_co_ci_u32_e64 v9, null, s13, v9, vcc_lo
	v_add_co_u32 v63, vcc_lo, s14, v10
	v_add_co_ci_u32_e64 v64, null, s15, v11, vcc_lo
	global_load_dwordx4 v[8:11], v[8:9], off
	global_load_dwordx2 v[63:64], v[63:64], off
	s_waitcnt vmcnt(14)
	v_fma_f64 v[39:40], v[39:40], v[55:56], v[51:52]
	v_fma_f64 v[41:42], v[41:42], v[55:56], v[53:54]
	v_cmp_ge_i32_e32 vcc_lo, v14, v18
	s_or_b32 s3, vcc_lo, s3
	s_waitcnt vmcnt(12)
	v_fma_f64 v[39:40], v[43:44], v[59:60], v[39:40]
	v_fma_f64 v[41:42], v[45:46], v[59:60], v[41:42]
	s_waitcnt vmcnt(10)
	v_fma_f64 v[19:20], v[19:20], v[57:58], v[39:40]
	v_fma_f64 v[21:22], v[21:22], v[57:58], v[41:42]
	;; [unrolled: 3-line block ×7, first 2 shown]
	s_andn2_b32 exec_lo, exec_lo, s3
	s_cbranch_execnz .LBB135_9
; %bb.10:
	s_or_b32 exec_lo, exec_lo, s3
.LBB135_11:
	s_or_b32 exec_lo, exec_lo, s1
	s_cbranch_execz .LBB135_13
	s_branch .LBB135_18
.LBB135_12:
                                        ; implicit-def: $vgpr8_vgpr9
                                        ; implicit-def: $vgpr10_vgpr11
.LBB135_13:
	v_mov_b32_e32 v8, 0
	v_mov_b32_e32 v10, 0
	;; [unrolled: 1-line block ×4, first 2 shown]
	s_and_saveexec_b32 s1, s0
	s_cbranch_execz .LBB135_17
; %bb.14:
	v_mad_u64_u32 v[12:13], null, v6, 26, 25
	v_mov_b32_e32 v8, 0
	v_mov_b32_e32 v10, 0
	v_mov_b32_e32 v9, 0
	v_mov_b32_e32 v11, 0
	v_mov_b32_e32 v15, 0
	s_mov_b32 s0, 0
.LBB135_15:                             ; =>This Inner Loop Header: Depth=1
	v_ashrrev_i32_e32 v7, 31, v6
	v_subrev_nc_u32_e32 v14, 25, v12
	v_add_nc_u32_e32 v19, -12, v12
	v_mov_b32_e32 v20, v15
	v_mov_b32_e32 v13, v15
	v_lshlrev_b64 v[21:22], 2, v[6:7]
	v_lshlrev_b64 v[23:24], 3, v[14:15]
	v_mov_b32_e32 v17, v15
	v_lshlrev_b64 v[19:20], 3, v[19:20]
	v_lshlrev_b64 v[13:14], 3, v[12:13]
	v_add_nc_u32_e32 v6, 64, v6
	v_add_co_u32 v21, vcc_lo, s10, v21
	v_add_co_ci_u32_e64 v22, null, s11, v22, vcc_lo
	v_add_co_u32 v23, vcc_lo, s12, v23
	v_add_co_ci_u32_e64 v24, null, s13, v24, vcc_lo
	global_load_dword v7, v[21:22], off
	v_add_co_u32 v19, vcc_lo, s12, v19
	v_add_co_ci_u32_e64 v20, null, s13, v20, vcc_lo
	v_add_co_u32 v25, vcc_lo, s12, v13
	v_add_co_ci_u32_e64 v26, null, s13, v14, vcc_lo
	s_waitcnt vmcnt(0)
	v_subrev_nc_u32_e32 v7, s2, v7
	v_mul_lo_u32 v16, v7, 13
	v_add_nc_u32_e32 v14, 1, v16
	v_lshlrev_b64 v[21:22], 3, v[16:17]
	v_lshlrev_b64 v[27:28], 3, v[14:15]
	v_add_nc_u32_e32 v14, -11, v12
	v_add_co_u32 v21, vcc_lo, s14, v21
	v_add_co_ci_u32_e64 v22, null, s15, v22, vcc_lo
	v_lshlrev_b64 v[29:30], 3, v[14:15]
	v_subrev_nc_u32_e32 v14, 23, v12
	v_add_co_u32 v27, vcc_lo, s14, v27
	v_add_co_ci_u32_e64 v28, null, s15, v28, vcc_lo
	v_lshlrev_b64 v[31:32], 3, v[14:15]
	v_add_nc_u32_e32 v14, 2, v16
	v_add_co_u32 v29, vcc_lo, s12, v29
	v_add_co_ci_u32_e64 v30, null, s13, v30, vcc_lo
	v_lshlrev_b64 v[33:34], 3, v[14:15]
	v_add_nc_u32_e32 v14, -10, v12
	v_add_co_u32 v31, vcc_lo, s12, v31
	v_add_co_ci_u32_e64 v32, null, s13, v32, vcc_lo
	v_lshlrev_b64 v[35:36], 3, v[14:15]
	v_subrev_nc_u32_e32 v14, 22, v12
	v_add_co_u32 v33, vcc_lo, s14, v33
	v_add_co_ci_u32_e64 v34, null, s15, v34, vcc_lo
	v_lshlrev_b64 v[37:38], 3, v[14:15]
	v_add_nc_u32_e32 v14, 3, v16
	v_add_co_u32 v35, vcc_lo, s12, v35
	v_add_co_ci_u32_e64 v36, null, s13, v36, vcc_lo
	v_lshlrev_b64 v[39:40], 3, v[14:15]
	v_add_nc_u32_e32 v14, -9, v12
	v_add_co_u32 v37, vcc_lo, s12, v37
	v_add_co_ci_u32_e64 v38, null, s13, v38, vcc_lo
	v_lshlrev_b64 v[41:42], 3, v[14:15]
	v_subrev_nc_u32_e32 v14, 21, v12
	v_add_co_u32 v39, vcc_lo, s14, v39
	v_add_co_ci_u32_e64 v40, null, s15, v40, vcc_lo
	v_lshlrev_b64 v[43:44], 3, v[14:15]
	v_add_nc_u32_e32 v14, 4, v16
	v_add_co_u32 v41, vcc_lo, s12, v41
	v_add_co_ci_u32_e64 v42, null, s13, v42, vcc_lo
	v_lshlrev_b64 v[45:46], 3, v[14:15]
	v_add_nc_u32_e32 v14, -8, v12
	v_add_co_u32 v43, vcc_lo, s12, v43
	v_add_co_ci_u32_e64 v44, null, s13, v44, vcc_lo
	v_lshlrev_b64 v[47:48], 3, v[14:15]
	v_subrev_nc_u32_e32 v14, 20, v12
	v_add_co_u32 v45, vcc_lo, s14, v45
	v_add_co_ci_u32_e64 v46, null, s15, v46, vcc_lo
	v_lshlrev_b64 v[49:50], 3, v[14:15]
	v_add_nc_u32_e32 v14, 5, v16
	v_add_co_u32 v47, vcc_lo, s12, v47
	v_add_co_ci_u32_e64 v48, null, s13, v48, vcc_lo
	v_lshlrev_b64 v[51:52], 3, v[14:15]
	v_add_nc_u32_e32 v14, -7, v12
	v_add_co_u32 v49, vcc_lo, s12, v49
	v_add_co_ci_u32_e64 v50, null, s13, v50, vcc_lo
	v_lshlrev_b64 v[53:54], 3, v[14:15]
	v_subrev_nc_u32_e32 v14, 19, v12
	v_add_co_u32 v51, vcc_lo, s14, v51
	v_add_co_ci_u32_e64 v52, null, s15, v52, vcc_lo
	v_lshlrev_b64 v[55:56], 3, v[14:15]
	v_add_nc_u32_e32 v14, 6, v16
	v_add_co_u32 v53, vcc_lo, s12, v53
	v_add_co_ci_u32_e64 v54, null, s13, v54, vcc_lo
	v_lshlrev_b64 v[57:58], 3, v[14:15]
	v_add_nc_u32_e32 v14, -6, v12
	v_add_co_u32 v55, vcc_lo, s12, v55
	v_add_co_ci_u32_e64 v56, null, s13, v56, vcc_lo
	v_lshlrev_b64 v[59:60], 3, v[14:15]
	v_subrev_nc_u32_e32 v14, 18, v12
	v_add_co_u32 v57, vcc_lo, s14, v57
	v_add_co_ci_u32_e64 v58, null, s15, v58, vcc_lo
	v_lshlrev_b64 v[61:62], 3, v[14:15]
	v_add_nc_u32_e32 v14, 7, v16
	v_add_co_u32 v59, vcc_lo, s12, v59
	v_add_co_ci_u32_e64 v60, null, s13, v60, vcc_lo
	v_lshlrev_b64 v[13:14], 3, v[14:15]
	v_add_co_u32 v61, vcc_lo, s12, v61
	v_add_co_ci_u32_e64 v62, null, s13, v62, vcc_lo
	v_add_co_u32 v63, vcc_lo, s14, v13
	v_add_co_ci_u32_e64 v64, null, s15, v14, vcc_lo
	global_load_dwordx2 v[13:14], v[19:20], off
	global_load_dwordx2 v[65:66], v[21:22], off
	global_load_dwordx4 v[19:22], v[23:24], off
	global_load_dwordx2 v[23:24], v[27:28], off
	s_clause 0x1
	global_load_dwordx2 v[27:28], v[29:30], off
	global_load_dwordx2 v[29:30], v[31:32], off
	global_load_dwordx2 v[33:34], v[33:34], off
	s_clause 0x1
	global_load_dwordx2 v[35:36], v[35:36], off
	global_load_dwordx2 v[37:38], v[37:38], off
	;; [unrolled: 4-line block ×4, first 2 shown]
	s_waitcnt vmcnt(12)
	v_fma_f64 v[7:8], v[19:20], v[65:66], v[8:9]
	v_fma_f64 v[10:11], v[13:14], v[65:66], v[10:11]
	v_add_nc_u32_e32 v14, -5, v12
	v_lshlrev_b64 v[19:20], 3, v[14:15]
	v_subrev_nc_u32_e32 v14, 17, v12
	v_add_co_u32 v19, vcc_lo, s12, v19
	v_add_co_ci_u32_e64 v20, null, s13, v20, vcc_lo
	s_waitcnt vmcnt(11)
	v_fma_f64 v[7:8], v[21:22], v[23:24], v[7:8]
	v_lshlrev_b64 v[21:22], 3, v[14:15]
	v_add_nc_u32_e32 v14, 8, v16
	s_waitcnt vmcnt(10)
	v_fma_f64 v[9:10], v[27:28], v[23:24], v[10:11]
	v_lshlrev_b64 v[31:32], 3, v[14:15]
	v_add_nc_u32_e32 v14, -4, v12
	v_add_co_u32 v21, vcc_lo, s12, v21
	v_add_co_ci_u32_e64 v22, null, s13, v22, vcc_lo
	v_lshlrev_b64 v[23:24], 3, v[14:15]
	v_add_nc_u32_e32 v14, -16, v12
	v_add_co_u32 v27, vcc_lo, s14, v31
	v_add_co_ci_u32_e64 v28, null, s15, v32, vcc_lo
	v_lshlrev_b64 v[13:14], 3, v[14:15]
	v_add_co_u32 v23, vcc_lo, s12, v23
	v_add_co_ci_u32_e64 v24, null, s13, v24, vcc_lo
	s_waitcnt vmcnt(8)
	v_fma_f64 v[7:8], v[29:30], v[33:34], v[7:8]
	v_add_co_u32 v31, vcc_lo, s12, v13
	v_add_co_ci_u32_e64 v32, null, s13, v14, vcc_lo
	v_add_nc_u32_e32 v14, 9, v16
	s_waitcnt vmcnt(7)
	v_fma_f64 v[9:10], v[35:36], v[33:34], v[9:10]
	v_lshlrev_b64 v[29:30], 3, v[14:15]
	v_add_nc_u32_e32 v14, -3, v12
	v_lshlrev_b64 v[33:34], 3, v[14:15]
	v_add_nc_u32_e32 v14, -15, v12
	v_add_co_u32 v29, vcc_lo, s14, v29
	v_add_co_ci_u32_e64 v30, null, s15, v30, vcc_lo
	v_lshlrev_b64 v[13:14], 3, v[14:15]
	v_add_co_u32 v33, vcc_lo, s12, v33
	v_add_co_ci_u32_e64 v34, null, s13, v34, vcc_lo
	s_waitcnt vmcnt(5)
	v_fma_f64 v[7:8], v[37:38], v[39:40], v[7:8]
	v_add_co_u32 v35, vcc_lo, s12, v13
	v_add_co_ci_u32_e64 v36, null, s13, v14, vcc_lo
	v_add_nc_u32_e32 v14, 10, v16
	s_waitcnt vmcnt(4)
	v_fma_f64 v[9:10], v[41:42], v[39:40], v[9:10]
	v_lshlrev_b64 v[37:38], 3, v[14:15]
	v_add_nc_u32_e32 v14, -2, v12
	;; [unrolled: 16-line block ×3, first 2 shown]
	v_lshlrev_b64 v[45:46], 3, v[14:15]
	v_add_nc_u32_e32 v14, -13, v12
	v_add_co_u32 v43, vcc_lo, s14, v43
	v_add_co_ci_u32_e64 v44, null, s15, v44, vcc_lo
	v_lshlrev_b64 v[47:48], 3, v[14:15]
	v_add_nc_u32_e32 v14, 12, v16
	v_add_co_u32 v16, vcc_lo, s12, v45
	v_add_co_ci_u32_e64 v17, null, s13, v46, vcc_lo
	v_lshlrev_b64 v[13:14], 3, v[14:15]
	v_add_co_u32 v45, vcc_lo, s12, v47
	v_add_co_ci_u32_e64 v46, null, s13, v48, vcc_lo
	v_add_nc_u32_e32 v12, 0x680, v12
	v_add_co_u32 v13, vcc_lo, s14, v13
	v_add_co_ci_u32_e64 v14, null, s15, v14, vcc_lo
	global_load_dwordx2 v[47:48], v[51:52], off
	s_clause 0x1
	global_load_dwordx2 v[51:52], v[53:54], off
	global_load_dwordx2 v[53:54], v[55:56], off
	global_load_dwordx2 v[55:56], v[57:58], off
	s_clause 0x1
	global_load_dwordx2 v[57:58], v[59:60], off
	global_load_dwordx2 v[59:60], v[61:62], off
	;; [unrolled: 4-line block ×7, first 2 shown]
	global_load_dwordx2 v[45:46], v[45:46], off
	global_load_dwordx2 v[13:14], v[13:14], off
	v_cmp_ge_i32_e32 vcc_lo, v6, v18
	s_or_b32 s0, vcc_lo, s0
	s_waitcnt vmcnt(22)
	v_fma_f64 v[7:8], v[49:50], v[47:48], v[7:8]
	s_waitcnt vmcnt(21)
	v_fma_f64 v[9:10], v[51:52], v[47:48], v[9:10]
	;; [unrolled: 2-line block ×15, first 2 shown]
	v_fma_f64 v[10:11], v[25:26], v[13:14], v[10:11]
	s_andn2_b32 exec_lo, exec_lo, s0
	s_cbranch_execnz .LBB135_15
; %bb.16:
	s_or_b32 exec_lo, exec_lo, s0
.LBB135_17:
	s_or_b32 exec_lo, exec_lo, s1
.LBB135_18:
	v_mbcnt_lo_u32_b32 v14, -1, 0
	v_or_b32_e32 v6, 32, v14
	v_cmp_gt_i32_e32 vcc_lo, 32, v6
	v_cndmask_b32_e32 v6, v14, v6, vcc_lo
	v_lshlrev_b32_e32 v13, 2, v6
	ds_bpermute_b32 v6, v13, v8
	ds_bpermute_b32 v7, v13, v9
	;; [unrolled: 1-line block ×4, first 2 shown]
	s_waitcnt lgkmcnt(2)
	v_add_f64 v[6:7], v[8:9], v[6:7]
	s_waitcnt lgkmcnt(0)
	v_add_f64 v[8:9], v[10:11], v[12:13]
	v_xor_b32_e32 v10, 16, v14
	v_cmp_gt_i32_e32 vcc_lo, 32, v10
	v_cndmask_b32_e32 v10, v14, v10, vcc_lo
	v_lshlrev_b32_e32 v13, 2, v10
	ds_bpermute_b32 v10, v13, v6
	ds_bpermute_b32 v11, v13, v7
	ds_bpermute_b32 v12, v13, v8
	ds_bpermute_b32 v13, v13, v9
	s_waitcnt lgkmcnt(2)
	v_add_f64 v[6:7], v[6:7], v[10:11]
	v_xor_b32_e32 v10, 8, v14
	s_waitcnt lgkmcnt(0)
	v_add_f64 v[8:9], v[8:9], v[12:13]
	v_cmp_gt_i32_e32 vcc_lo, 32, v10
	v_cndmask_b32_e32 v10, v14, v10, vcc_lo
	v_lshlrev_b32_e32 v13, 2, v10
	ds_bpermute_b32 v10, v13, v6
	ds_bpermute_b32 v11, v13, v7
	ds_bpermute_b32 v12, v13, v8
	ds_bpermute_b32 v13, v13, v9
	s_waitcnt lgkmcnt(2)
	v_add_f64 v[6:7], v[6:7], v[10:11]
	v_xor_b32_e32 v10, 4, v14
	s_waitcnt lgkmcnt(0)
	v_add_f64 v[8:9], v[8:9], v[12:13]
	;; [unrolled: 12-line block ×3, first 2 shown]
	v_cmp_gt_i32_e32 vcc_lo, 32, v10
	v_cndmask_b32_e32 v10, v14, v10, vcc_lo
	v_lshlrev_b32_e32 v13, 2, v10
	ds_bpermute_b32 v10, v13, v6
	ds_bpermute_b32 v11, v13, v7
	;; [unrolled: 1-line block ×4, first 2 shown]
	s_waitcnt lgkmcnt(2)
	v_add_f64 v[6:7], v[6:7], v[10:11]
	s_waitcnt lgkmcnt(0)
	v_add_f64 v[10:11], v[8:9], v[12:13]
	v_xor_b32_e32 v8, 1, v14
	v_cmp_gt_i32_e32 vcc_lo, 32, v8
	v_cndmask_b32_e32 v8, v14, v8, vcc_lo
	v_cmp_eq_u32_e32 vcc_lo, 63, v0
	v_lshlrev_b32_e32 v13, 2, v8
	ds_bpermute_b32 v8, v13, v6
	ds_bpermute_b32 v9, v13, v7
	;; [unrolled: 1-line block ×4, first 2 shown]
	s_and_b32 exec_lo, exec_lo, vcc_lo
	s_cbranch_execz .LBB135_23
; %bb.19:
	s_waitcnt lgkmcnt(2)
	v_add_f64 v[8:9], v[6:7], v[8:9]
	s_waitcnt lgkmcnt(0)
	v_add_f64 v[6:7], v[10:11], v[12:13]
	s_load_dwordx2 s[0:1], s[4:5], 0x38
	s_mov_b32 s2, exec_lo
	v_cmpx_eq_f64_e32 0, v[3:4]
	s_xor_b32 s2, exec_lo, s2
	s_cbranch_execz .LBB135_21
; %bb.20:
	v_lshlrev_b32_e32 v0, 1, v5
	v_mul_f64 v[3:4], v[1:2], v[8:9]
	v_mul_f64 v[5:6], v[1:2], v[6:7]
                                        ; implicit-def: $vgpr8_vgpr9
	v_ashrrev_i32_e32 v1, 31, v0
	v_lshlrev_b64 v[0:1], 3, v[0:1]
	s_waitcnt lgkmcnt(0)
	v_add_co_u32 v0, vcc_lo, s0, v0
	v_add_co_ci_u32_e64 v1, null, s1, v1, vcc_lo
	global_store_dwordx4 v[0:1], v[3:6], off
                                        ; implicit-def: $vgpr5
                                        ; implicit-def: $vgpr1_vgpr2
                                        ; implicit-def: $vgpr3_vgpr4
                                        ; implicit-def: $vgpr6_vgpr7
.LBB135_21:
	s_andn2_saveexec_b32 s2, s2
	s_cbranch_execz .LBB135_23
; %bb.22:
	v_lshlrev_b32_e32 v10, 1, v5
	v_mul_f64 v[8:9], v[1:2], v[8:9]
	v_mul_f64 v[5:6], v[1:2], v[6:7]
	v_ashrrev_i32_e32 v11, 31, v10
	v_lshlrev_b64 v[10:11], 3, v[10:11]
	s_waitcnt lgkmcnt(0)
	v_add_co_u32 v14, vcc_lo, s0, v10
	v_add_co_ci_u32_e64 v15, null, s1, v11, vcc_lo
	global_load_dwordx4 v[10:13], v[14:15], off
	s_waitcnt vmcnt(0)
	v_fma_f64 v[0:1], v[3:4], v[10:11], v[8:9]
	v_fma_f64 v[2:3], v[3:4], v[12:13], v[5:6]
	global_store_dwordx4 v[14:15], v[0:3], off
.LBB135_23:
	s_endpgm
	.section	.rodata,"a",@progbits
	.p2align	6, 0x0
	.amdhsa_kernel _ZN9rocsparseL19gebsrmvn_2xn_kernelILj128ELj13ELj64EdEEvi20rocsparse_direction_NS_24const_host_device_scalarIT2_EEPKiS6_PKS3_S8_S4_PS3_21rocsparse_index_base_b
		.amdhsa_group_segment_fixed_size 0
		.amdhsa_private_segment_fixed_size 0
		.amdhsa_kernarg_size 72
		.amdhsa_user_sgpr_count 6
		.amdhsa_user_sgpr_private_segment_buffer 1
		.amdhsa_user_sgpr_dispatch_ptr 0
		.amdhsa_user_sgpr_queue_ptr 0
		.amdhsa_user_sgpr_kernarg_segment_ptr 1
		.amdhsa_user_sgpr_dispatch_id 0
		.amdhsa_user_sgpr_flat_scratch_init 0
		.amdhsa_user_sgpr_private_segment_size 0
		.amdhsa_wavefront_size32 1
		.amdhsa_uses_dynamic_stack 0
		.amdhsa_system_sgpr_private_segment_wavefront_offset 0
		.amdhsa_system_sgpr_workgroup_id_x 1
		.amdhsa_system_sgpr_workgroup_id_y 0
		.amdhsa_system_sgpr_workgroup_id_z 0
		.amdhsa_system_sgpr_workgroup_info 0
		.amdhsa_system_vgpr_workitem_id 0
		.amdhsa_next_free_vgpr 67
		.amdhsa_next_free_sgpr 16
		.amdhsa_reserve_vcc 1
		.amdhsa_reserve_flat_scratch 0
		.amdhsa_float_round_mode_32 0
		.amdhsa_float_round_mode_16_64 0
		.amdhsa_float_denorm_mode_32 3
		.amdhsa_float_denorm_mode_16_64 3
		.amdhsa_dx10_clamp 1
		.amdhsa_ieee_mode 1
		.amdhsa_fp16_overflow 0
		.amdhsa_workgroup_processor_mode 1
		.amdhsa_memory_ordered 1
		.amdhsa_forward_progress 1
		.amdhsa_shared_vgpr_count 0
		.amdhsa_exception_fp_ieee_invalid_op 0
		.amdhsa_exception_fp_denorm_src 0
		.amdhsa_exception_fp_ieee_div_zero 0
		.amdhsa_exception_fp_ieee_overflow 0
		.amdhsa_exception_fp_ieee_underflow 0
		.amdhsa_exception_fp_ieee_inexact 0
		.amdhsa_exception_int_div_zero 0
	.end_amdhsa_kernel
	.section	.text._ZN9rocsparseL19gebsrmvn_2xn_kernelILj128ELj13ELj64EdEEvi20rocsparse_direction_NS_24const_host_device_scalarIT2_EEPKiS6_PKS3_S8_S4_PS3_21rocsparse_index_base_b,"axG",@progbits,_ZN9rocsparseL19gebsrmvn_2xn_kernelILj128ELj13ELj64EdEEvi20rocsparse_direction_NS_24const_host_device_scalarIT2_EEPKiS6_PKS3_S8_S4_PS3_21rocsparse_index_base_b,comdat
.Lfunc_end135:
	.size	_ZN9rocsparseL19gebsrmvn_2xn_kernelILj128ELj13ELj64EdEEvi20rocsparse_direction_NS_24const_host_device_scalarIT2_EEPKiS6_PKS3_S8_S4_PS3_21rocsparse_index_base_b, .Lfunc_end135-_ZN9rocsparseL19gebsrmvn_2xn_kernelILj128ELj13ELj64EdEEvi20rocsparse_direction_NS_24const_host_device_scalarIT2_EEPKiS6_PKS3_S8_S4_PS3_21rocsparse_index_base_b
                                        ; -- End function
	.set _ZN9rocsparseL19gebsrmvn_2xn_kernelILj128ELj13ELj64EdEEvi20rocsparse_direction_NS_24const_host_device_scalarIT2_EEPKiS6_PKS3_S8_S4_PS3_21rocsparse_index_base_b.num_vgpr, 67
	.set _ZN9rocsparseL19gebsrmvn_2xn_kernelILj128ELj13ELj64EdEEvi20rocsparse_direction_NS_24const_host_device_scalarIT2_EEPKiS6_PKS3_S8_S4_PS3_21rocsparse_index_base_b.num_agpr, 0
	.set _ZN9rocsparseL19gebsrmvn_2xn_kernelILj128ELj13ELj64EdEEvi20rocsparse_direction_NS_24const_host_device_scalarIT2_EEPKiS6_PKS3_S8_S4_PS3_21rocsparse_index_base_b.numbered_sgpr, 16
	.set _ZN9rocsparseL19gebsrmvn_2xn_kernelILj128ELj13ELj64EdEEvi20rocsparse_direction_NS_24const_host_device_scalarIT2_EEPKiS6_PKS3_S8_S4_PS3_21rocsparse_index_base_b.num_named_barrier, 0
	.set _ZN9rocsparseL19gebsrmvn_2xn_kernelILj128ELj13ELj64EdEEvi20rocsparse_direction_NS_24const_host_device_scalarIT2_EEPKiS6_PKS3_S8_S4_PS3_21rocsparse_index_base_b.private_seg_size, 0
	.set _ZN9rocsparseL19gebsrmvn_2xn_kernelILj128ELj13ELj64EdEEvi20rocsparse_direction_NS_24const_host_device_scalarIT2_EEPKiS6_PKS3_S8_S4_PS3_21rocsparse_index_base_b.uses_vcc, 1
	.set _ZN9rocsparseL19gebsrmvn_2xn_kernelILj128ELj13ELj64EdEEvi20rocsparse_direction_NS_24const_host_device_scalarIT2_EEPKiS6_PKS3_S8_S4_PS3_21rocsparse_index_base_b.uses_flat_scratch, 0
	.set _ZN9rocsparseL19gebsrmvn_2xn_kernelILj128ELj13ELj64EdEEvi20rocsparse_direction_NS_24const_host_device_scalarIT2_EEPKiS6_PKS3_S8_S4_PS3_21rocsparse_index_base_b.has_dyn_sized_stack, 0
	.set _ZN9rocsparseL19gebsrmvn_2xn_kernelILj128ELj13ELj64EdEEvi20rocsparse_direction_NS_24const_host_device_scalarIT2_EEPKiS6_PKS3_S8_S4_PS3_21rocsparse_index_base_b.has_recursion, 0
	.set _ZN9rocsparseL19gebsrmvn_2xn_kernelILj128ELj13ELj64EdEEvi20rocsparse_direction_NS_24const_host_device_scalarIT2_EEPKiS6_PKS3_S8_S4_PS3_21rocsparse_index_base_b.has_indirect_call, 0
	.section	.AMDGPU.csdata,"",@progbits
; Kernel info:
; codeLenInByte = 4112
; TotalNumSgprs: 18
; NumVgprs: 67
; ScratchSize: 0
; MemoryBound: 0
; FloatMode: 240
; IeeeMode: 1
; LDSByteSize: 0 bytes/workgroup (compile time only)
; SGPRBlocks: 0
; VGPRBlocks: 8
; NumSGPRsForWavesPerEU: 18
; NumVGPRsForWavesPerEU: 67
; Occupancy: 12
; WaveLimiterHint : 1
; COMPUTE_PGM_RSRC2:SCRATCH_EN: 0
; COMPUTE_PGM_RSRC2:USER_SGPR: 6
; COMPUTE_PGM_RSRC2:TRAP_HANDLER: 0
; COMPUTE_PGM_RSRC2:TGID_X_EN: 1
; COMPUTE_PGM_RSRC2:TGID_Y_EN: 0
; COMPUTE_PGM_RSRC2:TGID_Z_EN: 0
; COMPUTE_PGM_RSRC2:TIDIG_COMP_CNT: 0
	.section	.text._ZN9rocsparseL19gebsrmvn_2xn_kernelILj128ELj14ELj4EdEEvi20rocsparse_direction_NS_24const_host_device_scalarIT2_EEPKiS6_PKS3_S8_S4_PS3_21rocsparse_index_base_b,"axG",@progbits,_ZN9rocsparseL19gebsrmvn_2xn_kernelILj128ELj14ELj4EdEEvi20rocsparse_direction_NS_24const_host_device_scalarIT2_EEPKiS6_PKS3_S8_S4_PS3_21rocsparse_index_base_b,comdat
	.globl	_ZN9rocsparseL19gebsrmvn_2xn_kernelILj128ELj14ELj4EdEEvi20rocsparse_direction_NS_24const_host_device_scalarIT2_EEPKiS6_PKS3_S8_S4_PS3_21rocsparse_index_base_b ; -- Begin function _ZN9rocsparseL19gebsrmvn_2xn_kernelILj128ELj14ELj4EdEEvi20rocsparse_direction_NS_24const_host_device_scalarIT2_EEPKiS6_PKS3_S8_S4_PS3_21rocsparse_index_base_b
	.p2align	8
	.type	_ZN9rocsparseL19gebsrmvn_2xn_kernelILj128ELj14ELj4EdEEvi20rocsparse_direction_NS_24const_host_device_scalarIT2_EEPKiS6_PKS3_S8_S4_PS3_21rocsparse_index_base_b,@function
_ZN9rocsparseL19gebsrmvn_2xn_kernelILj128ELj14ELj4EdEEvi20rocsparse_direction_NS_24const_host_device_scalarIT2_EEPKiS6_PKS3_S8_S4_PS3_21rocsparse_index_base_b: ; @_ZN9rocsparseL19gebsrmvn_2xn_kernelILj128ELj14ELj4EdEEvi20rocsparse_direction_NS_24const_host_device_scalarIT2_EEPKiS6_PKS3_S8_S4_PS3_21rocsparse_index_base_b
; %bb.0:
	s_clause 0x2
	s_load_dwordx2 s[2:3], s[4:5], 0x40
	s_load_dwordx2 s[8:9], s[4:5], 0x8
	;; [unrolled: 1-line block ×3, first 2 shown]
	s_waitcnt lgkmcnt(0)
	s_bitcmp1_b32 s3, 0
	v_mov_b32_e32 v1, s8
	v_mov_b32_e32 v2, s9
	s_cselect_b32 s3, -1, 0
	s_and_b32 vcc_lo, exec_lo, s3
	s_xor_b32 s3, s3, -1
	s_cbranch_vccnz .LBB136_2
; %bb.1:
	v_mov_b32_e32 v1, s8
	v_mov_b32_e32 v2, s9
	flat_load_dwordx2 v[1:2], v[1:2]
.LBB136_2:
	v_mov_b32_e32 v4, s1
	v_mov_b32_e32 v3, s0
	s_andn2_b32 vcc_lo, exec_lo, s3
	s_cbranch_vccnz .LBB136_4
; %bb.3:
	v_mov_b32_e32 v4, s1
	v_mov_b32_e32 v3, s0
	flat_load_dwordx2 v[3:4], v[3:4]
.LBB136_4:
	s_waitcnt vmcnt(0) lgkmcnt(0)
	v_cmp_neq_f64_e32 vcc_lo, 0, v[1:2]
	v_cmp_neq_f64_e64 s0, 1.0, v[3:4]
	s_or_b32 s0, vcc_lo, s0
	s_and_saveexec_b32 s1, s0
	s_cbranch_execz .LBB136_23
; %bb.5:
	s_load_dwordx2 s[0:1], s[4:5], 0x0
	v_lshrrev_b32_e32 v5, 2, v0
	v_lshl_or_b32 v5, s6, 5, v5
	s_waitcnt lgkmcnt(0)
	v_cmp_gt_i32_e32 vcc_lo, s0, v5
	s_and_b32 exec_lo, exec_lo, vcc_lo
	s_cbranch_execz .LBB136_23
; %bb.6:
	s_load_dwordx8 s[8:15], s[4:5], 0x10
	v_ashrrev_i32_e32 v6, 31, v5
	v_and_b32_e32 v0, 3, v0
	s_cmp_lg_u32 s1, 0
	v_lshlrev_b64 v[6:7], 2, v[5:6]
	s_waitcnt lgkmcnt(0)
	v_add_co_u32 v6, vcc_lo, s8, v6
	v_add_co_ci_u32_e64 v7, null, s9, v7, vcc_lo
	global_load_dwordx2 v[6:7], v[6:7], off
	s_waitcnt vmcnt(0)
	v_subrev_nc_u32_e32 v6, s2, v6
	v_subrev_nc_u32_e32 v17, s2, v7
	v_add_nc_u32_e32 v6, v6, v0
	v_cmp_lt_i32_e64 s0, v6, v17
	s_cbranch_scc0 .LBB136_12
; %bb.7:
	v_mov_b32_e32 v8, 0
	v_mov_b32_e32 v10, 0
	;; [unrolled: 1-line block ×4, first 2 shown]
	s_and_saveexec_b32 s1, s0
	s_cbranch_execz .LBB136_11
; %bb.8:
	v_mad_u64_u32 v[12:13], null, v6, 28, 26
	v_mov_b32_e32 v8, 0
	v_mov_b32_e32 v10, 0
	;; [unrolled: 1-line block ×6, first 2 shown]
	s_mov_b32 s3, 0
.LBB136_9:                              ; =>This Inner Loop Header: Depth=1
	v_ashrrev_i32_e32 v16, 31, v15
	v_subrev_nc_u32_e32 v13, 26, v12
	v_mov_b32_e32 v91, v14
	v_lshlrev_b64 v[18:19], 2, v[15:16]
	v_add_nc_u32_e32 v15, 4, v15
	v_add_co_u32 v18, vcc_lo, s10, v18
	v_add_co_ci_u32_e64 v19, null, s11, v19, vcc_lo
	global_load_dword v7, v[18:19], off
	v_lshlrev_b64 v[18:19], 3, v[13:14]
	v_subrev_nc_u32_e32 v13, 22, v12
	v_lshlrev_b64 v[30:31], 3, v[13:14]
	v_add_co_u32 v22, vcc_lo, s12, v18
	v_add_co_ci_u32_e64 v23, null, s13, v19, vcc_lo
	s_clause 0x1
	global_load_dwordx4 v[18:21], v[22:23], off offset:16
	global_load_dwordx4 v[22:25], v[22:23], off
	s_waitcnt vmcnt(2)
	v_subrev_nc_u32_e32 v7, s2, v7
	v_mul_lo_u32 v90, v7, 14
	v_lshlrev_b64 v[26:27], 3, v[90:91]
	v_add_nc_u32_e32 v13, 2, v90
	v_lshlrev_b64 v[32:33], 3, v[13:14]
	v_add_co_u32 v26, vcc_lo, s14, v26
	v_add_co_ci_u32_e64 v27, null, s15, v27, vcc_lo
	v_add_co_u32 v30, vcc_lo, s12, v30
	v_add_co_ci_u32_e64 v31, null, s13, v31, vcc_lo
	global_load_dwordx4 v[26:29], v[26:27], off
	v_add_co_u32 v34, vcc_lo, s14, v32
	v_add_co_ci_u32_e64 v35, null, s15, v33, vcc_lo
	global_load_dwordx4 v[30:33], v[30:31], off
	global_load_dwordx4 v[34:37], v[34:35], off
	v_subrev_nc_u32_e32 v13, 20, v12
	v_lshlrev_b64 v[38:39], 3, v[13:14]
	v_subrev_nc_u32_e32 v13, 18, v12
	v_add_co_u32 v38, vcc_lo, s12, v38
	v_add_co_ci_u32_e64 v39, null, s13, v39, vcc_lo
	v_lshlrev_b64 v[42:43], 3, v[13:14]
	v_add_nc_u32_e32 v13, 4, v90
	global_load_dwordx4 v[38:41], v[38:39], off
	v_lshlrev_b64 v[44:45], 3, v[13:14]
	v_add_co_u32 v42, vcc_lo, s12, v42
	v_add_co_ci_u32_e64 v43, null, s13, v43, vcc_lo
	v_add_nc_u32_e32 v13, -16, v12
	v_add_co_u32 v46, vcc_lo, s14, v44
	v_add_co_ci_u32_e64 v47, null, s15, v45, vcc_lo
	global_load_dwordx4 v[42:45], v[42:43], off
	global_load_dwordx4 v[46:49], v[46:47], off
	v_lshlrev_b64 v[50:51], 3, v[13:14]
	v_add_nc_u32_e32 v13, -14, v12
	v_add_co_u32 v50, vcc_lo, s12, v50
	v_add_co_ci_u32_e64 v51, null, s13, v51, vcc_lo
	v_lshlrev_b64 v[54:55], 3, v[13:14]
	v_add_nc_u32_e32 v13, 6, v90
	global_load_dwordx4 v[50:53], v[50:51], off
	v_lshlrev_b64 v[56:57], 3, v[13:14]
	v_add_co_u32 v54, vcc_lo, s12, v54
	v_add_co_ci_u32_e64 v55, null, s13, v55, vcc_lo
	v_add_nc_u32_e32 v13, -12, v12
	v_add_co_u32 v58, vcc_lo, s14, v56
	v_add_co_ci_u32_e64 v59, null, s15, v57, vcc_lo
	global_load_dwordx4 v[54:57], v[54:55], off
	global_load_dwordx4 v[58:61], v[58:59], off
	v_lshlrev_b64 v[62:63], 3, v[13:14]
	v_add_nc_u32_e32 v13, -10, v12
	;; [unrolled: 15-line block ×4, first 2 shown]
	v_add_co_u32 v86, vcc_lo, s12, v86
	v_add_co_ci_u32_e64 v87, null, s13, v87, vcc_lo
	v_lshlrev_b64 v[91:92], 3, v[13:14]
	v_add_nc_u32_e32 v13, 12, v90
	global_load_dwordx4 v[86:89], v[86:87], off
	v_lshlrev_b64 v[93:94], 3, v[13:14]
	v_add_co_u32 v90, vcc_lo, s12, v91
	v_add_co_ci_u32_e64 v91, null, s13, v92, vcc_lo
	v_mov_b32_e32 v13, v14
	v_add_co_u32 v95, vcc_lo, s14, v93
	v_add_co_ci_u32_e64 v96, null, s15, v94, vcc_lo
	global_load_dwordx4 v[90:93], v[90:91], off
	global_load_dwordx4 v[94:97], v[95:96], off
	s_waitcnt vmcnt(17)
	v_fma_f64 v[22:23], v[22:23], v[26:27], v[8:9]
	v_lshlrev_b64 v[7:8], 3, v[12:13]
	v_fma_f64 v[24:25], v[24:25], v[26:27], v[10:11]
	v_add_nc_u32_e32 v12, 0x70, v12
	v_add_co_u32 v7, vcc_lo, s12, v7
	v_add_co_ci_u32_e64 v8, null, s13, v8, vcc_lo
	v_cmp_ge_i32_e32 vcc_lo, v15, v17
	global_load_dwordx4 v[8:11], v[7:8], off
	s_or_b32 s3, vcc_lo, s3
	v_fma_f64 v[18:19], v[18:19], v[28:29], v[22:23]
	v_fma_f64 v[20:21], v[20:21], v[28:29], v[24:25]
	s_waitcnt vmcnt(16)
	v_fma_f64 v[18:19], v[30:31], v[34:35], v[18:19]
	v_fma_f64 v[20:21], v[32:33], v[34:35], v[20:21]
	s_waitcnt vmcnt(15)
	;; [unrolled: 3-line block ×12, first 2 shown]
	v_fma_f64 v[8:9], v[8:9], v[96:97], v[18:19]
	v_fma_f64 v[10:11], v[10:11], v[96:97], v[20:21]
	s_andn2_b32 exec_lo, exec_lo, s3
	s_cbranch_execnz .LBB136_9
; %bb.10:
	s_or_b32 exec_lo, exec_lo, s3
.LBB136_11:
	s_or_b32 exec_lo, exec_lo, s1
	s_cbranch_execz .LBB136_13
	s_branch .LBB136_18
.LBB136_12:
                                        ; implicit-def: $vgpr8_vgpr9
                                        ; implicit-def: $vgpr10_vgpr11
.LBB136_13:
	v_mov_b32_e32 v8, 0
	v_mov_b32_e32 v10, 0
	;; [unrolled: 1-line block ×4, first 2 shown]
	s_and_saveexec_b32 s1, s0
	s_cbranch_execz .LBB136_17
; %bb.14:
	v_mad_u64_u32 v[12:13], null, v6, 28, 27
	v_mov_b32_e32 v8, 0
	v_mov_b32_e32 v10, 0
	;; [unrolled: 1-line block ×5, first 2 shown]
	s_mov_b32 s0, 0
.LBB136_15:                             ; =>This Inner Loop Header: Depth=1
	v_ashrrev_i32_e32 v7, 31, v6
	v_add_nc_u32_e32 v18, -13, v12
	v_mov_b32_e32 v19, v15
	v_mov_b32_e32 v43, v15
	v_lshlrev_b64 v[13:14], 2, v[6:7]
	v_add_nc_u32_e32 v6, 4, v6
	v_lshlrev_b64 v[18:19], 3, v[18:19]
	v_add_co_u32 v13, vcc_lo, s10, v13
	v_add_co_ci_u32_e64 v14, null, s11, v14, vcc_lo
	global_load_dword v7, v[13:14], off
	v_subrev_nc_u32_e32 v14, 27, v12
	v_mov_b32_e32 v13, v15
	v_lshlrev_b64 v[20:21], 3, v[14:15]
	v_add_nc_u32_e32 v14, -12, v12
	v_lshlrev_b64 v[22:23], 3, v[14:15]
	v_add_co_u32 v24, vcc_lo, s12, v20
	v_add_co_ci_u32_e64 v25, null, s13, v21, vcc_lo
	v_add_co_u32 v26, vcc_lo, s12, v18
	v_add_co_ci_u32_e64 v27, null, s13, v19, vcc_lo
	v_add_co_u32 v28, vcc_lo, s12, v22
	v_add_co_ci_u32_e64 v29, null, s13, v23, vcc_lo
	s_clause 0x3
	global_load_dwordx4 v[18:21], v[24:25], off offset:16
	global_load_dwordx4 v[22:25], v[24:25], off
	global_load_dwordx2 v[44:45], v[26:27], off
	global_load_dwordx2 v[46:47], v[28:29], off
	s_waitcnt vmcnt(4)
	v_subrev_nc_u32_e32 v7, s2, v7
	v_mul_lo_u32 v42, v7, 14
	v_lshlrev_b64 v[26:27], 3, v[42:43]
	v_add_nc_u32_e32 v14, 2, v42
	v_lshlrev_b64 v[30:31], 3, v[14:15]
	v_add_co_u32 v26, vcc_lo, s14, v26
	v_add_co_ci_u32_e64 v27, null, s15, v27, vcc_lo
	v_add_nc_u32_e32 v14, -11, v12
	v_add_co_u32 v30, vcc_lo, s14, v30
	global_load_dwordx4 v[26:29], v[26:27], off
	v_add_co_ci_u32_e64 v31, null, s15, v31, vcc_lo
	v_lshlrev_b64 v[34:35], 3, v[14:15]
	v_add_nc_u32_e32 v14, -10, v12
	global_load_dwordx4 v[30:33], v[30:31], off
	v_add_co_u32 v34, vcc_lo, s12, v34
	v_add_co_ci_u32_e64 v35, null, s13, v35, vcc_lo
	v_lshlrev_b64 v[36:37], 3, v[14:15]
	v_subrev_nc_u32_e32 v14, 23, v12
	global_load_dwordx2 v[48:49], v[34:35], off
	v_add_co_u32 v34, vcc_lo, s12, v36
	v_add_co_ci_u32_e64 v35, null, s13, v37, vcc_lo
	v_lshlrev_b64 v[38:39], 3, v[14:15]
	v_add_nc_u32_e32 v14, 4, v42
	global_load_dwordx2 v[50:51], v[34:35], off
	v_lshlrev_b64 v[36:37], 3, v[14:15]
	v_add_nc_u32_e32 v14, -9, v12
	v_add_co_u32 v34, vcc_lo, s12, v38
	v_add_co_ci_u32_e64 v35, null, s13, v39, vcc_lo
	v_lshlrev_b64 v[38:39], 3, v[14:15]
	v_subrev_nc_u32_e32 v14, 22, v12
	v_add_co_u32 v36, vcc_lo, s14, v36
	v_add_co_ci_u32_e64 v37, null, s15, v37, vcc_lo
	v_lshlrev_b64 v[40:41], 3, v[14:15]
	v_add_co_u32 v38, vcc_lo, s12, v38
	v_add_co_ci_u32_e64 v39, null, s13, v39, vcc_lo
	global_load_dwordx2 v[52:53], v[34:35], off
	v_add_co_u32 v40, vcc_lo, s12, v40
	v_add_co_ci_u32_e64 v41, null, s13, v41, vcc_lo
	global_load_dwordx2 v[56:57], v[38:39], off
	v_add_nc_u32_e32 v14, -8, v12
	global_load_dwordx2 v[58:59], v[40:41], off
	global_load_dwordx4 v[34:37], v[36:37], off
	v_lshlrev_b64 v[54:55], 3, v[14:15]
	v_subrev_nc_u32_e32 v14, 21, v12
	v_add_co_u32 v54, vcc_lo, s12, v54
	v_lshlrev_b64 v[38:39], 3, v[14:15]
	v_add_nc_u32_e32 v14, 6, v42
	v_add_co_ci_u32_e64 v55, null, s13, v55, vcc_lo
	v_lshlrev_b64 v[40:41], 3, v[14:15]
	v_add_nc_u32_e32 v14, -7, v12
	global_load_dwordx2 v[54:55], v[54:55], off
	v_add_co_u32 v38, vcc_lo, s12, v38
	v_add_co_ci_u32_e64 v39, null, s13, v39, vcc_lo
	v_lshlrev_b64 v[60:61], 3, v[14:15]
	v_subrev_nc_u32_e32 v14, 20, v12
	v_add_co_u32 v40, vcc_lo, s14, v40
	v_add_co_ci_u32_e64 v41, null, s15, v41, vcc_lo
	v_lshlrev_b64 v[64:65], 3, v[14:15]
	v_add_co_u32 v60, vcc_lo, s12, v60
	v_add_co_ci_u32_e64 v61, null, s13, v61, vcc_lo
	v_add_nc_u32_e32 v14, -6, v12
	v_add_co_u32 v64, vcc_lo, s12, v64
	v_add_co_ci_u32_e64 v65, null, s13, v65, vcc_lo
	global_load_dwordx2 v[60:61], v[60:61], off
	v_lshlrev_b64 v[66:67], 3, v[14:15]
	v_subrev_nc_u32_e32 v14, 19, v12
	s_clause 0x1
	global_load_dwordx2 v[64:65], v[64:65], off
	global_load_dwordx2 v[62:63], v[38:39], off
	global_load_dwordx4 v[38:41], v[40:41], off
	v_add_co_u32 v66, vcc_lo, s12, v66
	v_lshlrev_b64 v[68:69], 3, v[14:15]
	v_add_nc_u32_e32 v14, 8, v42
	v_add_co_ci_u32_e64 v67, null, s13, v67, vcc_lo
	v_lshlrev_b64 v[70:71], 3, v[14:15]
	v_add_nc_u32_e32 v14, -5, v12
	global_load_dwordx2 v[66:67], v[66:67], off
	v_add_co_u32 v68, vcc_lo, s12, v68
	v_add_co_ci_u32_e64 v69, null, s13, v69, vcc_lo
	v_lshlrev_b64 v[72:73], 3, v[14:15]
	v_subrev_nc_u32_e32 v14, 18, v12
	v_add_co_u32 v70, vcc_lo, s14, v70
	v_add_co_ci_u32_e64 v71, null, s15, v71, vcc_lo
	v_lshlrev_b64 v[74:75], 3, v[14:15]
	v_add_nc_u32_e32 v14, -4, v12
	v_add_co_u32 v72, vcc_lo, s12, v72
	v_add_co_ci_u32_e64 v73, null, s13, v73, vcc_lo
	v_lshlrev_b64 v[76:77], 3, v[14:15]
	v_add_co_u32 v74, vcc_lo, s12, v74
	v_add_co_ci_u32_e64 v75, null, s13, v75, vcc_lo
	v_subrev_nc_u32_e32 v14, 17, v12
	v_add_co_u32 v76, vcc_lo, s12, v76
	global_load_dwordx2 v[68:69], v[68:69], off
	v_add_co_ci_u32_e64 v77, null, s13, v77, vcc_lo
	v_lshlrev_b64 v[78:79], 3, v[14:15]
	v_add_nc_u32_e32 v14, 10, v42
	v_lshlrev_b64 v[80:81], 3, v[14:15]
	v_add_nc_u32_e32 v14, -3, v12
	v_add_co_u32 v78, vcc_lo, s12, v78
	v_add_co_ci_u32_e64 v79, null, s13, v79, vcc_lo
	v_add_co_u32 v80, vcc_lo, s14, v80
	v_add_co_ci_u32_e64 v81, null, s15, v81, vcc_lo
	s_waitcnt vmcnt(14)
	v_fma_f64 v[7:8], v[22:23], v[26:27], v[8:9]
	v_fma_f64 v[82:83], v[24:25], v[28:29], v[7:8]
	global_load_dwordx4 v[22:25], v[70:71], off
	s_clause 0x2
	global_load_dwordx2 v[70:71], v[72:73], off
	global_load_dwordx2 v[72:73], v[74:75], off
	;; [unrolled: 1-line block ×3, first 2 shown]
	v_lshlrev_b64 v[7:8], 3, v[14:15]
	v_add_nc_u32_e32 v14, -16, v12
	global_load_dwordx2 v[76:77], v[78:79], off
	v_add_co_u32 v84, vcc_lo, s12, v7
	v_add_co_ci_u32_e64 v85, null, s13, v8, vcc_lo
	v_fma_f64 v[7:8], v[44:45], v[26:27], v[10:11]
	v_lshlrev_b64 v[26:27], 3, v[14:15]
	v_add_nc_u32_e32 v14, -2, v12
	v_lshlrev_b64 v[43:44], 3, v[14:15]
	v_add_nc_u32_e32 v14, -15, v12
	v_add_co_u32 v26, vcc_lo, s12, v26
	s_waitcnt vmcnt(18)
	v_fma_f64 v[18:19], v[18:19], v[30:31], v[82:83]
	v_add_co_ci_u32_e64 v27, null, s13, v27, vcc_lo
	v_lshlrev_b64 v[78:79], 3, v[14:15]
	v_add_nc_u32_e32 v14, 12, v42
	v_add_co_u32 v42, vcc_lo, s12, v43
	v_add_co_ci_u32_e64 v43, null, s13, v44, vcc_lo
	global_load_dwordx2 v[26:27], v[26:27], off
	v_add_co_u32 v78, vcc_lo, s12, v78
	v_fma_f64 v[28:29], v[46:47], v[28:29], v[7:8]
	global_load_dwordx4 v[7:10], v[80:81], off
	s_clause 0x1
	global_load_dwordx2 v[45:46], v[84:85], off
	global_load_dwordx2 v[42:43], v[42:43], off
	v_lshlrev_b64 v[80:81], 3, v[14:15]
	v_add_nc_u32_e32 v14, -1, v12
	v_add_co_ci_u32_e64 v79, null, s13, v79, vcc_lo
	v_fma_f64 v[82:83], v[20:21], v[32:33], v[18:19]
	v_lshlrev_b64 v[18:19], 3, v[14:15]
	v_add_co_u32 v20, vcc_lo, s14, v80
	v_add_co_ci_u32_e64 v21, null, s15, v81, vcc_lo
	global_load_dwordx2 v[78:79], v[78:79], off
	v_add_co_u32 v80, vcc_lo, s12, v18
	v_add_co_ci_u32_e64 v81, null, s13, v19, vcc_lo
	global_load_dwordx4 v[18:21], v[20:21], off
	global_load_dwordx2 v[80:81], v[80:81], off
	s_waitcnt vmcnt(24)
	v_fma_f64 v[28:29], v[48:49], v[30:31], v[28:29]
	v_add_nc_u32_e32 v14, -14, v12
	v_lshlrev_b64 v[30:31], 3, v[12:13]
	v_add_nc_u32_e32 v12, 0x70, v12
	v_add_co_u32 v13, vcc_lo, s12, v30
	s_waitcnt vmcnt(23)
	v_fma_f64 v[28:29], v[50:51], v[32:33], v[28:29]
	v_lshlrev_b64 v[32:33], 3, v[14:15]
	v_add_co_ci_u32_e64 v14, null, s13, v31, vcc_lo
	v_add_co_u32 v30, vcc_lo, s12, v32
	v_add_co_ci_u32_e64 v31, null, s13, v33, vcc_lo
	s_clause 0x1
	global_load_dwordx2 v[30:31], v[30:31], off
	global_load_dwordx2 v[13:14], v[13:14], off
	s_waitcnt vmcnt(21)
	v_fma_f64 v[32:33], v[52:53], v[34:35], v[82:83]
	v_cmp_ge_i32_e32 vcc_lo, v6, v17
	s_or_b32 s0, vcc_lo, s0
	v_fma_f64 v[28:29], v[56:57], v[34:35], v[28:29]
	v_fma_f64 v[32:33], v[58:59], v[36:37], v[32:33]
	s_waitcnt vmcnt(20)
	v_fma_f64 v[28:29], v[54:55], v[36:37], v[28:29]
	s_waitcnt vmcnt(16)
	v_fma_f64 v[32:33], v[62:63], v[38:39], v[32:33]
	v_fma_f64 v[28:29], v[60:61], v[38:39], v[28:29]
	;; [unrolled: 1-line block ×3, first 2 shown]
	s_waitcnt vmcnt(15)
	v_fma_f64 v[28:29], v[66:67], v[40:41], v[28:29]
	s_waitcnt vmcnt(13)
	v_fma_f64 v[32:33], v[68:69], v[22:23], v[32:33]
	;; [unrolled: 2-line block ×7, first 2 shown]
	v_fma_f64 v[22:23], v[26:27], v[9:10], v[24:25]
	s_waitcnt vmcnt(5)
	v_fma_f64 v[7:8], v[42:43], v[9:10], v[7:8]
	s_waitcnt vmcnt(3)
	;; [unrolled: 2-line block ×5, first 2 shown]
	v_fma_f64 v[10:11], v[13:14], v[20:21], v[18:19]
	s_andn2_b32 exec_lo, exec_lo, s0
	s_cbranch_execnz .LBB136_15
; %bb.16:
	s_or_b32 exec_lo, exec_lo, s0
.LBB136_17:
	s_or_b32 exec_lo, exec_lo, s1
.LBB136_18:
	v_mbcnt_lo_u32_b32 v14, -1, 0
	v_xor_b32_e32 v6, 2, v14
	v_cmp_gt_i32_e32 vcc_lo, 32, v6
	v_cndmask_b32_e32 v6, v14, v6, vcc_lo
	v_lshlrev_b32_e32 v13, 2, v6
	ds_bpermute_b32 v6, v13, v8
	ds_bpermute_b32 v7, v13, v9
	;; [unrolled: 1-line block ×4, first 2 shown]
	s_waitcnt lgkmcnt(2)
	v_add_f64 v[6:7], v[8:9], v[6:7]
	v_xor_b32_e32 v8, 1, v14
	s_waitcnt lgkmcnt(0)
	v_add_f64 v[10:11], v[10:11], v[12:13]
	v_cmp_gt_i32_e32 vcc_lo, 32, v8
	v_cndmask_b32_e32 v8, v14, v8, vcc_lo
	v_cmp_eq_u32_e32 vcc_lo, 3, v0
	v_lshlrev_b32_e32 v13, 2, v8
	ds_bpermute_b32 v8, v13, v6
	ds_bpermute_b32 v9, v13, v7
	;; [unrolled: 1-line block ×4, first 2 shown]
	s_and_b32 exec_lo, exec_lo, vcc_lo
	s_cbranch_execz .LBB136_23
; %bb.19:
	s_waitcnt lgkmcnt(2)
	v_add_f64 v[8:9], v[6:7], v[8:9]
	s_waitcnt lgkmcnt(0)
	v_add_f64 v[6:7], v[10:11], v[12:13]
	s_load_dwordx2 s[0:1], s[4:5], 0x38
	s_mov_b32 s2, exec_lo
	v_cmpx_eq_f64_e32 0, v[3:4]
	s_xor_b32 s2, exec_lo, s2
	s_cbranch_execz .LBB136_21
; %bb.20:
	v_lshlrev_b32_e32 v0, 1, v5
	v_mul_f64 v[3:4], v[1:2], v[8:9]
	v_mul_f64 v[5:6], v[1:2], v[6:7]
                                        ; implicit-def: $vgpr8_vgpr9
	v_ashrrev_i32_e32 v1, 31, v0
	v_lshlrev_b64 v[0:1], 3, v[0:1]
	s_waitcnt lgkmcnt(0)
	v_add_co_u32 v0, vcc_lo, s0, v0
	v_add_co_ci_u32_e64 v1, null, s1, v1, vcc_lo
	global_store_dwordx4 v[0:1], v[3:6], off
                                        ; implicit-def: $vgpr5
                                        ; implicit-def: $vgpr1_vgpr2
                                        ; implicit-def: $vgpr3_vgpr4
                                        ; implicit-def: $vgpr6_vgpr7
.LBB136_21:
	s_andn2_saveexec_b32 s2, s2
	s_cbranch_execz .LBB136_23
; %bb.22:
	v_lshlrev_b32_e32 v10, 1, v5
	v_mul_f64 v[8:9], v[1:2], v[8:9]
	v_mul_f64 v[5:6], v[1:2], v[6:7]
	v_ashrrev_i32_e32 v11, 31, v10
	v_lshlrev_b64 v[10:11], 3, v[10:11]
	s_waitcnt lgkmcnt(0)
	v_add_co_u32 v14, vcc_lo, s0, v10
	v_add_co_ci_u32_e64 v15, null, s1, v11, vcc_lo
	global_load_dwordx4 v[10:13], v[14:15], off
	s_waitcnt vmcnt(0)
	v_fma_f64 v[0:1], v[3:4], v[10:11], v[8:9]
	v_fma_f64 v[2:3], v[3:4], v[12:13], v[5:6]
	global_store_dwordx4 v[14:15], v[0:3], off
.LBB136_23:
	s_endpgm
	.section	.rodata,"a",@progbits
	.p2align	6, 0x0
	.amdhsa_kernel _ZN9rocsparseL19gebsrmvn_2xn_kernelILj128ELj14ELj4EdEEvi20rocsparse_direction_NS_24const_host_device_scalarIT2_EEPKiS6_PKS3_S8_S4_PS3_21rocsparse_index_base_b
		.amdhsa_group_segment_fixed_size 0
		.amdhsa_private_segment_fixed_size 0
		.amdhsa_kernarg_size 72
		.amdhsa_user_sgpr_count 6
		.amdhsa_user_sgpr_private_segment_buffer 1
		.amdhsa_user_sgpr_dispatch_ptr 0
		.amdhsa_user_sgpr_queue_ptr 0
		.amdhsa_user_sgpr_kernarg_segment_ptr 1
		.amdhsa_user_sgpr_dispatch_id 0
		.amdhsa_user_sgpr_flat_scratch_init 0
		.amdhsa_user_sgpr_private_segment_size 0
		.amdhsa_wavefront_size32 1
		.amdhsa_uses_dynamic_stack 0
		.amdhsa_system_sgpr_private_segment_wavefront_offset 0
		.amdhsa_system_sgpr_workgroup_id_x 1
		.amdhsa_system_sgpr_workgroup_id_y 0
		.amdhsa_system_sgpr_workgroup_id_z 0
		.amdhsa_system_sgpr_workgroup_info 0
		.amdhsa_system_vgpr_workitem_id 0
		.amdhsa_next_free_vgpr 98
		.amdhsa_next_free_sgpr 16
		.amdhsa_reserve_vcc 1
		.amdhsa_reserve_flat_scratch 0
		.amdhsa_float_round_mode_32 0
		.amdhsa_float_round_mode_16_64 0
		.amdhsa_float_denorm_mode_32 3
		.amdhsa_float_denorm_mode_16_64 3
		.amdhsa_dx10_clamp 1
		.amdhsa_ieee_mode 1
		.amdhsa_fp16_overflow 0
		.amdhsa_workgroup_processor_mode 1
		.amdhsa_memory_ordered 1
		.amdhsa_forward_progress 1
		.amdhsa_shared_vgpr_count 0
		.amdhsa_exception_fp_ieee_invalid_op 0
		.amdhsa_exception_fp_denorm_src 0
		.amdhsa_exception_fp_ieee_div_zero 0
		.amdhsa_exception_fp_ieee_overflow 0
		.amdhsa_exception_fp_ieee_underflow 0
		.amdhsa_exception_fp_ieee_inexact 0
		.amdhsa_exception_int_div_zero 0
	.end_amdhsa_kernel
	.section	.text._ZN9rocsparseL19gebsrmvn_2xn_kernelILj128ELj14ELj4EdEEvi20rocsparse_direction_NS_24const_host_device_scalarIT2_EEPKiS6_PKS3_S8_S4_PS3_21rocsparse_index_base_b,"axG",@progbits,_ZN9rocsparseL19gebsrmvn_2xn_kernelILj128ELj14ELj4EdEEvi20rocsparse_direction_NS_24const_host_device_scalarIT2_EEPKiS6_PKS3_S8_S4_PS3_21rocsparse_index_base_b,comdat
.Lfunc_end136:
	.size	_ZN9rocsparseL19gebsrmvn_2xn_kernelILj128ELj14ELj4EdEEvi20rocsparse_direction_NS_24const_host_device_scalarIT2_EEPKiS6_PKS3_S8_S4_PS3_21rocsparse_index_base_b, .Lfunc_end136-_ZN9rocsparseL19gebsrmvn_2xn_kernelILj128ELj14ELj4EdEEvi20rocsparse_direction_NS_24const_host_device_scalarIT2_EEPKiS6_PKS3_S8_S4_PS3_21rocsparse_index_base_b
                                        ; -- End function
	.set _ZN9rocsparseL19gebsrmvn_2xn_kernelILj128ELj14ELj4EdEEvi20rocsparse_direction_NS_24const_host_device_scalarIT2_EEPKiS6_PKS3_S8_S4_PS3_21rocsparse_index_base_b.num_vgpr, 98
	.set _ZN9rocsparseL19gebsrmvn_2xn_kernelILj128ELj14ELj4EdEEvi20rocsparse_direction_NS_24const_host_device_scalarIT2_EEPKiS6_PKS3_S8_S4_PS3_21rocsparse_index_base_b.num_agpr, 0
	.set _ZN9rocsparseL19gebsrmvn_2xn_kernelILj128ELj14ELj4EdEEvi20rocsparse_direction_NS_24const_host_device_scalarIT2_EEPKiS6_PKS3_S8_S4_PS3_21rocsparse_index_base_b.numbered_sgpr, 16
	.set _ZN9rocsparseL19gebsrmvn_2xn_kernelILj128ELj14ELj4EdEEvi20rocsparse_direction_NS_24const_host_device_scalarIT2_EEPKiS6_PKS3_S8_S4_PS3_21rocsparse_index_base_b.num_named_barrier, 0
	.set _ZN9rocsparseL19gebsrmvn_2xn_kernelILj128ELj14ELj4EdEEvi20rocsparse_direction_NS_24const_host_device_scalarIT2_EEPKiS6_PKS3_S8_S4_PS3_21rocsparse_index_base_b.private_seg_size, 0
	.set _ZN9rocsparseL19gebsrmvn_2xn_kernelILj128ELj14ELj4EdEEvi20rocsparse_direction_NS_24const_host_device_scalarIT2_EEPKiS6_PKS3_S8_S4_PS3_21rocsparse_index_base_b.uses_vcc, 1
	.set _ZN9rocsparseL19gebsrmvn_2xn_kernelILj128ELj14ELj4EdEEvi20rocsparse_direction_NS_24const_host_device_scalarIT2_EEPKiS6_PKS3_S8_S4_PS3_21rocsparse_index_base_b.uses_flat_scratch, 0
	.set _ZN9rocsparseL19gebsrmvn_2xn_kernelILj128ELj14ELj4EdEEvi20rocsparse_direction_NS_24const_host_device_scalarIT2_EEPKiS6_PKS3_S8_S4_PS3_21rocsparse_index_base_b.has_dyn_sized_stack, 0
	.set _ZN9rocsparseL19gebsrmvn_2xn_kernelILj128ELj14ELj4EdEEvi20rocsparse_direction_NS_24const_host_device_scalarIT2_EEPKiS6_PKS3_S8_S4_PS3_21rocsparse_index_base_b.has_recursion, 0
	.set _ZN9rocsparseL19gebsrmvn_2xn_kernelILj128ELj14ELj4EdEEvi20rocsparse_direction_NS_24const_host_device_scalarIT2_EEPKiS6_PKS3_S8_S4_PS3_21rocsparse_index_base_b.has_indirect_call, 0
	.section	.AMDGPU.csdata,"",@progbits
; Kernel info:
; codeLenInByte = 3396
; TotalNumSgprs: 18
; NumVgprs: 98
; ScratchSize: 0
; MemoryBound: 1
; FloatMode: 240
; IeeeMode: 1
; LDSByteSize: 0 bytes/workgroup (compile time only)
; SGPRBlocks: 0
; VGPRBlocks: 12
; NumSGPRsForWavesPerEU: 18
; NumVGPRsForWavesPerEU: 98
; Occupancy: 9
; WaveLimiterHint : 1
; COMPUTE_PGM_RSRC2:SCRATCH_EN: 0
; COMPUTE_PGM_RSRC2:USER_SGPR: 6
; COMPUTE_PGM_RSRC2:TRAP_HANDLER: 0
; COMPUTE_PGM_RSRC2:TGID_X_EN: 1
; COMPUTE_PGM_RSRC2:TGID_Y_EN: 0
; COMPUTE_PGM_RSRC2:TGID_Z_EN: 0
; COMPUTE_PGM_RSRC2:TIDIG_COMP_CNT: 0
	.section	.text._ZN9rocsparseL19gebsrmvn_2xn_kernelILj128ELj14ELj8EdEEvi20rocsparse_direction_NS_24const_host_device_scalarIT2_EEPKiS6_PKS3_S8_S4_PS3_21rocsparse_index_base_b,"axG",@progbits,_ZN9rocsparseL19gebsrmvn_2xn_kernelILj128ELj14ELj8EdEEvi20rocsparse_direction_NS_24const_host_device_scalarIT2_EEPKiS6_PKS3_S8_S4_PS3_21rocsparse_index_base_b,comdat
	.globl	_ZN9rocsparseL19gebsrmvn_2xn_kernelILj128ELj14ELj8EdEEvi20rocsparse_direction_NS_24const_host_device_scalarIT2_EEPKiS6_PKS3_S8_S4_PS3_21rocsparse_index_base_b ; -- Begin function _ZN9rocsparseL19gebsrmvn_2xn_kernelILj128ELj14ELj8EdEEvi20rocsparse_direction_NS_24const_host_device_scalarIT2_EEPKiS6_PKS3_S8_S4_PS3_21rocsparse_index_base_b
	.p2align	8
	.type	_ZN9rocsparseL19gebsrmvn_2xn_kernelILj128ELj14ELj8EdEEvi20rocsparse_direction_NS_24const_host_device_scalarIT2_EEPKiS6_PKS3_S8_S4_PS3_21rocsparse_index_base_b,@function
_ZN9rocsparseL19gebsrmvn_2xn_kernelILj128ELj14ELj8EdEEvi20rocsparse_direction_NS_24const_host_device_scalarIT2_EEPKiS6_PKS3_S8_S4_PS3_21rocsparse_index_base_b: ; @_ZN9rocsparseL19gebsrmvn_2xn_kernelILj128ELj14ELj8EdEEvi20rocsparse_direction_NS_24const_host_device_scalarIT2_EEPKiS6_PKS3_S8_S4_PS3_21rocsparse_index_base_b
; %bb.0:
	s_clause 0x2
	s_load_dwordx2 s[2:3], s[4:5], 0x40
	s_load_dwordx2 s[8:9], s[4:5], 0x8
	;; [unrolled: 1-line block ×3, first 2 shown]
	s_waitcnt lgkmcnt(0)
	s_bitcmp1_b32 s3, 0
	v_mov_b32_e32 v1, s8
	v_mov_b32_e32 v2, s9
	s_cselect_b32 s3, -1, 0
	s_and_b32 vcc_lo, exec_lo, s3
	s_xor_b32 s3, s3, -1
	s_cbranch_vccnz .LBB137_2
; %bb.1:
	v_mov_b32_e32 v1, s8
	v_mov_b32_e32 v2, s9
	flat_load_dwordx2 v[1:2], v[1:2]
.LBB137_2:
	v_mov_b32_e32 v4, s1
	v_mov_b32_e32 v3, s0
	s_andn2_b32 vcc_lo, exec_lo, s3
	s_cbranch_vccnz .LBB137_4
; %bb.3:
	v_mov_b32_e32 v4, s1
	v_mov_b32_e32 v3, s0
	flat_load_dwordx2 v[3:4], v[3:4]
.LBB137_4:
	s_waitcnt vmcnt(0) lgkmcnt(0)
	v_cmp_neq_f64_e32 vcc_lo, 0, v[1:2]
	v_cmp_neq_f64_e64 s0, 1.0, v[3:4]
	s_or_b32 s0, vcc_lo, s0
	s_and_saveexec_b32 s1, s0
	s_cbranch_execz .LBB137_23
; %bb.5:
	s_load_dwordx2 s[0:1], s[4:5], 0x0
	v_lshrrev_b32_e32 v5, 3, v0
	v_lshl_or_b32 v5, s6, 4, v5
	s_waitcnt lgkmcnt(0)
	v_cmp_gt_i32_e32 vcc_lo, s0, v5
	s_and_b32 exec_lo, exec_lo, vcc_lo
	s_cbranch_execz .LBB137_23
; %bb.6:
	s_load_dwordx8 s[8:15], s[4:5], 0x10
	v_ashrrev_i32_e32 v6, 31, v5
	v_and_b32_e32 v0, 7, v0
	s_cmp_lg_u32 s1, 0
	v_lshlrev_b64 v[6:7], 2, v[5:6]
	s_waitcnt lgkmcnt(0)
	v_add_co_u32 v6, vcc_lo, s8, v6
	v_add_co_ci_u32_e64 v7, null, s9, v7, vcc_lo
	global_load_dwordx2 v[6:7], v[6:7], off
	s_waitcnt vmcnt(0)
	v_subrev_nc_u32_e32 v6, s2, v6
	v_subrev_nc_u32_e32 v17, s2, v7
	v_add_nc_u32_e32 v6, v6, v0
	v_cmp_lt_i32_e64 s0, v6, v17
	s_cbranch_scc0 .LBB137_12
; %bb.7:
	v_mov_b32_e32 v8, 0
	v_mov_b32_e32 v10, 0
	;; [unrolled: 1-line block ×4, first 2 shown]
	s_and_saveexec_b32 s1, s0
	s_cbranch_execz .LBB137_11
; %bb.8:
	v_mad_u64_u32 v[12:13], null, v6, 28, 26
	v_mov_b32_e32 v8, 0
	v_mov_b32_e32 v10, 0
	;; [unrolled: 1-line block ×6, first 2 shown]
	s_mov_b32 s3, 0
.LBB137_9:                              ; =>This Inner Loop Header: Depth=1
	v_ashrrev_i32_e32 v16, 31, v15
	v_subrev_nc_u32_e32 v13, 26, v12
	v_mov_b32_e32 v91, v14
	v_lshlrev_b64 v[18:19], 2, v[15:16]
	v_add_nc_u32_e32 v15, 8, v15
	v_add_co_u32 v18, vcc_lo, s10, v18
	v_add_co_ci_u32_e64 v19, null, s11, v19, vcc_lo
	global_load_dword v7, v[18:19], off
	v_lshlrev_b64 v[18:19], 3, v[13:14]
	v_subrev_nc_u32_e32 v13, 22, v12
	v_lshlrev_b64 v[30:31], 3, v[13:14]
	v_add_co_u32 v22, vcc_lo, s12, v18
	v_add_co_ci_u32_e64 v23, null, s13, v19, vcc_lo
	s_clause 0x1
	global_load_dwordx4 v[18:21], v[22:23], off offset:16
	global_load_dwordx4 v[22:25], v[22:23], off
	s_waitcnt vmcnt(2)
	v_subrev_nc_u32_e32 v7, s2, v7
	v_mul_lo_u32 v90, v7, 14
	v_lshlrev_b64 v[26:27], 3, v[90:91]
	v_add_nc_u32_e32 v13, 2, v90
	v_lshlrev_b64 v[32:33], 3, v[13:14]
	v_add_co_u32 v26, vcc_lo, s14, v26
	v_add_co_ci_u32_e64 v27, null, s15, v27, vcc_lo
	v_add_co_u32 v30, vcc_lo, s12, v30
	v_add_co_ci_u32_e64 v31, null, s13, v31, vcc_lo
	global_load_dwordx4 v[26:29], v[26:27], off
	v_add_co_u32 v34, vcc_lo, s14, v32
	v_add_co_ci_u32_e64 v35, null, s15, v33, vcc_lo
	global_load_dwordx4 v[30:33], v[30:31], off
	global_load_dwordx4 v[34:37], v[34:35], off
	v_subrev_nc_u32_e32 v13, 20, v12
	v_lshlrev_b64 v[38:39], 3, v[13:14]
	v_subrev_nc_u32_e32 v13, 18, v12
	v_add_co_u32 v38, vcc_lo, s12, v38
	v_add_co_ci_u32_e64 v39, null, s13, v39, vcc_lo
	v_lshlrev_b64 v[42:43], 3, v[13:14]
	v_add_nc_u32_e32 v13, 4, v90
	global_load_dwordx4 v[38:41], v[38:39], off
	v_lshlrev_b64 v[44:45], 3, v[13:14]
	v_add_co_u32 v42, vcc_lo, s12, v42
	v_add_co_ci_u32_e64 v43, null, s13, v43, vcc_lo
	v_add_nc_u32_e32 v13, -16, v12
	v_add_co_u32 v46, vcc_lo, s14, v44
	v_add_co_ci_u32_e64 v47, null, s15, v45, vcc_lo
	global_load_dwordx4 v[42:45], v[42:43], off
	global_load_dwordx4 v[46:49], v[46:47], off
	v_lshlrev_b64 v[50:51], 3, v[13:14]
	v_add_nc_u32_e32 v13, -14, v12
	v_add_co_u32 v50, vcc_lo, s12, v50
	v_add_co_ci_u32_e64 v51, null, s13, v51, vcc_lo
	v_lshlrev_b64 v[54:55], 3, v[13:14]
	v_add_nc_u32_e32 v13, 6, v90
	global_load_dwordx4 v[50:53], v[50:51], off
	v_lshlrev_b64 v[56:57], 3, v[13:14]
	v_add_co_u32 v54, vcc_lo, s12, v54
	v_add_co_ci_u32_e64 v55, null, s13, v55, vcc_lo
	v_add_nc_u32_e32 v13, -12, v12
	v_add_co_u32 v58, vcc_lo, s14, v56
	v_add_co_ci_u32_e64 v59, null, s15, v57, vcc_lo
	global_load_dwordx4 v[54:57], v[54:55], off
	global_load_dwordx4 v[58:61], v[58:59], off
	v_lshlrev_b64 v[62:63], 3, v[13:14]
	v_add_nc_u32_e32 v13, -10, v12
	v_add_co_u32 v62, vcc_lo, s12, v62
	v_add_co_ci_u32_e64 v63, null, s13, v63, vcc_lo
	v_lshlrev_b64 v[66:67], 3, v[13:14]
	v_add_nc_u32_e32 v13, 8, v90
	global_load_dwordx4 v[62:65], v[62:63], off
	v_lshlrev_b64 v[68:69], 3, v[13:14]
	v_add_co_u32 v66, vcc_lo, s12, v66
	v_add_co_ci_u32_e64 v67, null, s13, v67, vcc_lo
	v_add_nc_u32_e32 v13, -8, v12
	v_add_co_u32 v70, vcc_lo, s14, v68
	v_add_co_ci_u32_e64 v71, null, s15, v69, vcc_lo
	global_load_dwordx4 v[66:69], v[66:67], off
	global_load_dwordx4 v[70:73], v[70:71], off
	v_lshlrev_b64 v[74:75], 3, v[13:14]
	v_add_nc_u32_e32 v13, -6, v12
	v_add_co_u32 v74, vcc_lo, s12, v74
	v_add_co_ci_u32_e64 v75, null, s13, v75, vcc_lo
	v_lshlrev_b64 v[78:79], 3, v[13:14]
	v_add_nc_u32_e32 v13, 10, v90
	global_load_dwordx4 v[74:77], v[74:75], off
	v_lshlrev_b64 v[80:81], 3, v[13:14]
	v_add_co_u32 v78, vcc_lo, s12, v78
	v_add_co_ci_u32_e64 v79, null, s13, v79, vcc_lo
	v_add_nc_u32_e32 v13, -4, v12
	v_add_co_u32 v82, vcc_lo, s14, v80
	v_add_co_ci_u32_e64 v83, null, s15, v81, vcc_lo
	global_load_dwordx4 v[78:81], v[78:79], off
	global_load_dwordx4 v[82:85], v[82:83], off
	v_lshlrev_b64 v[86:87], 3, v[13:14]
	v_add_nc_u32_e32 v13, -2, v12
	v_add_co_u32 v86, vcc_lo, s12, v86
	v_add_co_ci_u32_e64 v87, null, s13, v87, vcc_lo
	v_lshlrev_b64 v[91:92], 3, v[13:14]
	v_add_nc_u32_e32 v13, 12, v90
	global_load_dwordx4 v[86:89], v[86:87], off
	v_lshlrev_b64 v[93:94], 3, v[13:14]
	v_add_co_u32 v90, vcc_lo, s12, v91
	v_add_co_ci_u32_e64 v91, null, s13, v92, vcc_lo
	v_mov_b32_e32 v13, v14
	v_add_co_u32 v95, vcc_lo, s14, v93
	v_add_co_ci_u32_e64 v96, null, s15, v94, vcc_lo
	global_load_dwordx4 v[90:93], v[90:91], off
	global_load_dwordx4 v[94:97], v[95:96], off
	s_waitcnt vmcnt(17)
	v_fma_f64 v[22:23], v[22:23], v[26:27], v[8:9]
	v_lshlrev_b64 v[7:8], 3, v[12:13]
	v_fma_f64 v[24:25], v[24:25], v[26:27], v[10:11]
	v_add_nc_u32_e32 v12, 0xe0, v12
	v_add_co_u32 v7, vcc_lo, s12, v7
	v_add_co_ci_u32_e64 v8, null, s13, v8, vcc_lo
	v_cmp_ge_i32_e32 vcc_lo, v15, v17
	global_load_dwordx4 v[8:11], v[7:8], off
	s_or_b32 s3, vcc_lo, s3
	v_fma_f64 v[18:19], v[18:19], v[28:29], v[22:23]
	v_fma_f64 v[20:21], v[20:21], v[28:29], v[24:25]
	s_waitcnt vmcnt(16)
	v_fma_f64 v[18:19], v[30:31], v[34:35], v[18:19]
	v_fma_f64 v[20:21], v[32:33], v[34:35], v[20:21]
	s_waitcnt vmcnt(15)
	;; [unrolled: 3-line block ×12, first 2 shown]
	v_fma_f64 v[8:9], v[8:9], v[96:97], v[18:19]
	v_fma_f64 v[10:11], v[10:11], v[96:97], v[20:21]
	s_andn2_b32 exec_lo, exec_lo, s3
	s_cbranch_execnz .LBB137_9
; %bb.10:
	s_or_b32 exec_lo, exec_lo, s3
.LBB137_11:
	s_or_b32 exec_lo, exec_lo, s1
	s_cbranch_execz .LBB137_13
	s_branch .LBB137_18
.LBB137_12:
                                        ; implicit-def: $vgpr8_vgpr9
                                        ; implicit-def: $vgpr10_vgpr11
.LBB137_13:
	v_mov_b32_e32 v8, 0
	v_mov_b32_e32 v10, 0
	;; [unrolled: 1-line block ×4, first 2 shown]
	s_and_saveexec_b32 s1, s0
	s_cbranch_execz .LBB137_17
; %bb.14:
	v_mad_u64_u32 v[12:13], null, v6, 28, 27
	v_mov_b32_e32 v8, 0
	v_mov_b32_e32 v10, 0
	;; [unrolled: 1-line block ×5, first 2 shown]
	s_mov_b32 s0, 0
.LBB137_15:                             ; =>This Inner Loop Header: Depth=1
	v_ashrrev_i32_e32 v7, 31, v6
	v_add_nc_u32_e32 v18, -13, v12
	v_mov_b32_e32 v19, v15
	v_mov_b32_e32 v43, v15
	v_lshlrev_b64 v[13:14], 2, v[6:7]
	v_add_nc_u32_e32 v6, 8, v6
	v_lshlrev_b64 v[18:19], 3, v[18:19]
	v_add_co_u32 v13, vcc_lo, s10, v13
	v_add_co_ci_u32_e64 v14, null, s11, v14, vcc_lo
	global_load_dword v7, v[13:14], off
	v_subrev_nc_u32_e32 v14, 27, v12
	v_mov_b32_e32 v13, v15
	v_lshlrev_b64 v[20:21], 3, v[14:15]
	v_add_nc_u32_e32 v14, -12, v12
	v_lshlrev_b64 v[22:23], 3, v[14:15]
	v_add_co_u32 v24, vcc_lo, s12, v20
	v_add_co_ci_u32_e64 v25, null, s13, v21, vcc_lo
	v_add_co_u32 v26, vcc_lo, s12, v18
	v_add_co_ci_u32_e64 v27, null, s13, v19, vcc_lo
	;; [unrolled: 2-line block ×3, first 2 shown]
	s_clause 0x3
	global_load_dwordx4 v[18:21], v[24:25], off offset:16
	global_load_dwordx4 v[22:25], v[24:25], off
	global_load_dwordx2 v[44:45], v[26:27], off
	global_load_dwordx2 v[46:47], v[28:29], off
	s_waitcnt vmcnt(4)
	v_subrev_nc_u32_e32 v7, s2, v7
	v_mul_lo_u32 v42, v7, 14
	v_lshlrev_b64 v[26:27], 3, v[42:43]
	v_add_nc_u32_e32 v14, 2, v42
	v_lshlrev_b64 v[30:31], 3, v[14:15]
	v_add_co_u32 v26, vcc_lo, s14, v26
	v_add_co_ci_u32_e64 v27, null, s15, v27, vcc_lo
	v_add_nc_u32_e32 v14, -11, v12
	v_add_co_u32 v30, vcc_lo, s14, v30
	global_load_dwordx4 v[26:29], v[26:27], off
	v_add_co_ci_u32_e64 v31, null, s15, v31, vcc_lo
	v_lshlrev_b64 v[34:35], 3, v[14:15]
	v_add_nc_u32_e32 v14, -10, v12
	global_load_dwordx4 v[30:33], v[30:31], off
	v_add_co_u32 v34, vcc_lo, s12, v34
	v_add_co_ci_u32_e64 v35, null, s13, v35, vcc_lo
	v_lshlrev_b64 v[36:37], 3, v[14:15]
	v_subrev_nc_u32_e32 v14, 23, v12
	global_load_dwordx2 v[48:49], v[34:35], off
	v_add_co_u32 v34, vcc_lo, s12, v36
	v_add_co_ci_u32_e64 v35, null, s13, v37, vcc_lo
	v_lshlrev_b64 v[38:39], 3, v[14:15]
	v_add_nc_u32_e32 v14, 4, v42
	global_load_dwordx2 v[50:51], v[34:35], off
	v_lshlrev_b64 v[36:37], 3, v[14:15]
	v_add_nc_u32_e32 v14, -9, v12
	v_add_co_u32 v34, vcc_lo, s12, v38
	v_add_co_ci_u32_e64 v35, null, s13, v39, vcc_lo
	v_lshlrev_b64 v[38:39], 3, v[14:15]
	v_subrev_nc_u32_e32 v14, 22, v12
	v_add_co_u32 v36, vcc_lo, s14, v36
	v_add_co_ci_u32_e64 v37, null, s15, v37, vcc_lo
	v_lshlrev_b64 v[40:41], 3, v[14:15]
	v_add_co_u32 v38, vcc_lo, s12, v38
	v_add_co_ci_u32_e64 v39, null, s13, v39, vcc_lo
	global_load_dwordx2 v[52:53], v[34:35], off
	v_add_co_u32 v40, vcc_lo, s12, v40
	v_add_co_ci_u32_e64 v41, null, s13, v41, vcc_lo
	global_load_dwordx2 v[56:57], v[38:39], off
	v_add_nc_u32_e32 v14, -8, v12
	global_load_dwordx2 v[58:59], v[40:41], off
	global_load_dwordx4 v[34:37], v[36:37], off
	v_lshlrev_b64 v[54:55], 3, v[14:15]
	v_subrev_nc_u32_e32 v14, 21, v12
	v_add_co_u32 v54, vcc_lo, s12, v54
	v_lshlrev_b64 v[38:39], 3, v[14:15]
	v_add_nc_u32_e32 v14, 6, v42
	v_add_co_ci_u32_e64 v55, null, s13, v55, vcc_lo
	v_lshlrev_b64 v[40:41], 3, v[14:15]
	v_add_nc_u32_e32 v14, -7, v12
	global_load_dwordx2 v[54:55], v[54:55], off
	v_add_co_u32 v38, vcc_lo, s12, v38
	v_add_co_ci_u32_e64 v39, null, s13, v39, vcc_lo
	v_lshlrev_b64 v[60:61], 3, v[14:15]
	v_subrev_nc_u32_e32 v14, 20, v12
	v_add_co_u32 v40, vcc_lo, s14, v40
	v_add_co_ci_u32_e64 v41, null, s15, v41, vcc_lo
	v_lshlrev_b64 v[64:65], 3, v[14:15]
	v_add_co_u32 v60, vcc_lo, s12, v60
	v_add_co_ci_u32_e64 v61, null, s13, v61, vcc_lo
	v_add_nc_u32_e32 v14, -6, v12
	v_add_co_u32 v64, vcc_lo, s12, v64
	v_add_co_ci_u32_e64 v65, null, s13, v65, vcc_lo
	global_load_dwordx2 v[60:61], v[60:61], off
	v_lshlrev_b64 v[66:67], 3, v[14:15]
	v_subrev_nc_u32_e32 v14, 19, v12
	s_clause 0x1
	global_load_dwordx2 v[64:65], v[64:65], off
	global_load_dwordx2 v[62:63], v[38:39], off
	global_load_dwordx4 v[38:41], v[40:41], off
	v_add_co_u32 v66, vcc_lo, s12, v66
	v_lshlrev_b64 v[68:69], 3, v[14:15]
	v_add_nc_u32_e32 v14, 8, v42
	v_add_co_ci_u32_e64 v67, null, s13, v67, vcc_lo
	v_lshlrev_b64 v[70:71], 3, v[14:15]
	v_add_nc_u32_e32 v14, -5, v12
	global_load_dwordx2 v[66:67], v[66:67], off
	v_add_co_u32 v68, vcc_lo, s12, v68
	v_add_co_ci_u32_e64 v69, null, s13, v69, vcc_lo
	v_lshlrev_b64 v[72:73], 3, v[14:15]
	v_subrev_nc_u32_e32 v14, 18, v12
	v_add_co_u32 v70, vcc_lo, s14, v70
	v_add_co_ci_u32_e64 v71, null, s15, v71, vcc_lo
	v_lshlrev_b64 v[74:75], 3, v[14:15]
	v_add_nc_u32_e32 v14, -4, v12
	v_add_co_u32 v72, vcc_lo, s12, v72
	v_add_co_ci_u32_e64 v73, null, s13, v73, vcc_lo
	v_lshlrev_b64 v[76:77], 3, v[14:15]
	v_add_co_u32 v74, vcc_lo, s12, v74
	v_add_co_ci_u32_e64 v75, null, s13, v75, vcc_lo
	v_subrev_nc_u32_e32 v14, 17, v12
	v_add_co_u32 v76, vcc_lo, s12, v76
	global_load_dwordx2 v[68:69], v[68:69], off
	v_add_co_ci_u32_e64 v77, null, s13, v77, vcc_lo
	v_lshlrev_b64 v[78:79], 3, v[14:15]
	v_add_nc_u32_e32 v14, 10, v42
	v_lshlrev_b64 v[80:81], 3, v[14:15]
	v_add_nc_u32_e32 v14, -3, v12
	v_add_co_u32 v78, vcc_lo, s12, v78
	v_add_co_ci_u32_e64 v79, null, s13, v79, vcc_lo
	v_add_co_u32 v80, vcc_lo, s14, v80
	v_add_co_ci_u32_e64 v81, null, s15, v81, vcc_lo
	s_waitcnt vmcnt(14)
	v_fma_f64 v[7:8], v[22:23], v[26:27], v[8:9]
	v_fma_f64 v[82:83], v[24:25], v[28:29], v[7:8]
	global_load_dwordx4 v[22:25], v[70:71], off
	s_clause 0x2
	global_load_dwordx2 v[70:71], v[72:73], off
	global_load_dwordx2 v[72:73], v[74:75], off
	;; [unrolled: 1-line block ×3, first 2 shown]
	v_lshlrev_b64 v[7:8], 3, v[14:15]
	v_add_nc_u32_e32 v14, -16, v12
	global_load_dwordx2 v[76:77], v[78:79], off
	v_add_co_u32 v84, vcc_lo, s12, v7
	v_add_co_ci_u32_e64 v85, null, s13, v8, vcc_lo
	v_fma_f64 v[7:8], v[44:45], v[26:27], v[10:11]
	v_lshlrev_b64 v[26:27], 3, v[14:15]
	v_add_nc_u32_e32 v14, -2, v12
	v_lshlrev_b64 v[43:44], 3, v[14:15]
	v_add_nc_u32_e32 v14, -15, v12
	v_add_co_u32 v26, vcc_lo, s12, v26
	s_waitcnt vmcnt(18)
	v_fma_f64 v[18:19], v[18:19], v[30:31], v[82:83]
	v_add_co_ci_u32_e64 v27, null, s13, v27, vcc_lo
	v_lshlrev_b64 v[78:79], 3, v[14:15]
	v_add_nc_u32_e32 v14, 12, v42
	v_add_co_u32 v42, vcc_lo, s12, v43
	v_add_co_ci_u32_e64 v43, null, s13, v44, vcc_lo
	global_load_dwordx2 v[26:27], v[26:27], off
	v_add_co_u32 v78, vcc_lo, s12, v78
	v_fma_f64 v[28:29], v[46:47], v[28:29], v[7:8]
	global_load_dwordx4 v[7:10], v[80:81], off
	s_clause 0x1
	global_load_dwordx2 v[45:46], v[84:85], off
	global_load_dwordx2 v[42:43], v[42:43], off
	v_lshlrev_b64 v[80:81], 3, v[14:15]
	v_add_nc_u32_e32 v14, -1, v12
	v_add_co_ci_u32_e64 v79, null, s13, v79, vcc_lo
	v_fma_f64 v[82:83], v[20:21], v[32:33], v[18:19]
	v_lshlrev_b64 v[18:19], 3, v[14:15]
	v_add_co_u32 v20, vcc_lo, s14, v80
	v_add_co_ci_u32_e64 v21, null, s15, v81, vcc_lo
	global_load_dwordx2 v[78:79], v[78:79], off
	v_add_co_u32 v80, vcc_lo, s12, v18
	v_add_co_ci_u32_e64 v81, null, s13, v19, vcc_lo
	global_load_dwordx4 v[18:21], v[20:21], off
	global_load_dwordx2 v[80:81], v[80:81], off
	s_waitcnt vmcnt(24)
	v_fma_f64 v[28:29], v[48:49], v[30:31], v[28:29]
	v_add_nc_u32_e32 v14, -14, v12
	v_lshlrev_b64 v[30:31], 3, v[12:13]
	v_add_nc_u32_e32 v12, 0xe0, v12
	v_add_co_u32 v13, vcc_lo, s12, v30
	s_waitcnt vmcnt(23)
	v_fma_f64 v[28:29], v[50:51], v[32:33], v[28:29]
	v_lshlrev_b64 v[32:33], 3, v[14:15]
	v_add_co_ci_u32_e64 v14, null, s13, v31, vcc_lo
	v_add_co_u32 v30, vcc_lo, s12, v32
	v_add_co_ci_u32_e64 v31, null, s13, v33, vcc_lo
	s_clause 0x1
	global_load_dwordx2 v[30:31], v[30:31], off
	global_load_dwordx2 v[13:14], v[13:14], off
	s_waitcnt vmcnt(21)
	v_fma_f64 v[32:33], v[52:53], v[34:35], v[82:83]
	v_cmp_ge_i32_e32 vcc_lo, v6, v17
	s_or_b32 s0, vcc_lo, s0
	v_fma_f64 v[28:29], v[56:57], v[34:35], v[28:29]
	v_fma_f64 v[32:33], v[58:59], v[36:37], v[32:33]
	s_waitcnt vmcnt(20)
	v_fma_f64 v[28:29], v[54:55], v[36:37], v[28:29]
	s_waitcnt vmcnt(16)
	v_fma_f64 v[32:33], v[62:63], v[38:39], v[32:33]
	v_fma_f64 v[28:29], v[60:61], v[38:39], v[28:29]
	;; [unrolled: 1-line block ×3, first 2 shown]
	s_waitcnt vmcnt(15)
	v_fma_f64 v[28:29], v[66:67], v[40:41], v[28:29]
	s_waitcnt vmcnt(13)
	v_fma_f64 v[32:33], v[68:69], v[22:23], v[32:33]
	;; [unrolled: 2-line block ×7, first 2 shown]
	v_fma_f64 v[22:23], v[26:27], v[9:10], v[24:25]
	s_waitcnt vmcnt(5)
	v_fma_f64 v[7:8], v[42:43], v[9:10], v[7:8]
	s_waitcnt vmcnt(3)
	;; [unrolled: 2-line block ×5, first 2 shown]
	v_fma_f64 v[10:11], v[13:14], v[20:21], v[18:19]
	s_andn2_b32 exec_lo, exec_lo, s0
	s_cbranch_execnz .LBB137_15
; %bb.16:
	s_or_b32 exec_lo, exec_lo, s0
.LBB137_17:
	s_or_b32 exec_lo, exec_lo, s1
.LBB137_18:
	v_mbcnt_lo_u32_b32 v14, -1, 0
	v_xor_b32_e32 v6, 4, v14
	v_cmp_gt_i32_e32 vcc_lo, 32, v6
	v_cndmask_b32_e32 v6, v14, v6, vcc_lo
	v_lshlrev_b32_e32 v13, 2, v6
	ds_bpermute_b32 v6, v13, v8
	ds_bpermute_b32 v7, v13, v9
	ds_bpermute_b32 v12, v13, v10
	ds_bpermute_b32 v13, v13, v11
	s_waitcnt lgkmcnt(2)
	v_add_f64 v[6:7], v[8:9], v[6:7]
	s_waitcnt lgkmcnt(0)
	v_add_f64 v[8:9], v[10:11], v[12:13]
	v_xor_b32_e32 v10, 2, v14
	v_cmp_gt_i32_e32 vcc_lo, 32, v10
	v_cndmask_b32_e32 v10, v14, v10, vcc_lo
	v_lshlrev_b32_e32 v13, 2, v10
	ds_bpermute_b32 v10, v13, v6
	ds_bpermute_b32 v11, v13, v7
	;; [unrolled: 1-line block ×4, first 2 shown]
	s_waitcnt lgkmcnt(2)
	v_add_f64 v[6:7], v[6:7], v[10:11]
	s_waitcnt lgkmcnt(0)
	v_add_f64 v[10:11], v[8:9], v[12:13]
	v_xor_b32_e32 v8, 1, v14
	v_cmp_gt_i32_e32 vcc_lo, 32, v8
	v_cndmask_b32_e32 v8, v14, v8, vcc_lo
	v_cmp_eq_u32_e32 vcc_lo, 7, v0
	v_lshlrev_b32_e32 v13, 2, v8
	ds_bpermute_b32 v8, v13, v6
	ds_bpermute_b32 v9, v13, v7
	;; [unrolled: 1-line block ×4, first 2 shown]
	s_and_b32 exec_lo, exec_lo, vcc_lo
	s_cbranch_execz .LBB137_23
; %bb.19:
	s_waitcnt lgkmcnt(2)
	v_add_f64 v[8:9], v[6:7], v[8:9]
	s_waitcnt lgkmcnt(0)
	v_add_f64 v[6:7], v[10:11], v[12:13]
	s_load_dwordx2 s[0:1], s[4:5], 0x38
	s_mov_b32 s2, exec_lo
	v_cmpx_eq_f64_e32 0, v[3:4]
	s_xor_b32 s2, exec_lo, s2
	s_cbranch_execz .LBB137_21
; %bb.20:
	v_lshlrev_b32_e32 v0, 1, v5
	v_mul_f64 v[3:4], v[1:2], v[8:9]
	v_mul_f64 v[5:6], v[1:2], v[6:7]
                                        ; implicit-def: $vgpr8_vgpr9
	v_ashrrev_i32_e32 v1, 31, v0
	v_lshlrev_b64 v[0:1], 3, v[0:1]
	s_waitcnt lgkmcnt(0)
	v_add_co_u32 v0, vcc_lo, s0, v0
	v_add_co_ci_u32_e64 v1, null, s1, v1, vcc_lo
	global_store_dwordx4 v[0:1], v[3:6], off
                                        ; implicit-def: $vgpr5
                                        ; implicit-def: $vgpr1_vgpr2
                                        ; implicit-def: $vgpr3_vgpr4
                                        ; implicit-def: $vgpr6_vgpr7
.LBB137_21:
	s_andn2_saveexec_b32 s2, s2
	s_cbranch_execz .LBB137_23
; %bb.22:
	v_lshlrev_b32_e32 v10, 1, v5
	v_mul_f64 v[8:9], v[1:2], v[8:9]
	v_mul_f64 v[5:6], v[1:2], v[6:7]
	v_ashrrev_i32_e32 v11, 31, v10
	v_lshlrev_b64 v[10:11], 3, v[10:11]
	s_waitcnt lgkmcnt(0)
	v_add_co_u32 v14, vcc_lo, s0, v10
	v_add_co_ci_u32_e64 v15, null, s1, v11, vcc_lo
	global_load_dwordx4 v[10:13], v[14:15], off
	s_waitcnt vmcnt(0)
	v_fma_f64 v[0:1], v[3:4], v[10:11], v[8:9]
	v_fma_f64 v[2:3], v[3:4], v[12:13], v[5:6]
	global_store_dwordx4 v[14:15], v[0:3], off
.LBB137_23:
	s_endpgm
	.section	.rodata,"a",@progbits
	.p2align	6, 0x0
	.amdhsa_kernel _ZN9rocsparseL19gebsrmvn_2xn_kernelILj128ELj14ELj8EdEEvi20rocsparse_direction_NS_24const_host_device_scalarIT2_EEPKiS6_PKS3_S8_S4_PS3_21rocsparse_index_base_b
		.amdhsa_group_segment_fixed_size 0
		.amdhsa_private_segment_fixed_size 0
		.amdhsa_kernarg_size 72
		.amdhsa_user_sgpr_count 6
		.amdhsa_user_sgpr_private_segment_buffer 1
		.amdhsa_user_sgpr_dispatch_ptr 0
		.amdhsa_user_sgpr_queue_ptr 0
		.amdhsa_user_sgpr_kernarg_segment_ptr 1
		.amdhsa_user_sgpr_dispatch_id 0
		.amdhsa_user_sgpr_flat_scratch_init 0
		.amdhsa_user_sgpr_private_segment_size 0
		.amdhsa_wavefront_size32 1
		.amdhsa_uses_dynamic_stack 0
		.amdhsa_system_sgpr_private_segment_wavefront_offset 0
		.amdhsa_system_sgpr_workgroup_id_x 1
		.amdhsa_system_sgpr_workgroup_id_y 0
		.amdhsa_system_sgpr_workgroup_id_z 0
		.amdhsa_system_sgpr_workgroup_info 0
		.amdhsa_system_vgpr_workitem_id 0
		.amdhsa_next_free_vgpr 98
		.amdhsa_next_free_sgpr 16
		.amdhsa_reserve_vcc 1
		.amdhsa_reserve_flat_scratch 0
		.amdhsa_float_round_mode_32 0
		.amdhsa_float_round_mode_16_64 0
		.amdhsa_float_denorm_mode_32 3
		.amdhsa_float_denorm_mode_16_64 3
		.amdhsa_dx10_clamp 1
		.amdhsa_ieee_mode 1
		.amdhsa_fp16_overflow 0
		.amdhsa_workgroup_processor_mode 1
		.amdhsa_memory_ordered 1
		.amdhsa_forward_progress 1
		.amdhsa_shared_vgpr_count 0
		.amdhsa_exception_fp_ieee_invalid_op 0
		.amdhsa_exception_fp_denorm_src 0
		.amdhsa_exception_fp_ieee_div_zero 0
		.amdhsa_exception_fp_ieee_overflow 0
		.amdhsa_exception_fp_ieee_underflow 0
		.amdhsa_exception_fp_ieee_inexact 0
		.amdhsa_exception_int_div_zero 0
	.end_amdhsa_kernel
	.section	.text._ZN9rocsparseL19gebsrmvn_2xn_kernelILj128ELj14ELj8EdEEvi20rocsparse_direction_NS_24const_host_device_scalarIT2_EEPKiS6_PKS3_S8_S4_PS3_21rocsparse_index_base_b,"axG",@progbits,_ZN9rocsparseL19gebsrmvn_2xn_kernelILj128ELj14ELj8EdEEvi20rocsparse_direction_NS_24const_host_device_scalarIT2_EEPKiS6_PKS3_S8_S4_PS3_21rocsparse_index_base_b,comdat
.Lfunc_end137:
	.size	_ZN9rocsparseL19gebsrmvn_2xn_kernelILj128ELj14ELj8EdEEvi20rocsparse_direction_NS_24const_host_device_scalarIT2_EEPKiS6_PKS3_S8_S4_PS3_21rocsparse_index_base_b, .Lfunc_end137-_ZN9rocsparseL19gebsrmvn_2xn_kernelILj128ELj14ELj8EdEEvi20rocsparse_direction_NS_24const_host_device_scalarIT2_EEPKiS6_PKS3_S8_S4_PS3_21rocsparse_index_base_b
                                        ; -- End function
	.set _ZN9rocsparseL19gebsrmvn_2xn_kernelILj128ELj14ELj8EdEEvi20rocsparse_direction_NS_24const_host_device_scalarIT2_EEPKiS6_PKS3_S8_S4_PS3_21rocsparse_index_base_b.num_vgpr, 98
	.set _ZN9rocsparseL19gebsrmvn_2xn_kernelILj128ELj14ELj8EdEEvi20rocsparse_direction_NS_24const_host_device_scalarIT2_EEPKiS6_PKS3_S8_S4_PS3_21rocsparse_index_base_b.num_agpr, 0
	.set _ZN9rocsparseL19gebsrmvn_2xn_kernelILj128ELj14ELj8EdEEvi20rocsparse_direction_NS_24const_host_device_scalarIT2_EEPKiS6_PKS3_S8_S4_PS3_21rocsparse_index_base_b.numbered_sgpr, 16
	.set _ZN9rocsparseL19gebsrmvn_2xn_kernelILj128ELj14ELj8EdEEvi20rocsparse_direction_NS_24const_host_device_scalarIT2_EEPKiS6_PKS3_S8_S4_PS3_21rocsparse_index_base_b.num_named_barrier, 0
	.set _ZN9rocsparseL19gebsrmvn_2xn_kernelILj128ELj14ELj8EdEEvi20rocsparse_direction_NS_24const_host_device_scalarIT2_EEPKiS6_PKS3_S8_S4_PS3_21rocsparse_index_base_b.private_seg_size, 0
	.set _ZN9rocsparseL19gebsrmvn_2xn_kernelILj128ELj14ELj8EdEEvi20rocsparse_direction_NS_24const_host_device_scalarIT2_EEPKiS6_PKS3_S8_S4_PS3_21rocsparse_index_base_b.uses_vcc, 1
	.set _ZN9rocsparseL19gebsrmvn_2xn_kernelILj128ELj14ELj8EdEEvi20rocsparse_direction_NS_24const_host_device_scalarIT2_EEPKiS6_PKS3_S8_S4_PS3_21rocsparse_index_base_b.uses_flat_scratch, 0
	.set _ZN9rocsparseL19gebsrmvn_2xn_kernelILj128ELj14ELj8EdEEvi20rocsparse_direction_NS_24const_host_device_scalarIT2_EEPKiS6_PKS3_S8_S4_PS3_21rocsparse_index_base_b.has_dyn_sized_stack, 0
	.set _ZN9rocsparseL19gebsrmvn_2xn_kernelILj128ELj14ELj8EdEEvi20rocsparse_direction_NS_24const_host_device_scalarIT2_EEPKiS6_PKS3_S8_S4_PS3_21rocsparse_index_base_b.has_recursion, 0
	.set _ZN9rocsparseL19gebsrmvn_2xn_kernelILj128ELj14ELj8EdEEvi20rocsparse_direction_NS_24const_host_device_scalarIT2_EEPKiS6_PKS3_S8_S4_PS3_21rocsparse_index_base_b.has_indirect_call, 0
	.section	.AMDGPU.csdata,"",@progbits
; Kernel info:
; codeLenInByte = 3468
; TotalNumSgprs: 18
; NumVgprs: 98
; ScratchSize: 0
; MemoryBound: 1
; FloatMode: 240
; IeeeMode: 1
; LDSByteSize: 0 bytes/workgroup (compile time only)
; SGPRBlocks: 0
; VGPRBlocks: 12
; NumSGPRsForWavesPerEU: 18
; NumVGPRsForWavesPerEU: 98
; Occupancy: 9
; WaveLimiterHint : 1
; COMPUTE_PGM_RSRC2:SCRATCH_EN: 0
; COMPUTE_PGM_RSRC2:USER_SGPR: 6
; COMPUTE_PGM_RSRC2:TRAP_HANDLER: 0
; COMPUTE_PGM_RSRC2:TGID_X_EN: 1
; COMPUTE_PGM_RSRC2:TGID_Y_EN: 0
; COMPUTE_PGM_RSRC2:TGID_Z_EN: 0
; COMPUTE_PGM_RSRC2:TIDIG_COMP_CNT: 0
	.section	.text._ZN9rocsparseL19gebsrmvn_2xn_kernelILj128ELj14ELj16EdEEvi20rocsparse_direction_NS_24const_host_device_scalarIT2_EEPKiS6_PKS3_S8_S4_PS3_21rocsparse_index_base_b,"axG",@progbits,_ZN9rocsparseL19gebsrmvn_2xn_kernelILj128ELj14ELj16EdEEvi20rocsparse_direction_NS_24const_host_device_scalarIT2_EEPKiS6_PKS3_S8_S4_PS3_21rocsparse_index_base_b,comdat
	.globl	_ZN9rocsparseL19gebsrmvn_2xn_kernelILj128ELj14ELj16EdEEvi20rocsparse_direction_NS_24const_host_device_scalarIT2_EEPKiS6_PKS3_S8_S4_PS3_21rocsparse_index_base_b ; -- Begin function _ZN9rocsparseL19gebsrmvn_2xn_kernelILj128ELj14ELj16EdEEvi20rocsparse_direction_NS_24const_host_device_scalarIT2_EEPKiS6_PKS3_S8_S4_PS3_21rocsparse_index_base_b
	.p2align	8
	.type	_ZN9rocsparseL19gebsrmvn_2xn_kernelILj128ELj14ELj16EdEEvi20rocsparse_direction_NS_24const_host_device_scalarIT2_EEPKiS6_PKS3_S8_S4_PS3_21rocsparse_index_base_b,@function
_ZN9rocsparseL19gebsrmvn_2xn_kernelILj128ELj14ELj16EdEEvi20rocsparse_direction_NS_24const_host_device_scalarIT2_EEPKiS6_PKS3_S8_S4_PS3_21rocsparse_index_base_b: ; @_ZN9rocsparseL19gebsrmvn_2xn_kernelILj128ELj14ELj16EdEEvi20rocsparse_direction_NS_24const_host_device_scalarIT2_EEPKiS6_PKS3_S8_S4_PS3_21rocsparse_index_base_b
; %bb.0:
	s_clause 0x2
	s_load_dwordx2 s[2:3], s[4:5], 0x40
	s_load_dwordx2 s[8:9], s[4:5], 0x8
	;; [unrolled: 1-line block ×3, first 2 shown]
	s_waitcnt lgkmcnt(0)
	s_bitcmp1_b32 s3, 0
	v_mov_b32_e32 v1, s8
	v_mov_b32_e32 v2, s9
	s_cselect_b32 s3, -1, 0
	s_and_b32 vcc_lo, exec_lo, s3
	s_xor_b32 s3, s3, -1
	s_cbranch_vccnz .LBB138_2
; %bb.1:
	v_mov_b32_e32 v1, s8
	v_mov_b32_e32 v2, s9
	flat_load_dwordx2 v[1:2], v[1:2]
.LBB138_2:
	v_mov_b32_e32 v4, s1
	v_mov_b32_e32 v3, s0
	s_andn2_b32 vcc_lo, exec_lo, s3
	s_cbranch_vccnz .LBB138_4
; %bb.3:
	v_mov_b32_e32 v4, s1
	v_mov_b32_e32 v3, s0
	flat_load_dwordx2 v[3:4], v[3:4]
.LBB138_4:
	s_waitcnt vmcnt(0) lgkmcnt(0)
	v_cmp_neq_f64_e32 vcc_lo, 0, v[1:2]
	v_cmp_neq_f64_e64 s0, 1.0, v[3:4]
	s_or_b32 s0, vcc_lo, s0
	s_and_saveexec_b32 s1, s0
	s_cbranch_execz .LBB138_23
; %bb.5:
	s_load_dwordx2 s[0:1], s[4:5], 0x0
	v_lshrrev_b32_e32 v5, 4, v0
	v_lshl_or_b32 v5, s6, 3, v5
	s_waitcnt lgkmcnt(0)
	v_cmp_gt_i32_e32 vcc_lo, s0, v5
	s_and_b32 exec_lo, exec_lo, vcc_lo
	s_cbranch_execz .LBB138_23
; %bb.6:
	s_load_dwordx8 s[8:15], s[4:5], 0x10
	v_ashrrev_i32_e32 v6, 31, v5
	v_and_b32_e32 v0, 15, v0
	s_cmp_lg_u32 s1, 0
	v_lshlrev_b64 v[6:7], 2, v[5:6]
	s_waitcnt lgkmcnt(0)
	v_add_co_u32 v6, vcc_lo, s8, v6
	v_add_co_ci_u32_e64 v7, null, s9, v7, vcc_lo
	global_load_dwordx2 v[6:7], v[6:7], off
	s_waitcnt vmcnt(0)
	v_subrev_nc_u32_e32 v6, s2, v6
	v_subrev_nc_u32_e32 v17, s2, v7
	v_add_nc_u32_e32 v6, v6, v0
	v_cmp_lt_i32_e64 s0, v6, v17
	s_cbranch_scc0 .LBB138_12
; %bb.7:
	v_mov_b32_e32 v8, 0
	v_mov_b32_e32 v10, 0
	;; [unrolled: 1-line block ×4, first 2 shown]
	s_and_saveexec_b32 s1, s0
	s_cbranch_execz .LBB138_11
; %bb.8:
	v_mad_u64_u32 v[12:13], null, v6, 28, 26
	v_mov_b32_e32 v8, 0
	v_mov_b32_e32 v10, 0
	;; [unrolled: 1-line block ×6, first 2 shown]
	s_mov_b32 s3, 0
.LBB138_9:                              ; =>This Inner Loop Header: Depth=1
	v_ashrrev_i32_e32 v16, 31, v15
	v_subrev_nc_u32_e32 v13, 26, v12
	v_mov_b32_e32 v91, v14
	v_lshlrev_b64 v[18:19], 2, v[15:16]
	v_add_nc_u32_e32 v15, 16, v15
	v_add_co_u32 v18, vcc_lo, s10, v18
	v_add_co_ci_u32_e64 v19, null, s11, v19, vcc_lo
	global_load_dword v7, v[18:19], off
	v_lshlrev_b64 v[18:19], 3, v[13:14]
	v_subrev_nc_u32_e32 v13, 22, v12
	v_lshlrev_b64 v[30:31], 3, v[13:14]
	v_add_co_u32 v22, vcc_lo, s12, v18
	v_add_co_ci_u32_e64 v23, null, s13, v19, vcc_lo
	s_clause 0x1
	global_load_dwordx4 v[18:21], v[22:23], off offset:16
	global_load_dwordx4 v[22:25], v[22:23], off
	s_waitcnt vmcnt(2)
	v_subrev_nc_u32_e32 v7, s2, v7
	v_mul_lo_u32 v90, v7, 14
	v_lshlrev_b64 v[26:27], 3, v[90:91]
	v_add_nc_u32_e32 v13, 2, v90
	v_lshlrev_b64 v[32:33], 3, v[13:14]
	v_add_co_u32 v26, vcc_lo, s14, v26
	v_add_co_ci_u32_e64 v27, null, s15, v27, vcc_lo
	v_add_co_u32 v30, vcc_lo, s12, v30
	v_add_co_ci_u32_e64 v31, null, s13, v31, vcc_lo
	global_load_dwordx4 v[26:29], v[26:27], off
	v_add_co_u32 v34, vcc_lo, s14, v32
	v_add_co_ci_u32_e64 v35, null, s15, v33, vcc_lo
	global_load_dwordx4 v[30:33], v[30:31], off
	global_load_dwordx4 v[34:37], v[34:35], off
	v_subrev_nc_u32_e32 v13, 20, v12
	v_lshlrev_b64 v[38:39], 3, v[13:14]
	v_subrev_nc_u32_e32 v13, 18, v12
	v_add_co_u32 v38, vcc_lo, s12, v38
	v_add_co_ci_u32_e64 v39, null, s13, v39, vcc_lo
	v_lshlrev_b64 v[42:43], 3, v[13:14]
	v_add_nc_u32_e32 v13, 4, v90
	global_load_dwordx4 v[38:41], v[38:39], off
	v_lshlrev_b64 v[44:45], 3, v[13:14]
	v_add_co_u32 v42, vcc_lo, s12, v42
	v_add_co_ci_u32_e64 v43, null, s13, v43, vcc_lo
	v_add_nc_u32_e32 v13, -16, v12
	v_add_co_u32 v46, vcc_lo, s14, v44
	v_add_co_ci_u32_e64 v47, null, s15, v45, vcc_lo
	global_load_dwordx4 v[42:45], v[42:43], off
	global_load_dwordx4 v[46:49], v[46:47], off
	v_lshlrev_b64 v[50:51], 3, v[13:14]
	v_add_nc_u32_e32 v13, -14, v12
	v_add_co_u32 v50, vcc_lo, s12, v50
	v_add_co_ci_u32_e64 v51, null, s13, v51, vcc_lo
	v_lshlrev_b64 v[54:55], 3, v[13:14]
	v_add_nc_u32_e32 v13, 6, v90
	global_load_dwordx4 v[50:53], v[50:51], off
	v_lshlrev_b64 v[56:57], 3, v[13:14]
	v_add_co_u32 v54, vcc_lo, s12, v54
	v_add_co_ci_u32_e64 v55, null, s13, v55, vcc_lo
	v_add_nc_u32_e32 v13, -12, v12
	v_add_co_u32 v58, vcc_lo, s14, v56
	v_add_co_ci_u32_e64 v59, null, s15, v57, vcc_lo
	global_load_dwordx4 v[54:57], v[54:55], off
	global_load_dwordx4 v[58:61], v[58:59], off
	v_lshlrev_b64 v[62:63], 3, v[13:14]
	v_add_nc_u32_e32 v13, -10, v12
	;; [unrolled: 15-line block ×4, first 2 shown]
	v_add_co_u32 v86, vcc_lo, s12, v86
	v_add_co_ci_u32_e64 v87, null, s13, v87, vcc_lo
	v_lshlrev_b64 v[91:92], 3, v[13:14]
	v_add_nc_u32_e32 v13, 12, v90
	global_load_dwordx4 v[86:89], v[86:87], off
	v_lshlrev_b64 v[93:94], 3, v[13:14]
	v_add_co_u32 v90, vcc_lo, s12, v91
	v_add_co_ci_u32_e64 v91, null, s13, v92, vcc_lo
	v_mov_b32_e32 v13, v14
	v_add_co_u32 v95, vcc_lo, s14, v93
	v_add_co_ci_u32_e64 v96, null, s15, v94, vcc_lo
	global_load_dwordx4 v[90:93], v[90:91], off
	global_load_dwordx4 v[94:97], v[95:96], off
	s_waitcnt vmcnt(17)
	v_fma_f64 v[22:23], v[22:23], v[26:27], v[8:9]
	v_lshlrev_b64 v[7:8], 3, v[12:13]
	v_fma_f64 v[24:25], v[24:25], v[26:27], v[10:11]
	v_add_nc_u32_e32 v12, 0x1c0, v12
	v_add_co_u32 v7, vcc_lo, s12, v7
	v_add_co_ci_u32_e64 v8, null, s13, v8, vcc_lo
	v_cmp_ge_i32_e32 vcc_lo, v15, v17
	global_load_dwordx4 v[8:11], v[7:8], off
	s_or_b32 s3, vcc_lo, s3
	v_fma_f64 v[18:19], v[18:19], v[28:29], v[22:23]
	v_fma_f64 v[20:21], v[20:21], v[28:29], v[24:25]
	s_waitcnt vmcnt(16)
	v_fma_f64 v[18:19], v[30:31], v[34:35], v[18:19]
	v_fma_f64 v[20:21], v[32:33], v[34:35], v[20:21]
	s_waitcnt vmcnt(15)
	;; [unrolled: 3-line block ×12, first 2 shown]
	v_fma_f64 v[8:9], v[8:9], v[96:97], v[18:19]
	v_fma_f64 v[10:11], v[10:11], v[96:97], v[20:21]
	s_andn2_b32 exec_lo, exec_lo, s3
	s_cbranch_execnz .LBB138_9
; %bb.10:
	s_or_b32 exec_lo, exec_lo, s3
.LBB138_11:
	s_or_b32 exec_lo, exec_lo, s1
	s_cbranch_execz .LBB138_13
	s_branch .LBB138_18
.LBB138_12:
                                        ; implicit-def: $vgpr8_vgpr9
                                        ; implicit-def: $vgpr10_vgpr11
.LBB138_13:
	v_mov_b32_e32 v8, 0
	v_mov_b32_e32 v10, 0
	;; [unrolled: 1-line block ×4, first 2 shown]
	s_and_saveexec_b32 s1, s0
	s_cbranch_execz .LBB138_17
; %bb.14:
	v_mad_u64_u32 v[12:13], null, v6, 28, 27
	v_mov_b32_e32 v8, 0
	v_mov_b32_e32 v10, 0
	;; [unrolled: 1-line block ×5, first 2 shown]
	s_mov_b32 s0, 0
.LBB138_15:                             ; =>This Inner Loop Header: Depth=1
	v_ashrrev_i32_e32 v7, 31, v6
	v_add_nc_u32_e32 v18, -13, v12
	v_mov_b32_e32 v19, v15
	v_mov_b32_e32 v43, v15
	v_lshlrev_b64 v[13:14], 2, v[6:7]
	v_add_nc_u32_e32 v6, 16, v6
	v_lshlrev_b64 v[18:19], 3, v[18:19]
	v_add_co_u32 v13, vcc_lo, s10, v13
	v_add_co_ci_u32_e64 v14, null, s11, v14, vcc_lo
	global_load_dword v7, v[13:14], off
	v_subrev_nc_u32_e32 v14, 27, v12
	v_mov_b32_e32 v13, v15
	v_lshlrev_b64 v[20:21], 3, v[14:15]
	v_add_nc_u32_e32 v14, -12, v12
	v_lshlrev_b64 v[22:23], 3, v[14:15]
	v_add_co_u32 v24, vcc_lo, s12, v20
	v_add_co_ci_u32_e64 v25, null, s13, v21, vcc_lo
	v_add_co_u32 v26, vcc_lo, s12, v18
	v_add_co_ci_u32_e64 v27, null, s13, v19, vcc_lo
	v_add_co_u32 v28, vcc_lo, s12, v22
	v_add_co_ci_u32_e64 v29, null, s13, v23, vcc_lo
	s_clause 0x3
	global_load_dwordx4 v[18:21], v[24:25], off offset:16
	global_load_dwordx4 v[22:25], v[24:25], off
	global_load_dwordx2 v[44:45], v[26:27], off
	global_load_dwordx2 v[46:47], v[28:29], off
	s_waitcnt vmcnt(4)
	v_subrev_nc_u32_e32 v7, s2, v7
	v_mul_lo_u32 v42, v7, 14
	v_lshlrev_b64 v[26:27], 3, v[42:43]
	v_add_nc_u32_e32 v14, 2, v42
	v_lshlrev_b64 v[30:31], 3, v[14:15]
	v_add_co_u32 v26, vcc_lo, s14, v26
	v_add_co_ci_u32_e64 v27, null, s15, v27, vcc_lo
	v_add_nc_u32_e32 v14, -11, v12
	v_add_co_u32 v30, vcc_lo, s14, v30
	global_load_dwordx4 v[26:29], v[26:27], off
	v_add_co_ci_u32_e64 v31, null, s15, v31, vcc_lo
	v_lshlrev_b64 v[34:35], 3, v[14:15]
	v_add_nc_u32_e32 v14, -10, v12
	global_load_dwordx4 v[30:33], v[30:31], off
	v_add_co_u32 v34, vcc_lo, s12, v34
	v_add_co_ci_u32_e64 v35, null, s13, v35, vcc_lo
	v_lshlrev_b64 v[36:37], 3, v[14:15]
	v_subrev_nc_u32_e32 v14, 23, v12
	global_load_dwordx2 v[48:49], v[34:35], off
	v_add_co_u32 v34, vcc_lo, s12, v36
	v_add_co_ci_u32_e64 v35, null, s13, v37, vcc_lo
	v_lshlrev_b64 v[38:39], 3, v[14:15]
	v_add_nc_u32_e32 v14, 4, v42
	global_load_dwordx2 v[50:51], v[34:35], off
	v_lshlrev_b64 v[36:37], 3, v[14:15]
	v_add_nc_u32_e32 v14, -9, v12
	v_add_co_u32 v34, vcc_lo, s12, v38
	v_add_co_ci_u32_e64 v35, null, s13, v39, vcc_lo
	v_lshlrev_b64 v[38:39], 3, v[14:15]
	v_subrev_nc_u32_e32 v14, 22, v12
	v_add_co_u32 v36, vcc_lo, s14, v36
	v_add_co_ci_u32_e64 v37, null, s15, v37, vcc_lo
	v_lshlrev_b64 v[40:41], 3, v[14:15]
	v_add_co_u32 v38, vcc_lo, s12, v38
	v_add_co_ci_u32_e64 v39, null, s13, v39, vcc_lo
	global_load_dwordx2 v[52:53], v[34:35], off
	v_add_co_u32 v40, vcc_lo, s12, v40
	v_add_co_ci_u32_e64 v41, null, s13, v41, vcc_lo
	global_load_dwordx2 v[56:57], v[38:39], off
	v_add_nc_u32_e32 v14, -8, v12
	global_load_dwordx2 v[58:59], v[40:41], off
	global_load_dwordx4 v[34:37], v[36:37], off
	v_lshlrev_b64 v[54:55], 3, v[14:15]
	v_subrev_nc_u32_e32 v14, 21, v12
	v_add_co_u32 v54, vcc_lo, s12, v54
	v_lshlrev_b64 v[38:39], 3, v[14:15]
	v_add_nc_u32_e32 v14, 6, v42
	v_add_co_ci_u32_e64 v55, null, s13, v55, vcc_lo
	v_lshlrev_b64 v[40:41], 3, v[14:15]
	v_add_nc_u32_e32 v14, -7, v12
	global_load_dwordx2 v[54:55], v[54:55], off
	v_add_co_u32 v38, vcc_lo, s12, v38
	v_add_co_ci_u32_e64 v39, null, s13, v39, vcc_lo
	v_lshlrev_b64 v[60:61], 3, v[14:15]
	v_subrev_nc_u32_e32 v14, 20, v12
	v_add_co_u32 v40, vcc_lo, s14, v40
	v_add_co_ci_u32_e64 v41, null, s15, v41, vcc_lo
	v_lshlrev_b64 v[64:65], 3, v[14:15]
	v_add_co_u32 v60, vcc_lo, s12, v60
	v_add_co_ci_u32_e64 v61, null, s13, v61, vcc_lo
	v_add_nc_u32_e32 v14, -6, v12
	v_add_co_u32 v64, vcc_lo, s12, v64
	v_add_co_ci_u32_e64 v65, null, s13, v65, vcc_lo
	global_load_dwordx2 v[60:61], v[60:61], off
	v_lshlrev_b64 v[66:67], 3, v[14:15]
	v_subrev_nc_u32_e32 v14, 19, v12
	s_clause 0x1
	global_load_dwordx2 v[64:65], v[64:65], off
	global_load_dwordx2 v[62:63], v[38:39], off
	global_load_dwordx4 v[38:41], v[40:41], off
	v_add_co_u32 v66, vcc_lo, s12, v66
	v_lshlrev_b64 v[68:69], 3, v[14:15]
	v_add_nc_u32_e32 v14, 8, v42
	v_add_co_ci_u32_e64 v67, null, s13, v67, vcc_lo
	v_lshlrev_b64 v[70:71], 3, v[14:15]
	v_add_nc_u32_e32 v14, -5, v12
	global_load_dwordx2 v[66:67], v[66:67], off
	v_add_co_u32 v68, vcc_lo, s12, v68
	v_add_co_ci_u32_e64 v69, null, s13, v69, vcc_lo
	v_lshlrev_b64 v[72:73], 3, v[14:15]
	v_subrev_nc_u32_e32 v14, 18, v12
	v_add_co_u32 v70, vcc_lo, s14, v70
	v_add_co_ci_u32_e64 v71, null, s15, v71, vcc_lo
	v_lshlrev_b64 v[74:75], 3, v[14:15]
	v_add_nc_u32_e32 v14, -4, v12
	v_add_co_u32 v72, vcc_lo, s12, v72
	v_add_co_ci_u32_e64 v73, null, s13, v73, vcc_lo
	v_lshlrev_b64 v[76:77], 3, v[14:15]
	v_add_co_u32 v74, vcc_lo, s12, v74
	v_add_co_ci_u32_e64 v75, null, s13, v75, vcc_lo
	v_subrev_nc_u32_e32 v14, 17, v12
	v_add_co_u32 v76, vcc_lo, s12, v76
	global_load_dwordx2 v[68:69], v[68:69], off
	v_add_co_ci_u32_e64 v77, null, s13, v77, vcc_lo
	v_lshlrev_b64 v[78:79], 3, v[14:15]
	v_add_nc_u32_e32 v14, 10, v42
	v_lshlrev_b64 v[80:81], 3, v[14:15]
	v_add_nc_u32_e32 v14, -3, v12
	v_add_co_u32 v78, vcc_lo, s12, v78
	v_add_co_ci_u32_e64 v79, null, s13, v79, vcc_lo
	v_add_co_u32 v80, vcc_lo, s14, v80
	v_add_co_ci_u32_e64 v81, null, s15, v81, vcc_lo
	s_waitcnt vmcnt(14)
	v_fma_f64 v[7:8], v[22:23], v[26:27], v[8:9]
	v_fma_f64 v[82:83], v[24:25], v[28:29], v[7:8]
	global_load_dwordx4 v[22:25], v[70:71], off
	s_clause 0x2
	global_load_dwordx2 v[70:71], v[72:73], off
	global_load_dwordx2 v[72:73], v[74:75], off
	;; [unrolled: 1-line block ×3, first 2 shown]
	v_lshlrev_b64 v[7:8], 3, v[14:15]
	v_add_nc_u32_e32 v14, -16, v12
	global_load_dwordx2 v[76:77], v[78:79], off
	v_add_co_u32 v84, vcc_lo, s12, v7
	v_add_co_ci_u32_e64 v85, null, s13, v8, vcc_lo
	v_fma_f64 v[7:8], v[44:45], v[26:27], v[10:11]
	v_lshlrev_b64 v[26:27], 3, v[14:15]
	v_add_nc_u32_e32 v14, -2, v12
	v_lshlrev_b64 v[43:44], 3, v[14:15]
	v_add_nc_u32_e32 v14, -15, v12
	v_add_co_u32 v26, vcc_lo, s12, v26
	s_waitcnt vmcnt(18)
	v_fma_f64 v[18:19], v[18:19], v[30:31], v[82:83]
	v_add_co_ci_u32_e64 v27, null, s13, v27, vcc_lo
	v_lshlrev_b64 v[78:79], 3, v[14:15]
	v_add_nc_u32_e32 v14, 12, v42
	v_add_co_u32 v42, vcc_lo, s12, v43
	v_add_co_ci_u32_e64 v43, null, s13, v44, vcc_lo
	global_load_dwordx2 v[26:27], v[26:27], off
	v_add_co_u32 v78, vcc_lo, s12, v78
	v_fma_f64 v[28:29], v[46:47], v[28:29], v[7:8]
	global_load_dwordx4 v[7:10], v[80:81], off
	s_clause 0x1
	global_load_dwordx2 v[45:46], v[84:85], off
	global_load_dwordx2 v[42:43], v[42:43], off
	v_lshlrev_b64 v[80:81], 3, v[14:15]
	v_add_nc_u32_e32 v14, -1, v12
	v_add_co_ci_u32_e64 v79, null, s13, v79, vcc_lo
	v_fma_f64 v[82:83], v[20:21], v[32:33], v[18:19]
	v_lshlrev_b64 v[18:19], 3, v[14:15]
	v_add_co_u32 v20, vcc_lo, s14, v80
	v_add_co_ci_u32_e64 v21, null, s15, v81, vcc_lo
	global_load_dwordx2 v[78:79], v[78:79], off
	v_add_co_u32 v80, vcc_lo, s12, v18
	v_add_co_ci_u32_e64 v81, null, s13, v19, vcc_lo
	global_load_dwordx4 v[18:21], v[20:21], off
	global_load_dwordx2 v[80:81], v[80:81], off
	s_waitcnt vmcnt(24)
	v_fma_f64 v[28:29], v[48:49], v[30:31], v[28:29]
	v_add_nc_u32_e32 v14, -14, v12
	v_lshlrev_b64 v[30:31], 3, v[12:13]
	v_add_nc_u32_e32 v12, 0x1c0, v12
	v_add_co_u32 v13, vcc_lo, s12, v30
	s_waitcnt vmcnt(23)
	v_fma_f64 v[28:29], v[50:51], v[32:33], v[28:29]
	v_lshlrev_b64 v[32:33], 3, v[14:15]
	v_add_co_ci_u32_e64 v14, null, s13, v31, vcc_lo
	v_add_co_u32 v30, vcc_lo, s12, v32
	v_add_co_ci_u32_e64 v31, null, s13, v33, vcc_lo
	s_clause 0x1
	global_load_dwordx2 v[30:31], v[30:31], off
	global_load_dwordx2 v[13:14], v[13:14], off
	s_waitcnt vmcnt(21)
	v_fma_f64 v[32:33], v[52:53], v[34:35], v[82:83]
	v_cmp_ge_i32_e32 vcc_lo, v6, v17
	s_or_b32 s0, vcc_lo, s0
	v_fma_f64 v[28:29], v[56:57], v[34:35], v[28:29]
	v_fma_f64 v[32:33], v[58:59], v[36:37], v[32:33]
	s_waitcnt vmcnt(20)
	v_fma_f64 v[28:29], v[54:55], v[36:37], v[28:29]
	s_waitcnt vmcnt(16)
	v_fma_f64 v[32:33], v[62:63], v[38:39], v[32:33]
	v_fma_f64 v[28:29], v[60:61], v[38:39], v[28:29]
	;; [unrolled: 1-line block ×3, first 2 shown]
	s_waitcnt vmcnt(15)
	v_fma_f64 v[28:29], v[66:67], v[40:41], v[28:29]
	s_waitcnt vmcnt(13)
	v_fma_f64 v[32:33], v[68:69], v[22:23], v[32:33]
	;; [unrolled: 2-line block ×7, first 2 shown]
	v_fma_f64 v[22:23], v[26:27], v[9:10], v[24:25]
	s_waitcnt vmcnt(5)
	v_fma_f64 v[7:8], v[42:43], v[9:10], v[7:8]
	s_waitcnt vmcnt(3)
	;; [unrolled: 2-line block ×5, first 2 shown]
	v_fma_f64 v[10:11], v[13:14], v[20:21], v[18:19]
	s_andn2_b32 exec_lo, exec_lo, s0
	s_cbranch_execnz .LBB138_15
; %bb.16:
	s_or_b32 exec_lo, exec_lo, s0
.LBB138_17:
	s_or_b32 exec_lo, exec_lo, s1
.LBB138_18:
	v_mbcnt_lo_u32_b32 v14, -1, 0
	v_xor_b32_e32 v6, 8, v14
	v_cmp_gt_i32_e32 vcc_lo, 32, v6
	v_cndmask_b32_e32 v6, v14, v6, vcc_lo
	v_lshlrev_b32_e32 v13, 2, v6
	ds_bpermute_b32 v6, v13, v8
	ds_bpermute_b32 v7, v13, v9
	;; [unrolled: 1-line block ×4, first 2 shown]
	s_waitcnt lgkmcnt(2)
	v_add_f64 v[6:7], v[8:9], v[6:7]
	s_waitcnt lgkmcnt(0)
	v_add_f64 v[8:9], v[10:11], v[12:13]
	v_xor_b32_e32 v10, 4, v14
	v_cmp_gt_i32_e32 vcc_lo, 32, v10
	v_cndmask_b32_e32 v10, v14, v10, vcc_lo
	v_lshlrev_b32_e32 v13, 2, v10
	ds_bpermute_b32 v10, v13, v6
	ds_bpermute_b32 v11, v13, v7
	;; [unrolled: 1-line block ×4, first 2 shown]
	s_waitcnt lgkmcnt(2)
	v_add_f64 v[6:7], v[6:7], v[10:11]
	v_xor_b32_e32 v10, 2, v14
	s_waitcnt lgkmcnt(0)
	v_add_f64 v[8:9], v[8:9], v[12:13]
	v_cmp_gt_i32_e32 vcc_lo, 32, v10
	v_cndmask_b32_e32 v10, v14, v10, vcc_lo
	v_lshlrev_b32_e32 v13, 2, v10
	ds_bpermute_b32 v10, v13, v6
	ds_bpermute_b32 v11, v13, v7
	;; [unrolled: 1-line block ×4, first 2 shown]
	s_waitcnt lgkmcnt(2)
	v_add_f64 v[6:7], v[6:7], v[10:11]
	s_waitcnt lgkmcnt(0)
	v_add_f64 v[10:11], v[8:9], v[12:13]
	v_xor_b32_e32 v8, 1, v14
	v_cmp_gt_i32_e32 vcc_lo, 32, v8
	v_cndmask_b32_e32 v8, v14, v8, vcc_lo
	v_cmp_eq_u32_e32 vcc_lo, 15, v0
	v_lshlrev_b32_e32 v13, 2, v8
	ds_bpermute_b32 v8, v13, v6
	ds_bpermute_b32 v9, v13, v7
	;; [unrolled: 1-line block ×4, first 2 shown]
	s_and_b32 exec_lo, exec_lo, vcc_lo
	s_cbranch_execz .LBB138_23
; %bb.19:
	s_waitcnt lgkmcnt(2)
	v_add_f64 v[8:9], v[6:7], v[8:9]
	s_waitcnt lgkmcnt(0)
	v_add_f64 v[6:7], v[10:11], v[12:13]
	s_load_dwordx2 s[0:1], s[4:5], 0x38
	s_mov_b32 s2, exec_lo
	v_cmpx_eq_f64_e32 0, v[3:4]
	s_xor_b32 s2, exec_lo, s2
	s_cbranch_execz .LBB138_21
; %bb.20:
	v_lshlrev_b32_e32 v0, 1, v5
	v_mul_f64 v[3:4], v[1:2], v[8:9]
	v_mul_f64 v[5:6], v[1:2], v[6:7]
                                        ; implicit-def: $vgpr8_vgpr9
	v_ashrrev_i32_e32 v1, 31, v0
	v_lshlrev_b64 v[0:1], 3, v[0:1]
	s_waitcnt lgkmcnt(0)
	v_add_co_u32 v0, vcc_lo, s0, v0
	v_add_co_ci_u32_e64 v1, null, s1, v1, vcc_lo
	global_store_dwordx4 v[0:1], v[3:6], off
                                        ; implicit-def: $vgpr5
                                        ; implicit-def: $vgpr1_vgpr2
                                        ; implicit-def: $vgpr3_vgpr4
                                        ; implicit-def: $vgpr6_vgpr7
.LBB138_21:
	s_andn2_saveexec_b32 s2, s2
	s_cbranch_execz .LBB138_23
; %bb.22:
	v_lshlrev_b32_e32 v10, 1, v5
	v_mul_f64 v[8:9], v[1:2], v[8:9]
	v_mul_f64 v[5:6], v[1:2], v[6:7]
	v_ashrrev_i32_e32 v11, 31, v10
	v_lshlrev_b64 v[10:11], 3, v[10:11]
	s_waitcnt lgkmcnt(0)
	v_add_co_u32 v14, vcc_lo, s0, v10
	v_add_co_ci_u32_e64 v15, null, s1, v11, vcc_lo
	global_load_dwordx4 v[10:13], v[14:15], off
	s_waitcnt vmcnt(0)
	v_fma_f64 v[0:1], v[3:4], v[10:11], v[8:9]
	v_fma_f64 v[2:3], v[3:4], v[12:13], v[5:6]
	global_store_dwordx4 v[14:15], v[0:3], off
.LBB138_23:
	s_endpgm
	.section	.rodata,"a",@progbits
	.p2align	6, 0x0
	.amdhsa_kernel _ZN9rocsparseL19gebsrmvn_2xn_kernelILj128ELj14ELj16EdEEvi20rocsparse_direction_NS_24const_host_device_scalarIT2_EEPKiS6_PKS3_S8_S4_PS3_21rocsparse_index_base_b
		.amdhsa_group_segment_fixed_size 0
		.amdhsa_private_segment_fixed_size 0
		.amdhsa_kernarg_size 72
		.amdhsa_user_sgpr_count 6
		.amdhsa_user_sgpr_private_segment_buffer 1
		.amdhsa_user_sgpr_dispatch_ptr 0
		.amdhsa_user_sgpr_queue_ptr 0
		.amdhsa_user_sgpr_kernarg_segment_ptr 1
		.amdhsa_user_sgpr_dispatch_id 0
		.amdhsa_user_sgpr_flat_scratch_init 0
		.amdhsa_user_sgpr_private_segment_size 0
		.amdhsa_wavefront_size32 1
		.amdhsa_uses_dynamic_stack 0
		.amdhsa_system_sgpr_private_segment_wavefront_offset 0
		.amdhsa_system_sgpr_workgroup_id_x 1
		.amdhsa_system_sgpr_workgroup_id_y 0
		.amdhsa_system_sgpr_workgroup_id_z 0
		.amdhsa_system_sgpr_workgroup_info 0
		.amdhsa_system_vgpr_workitem_id 0
		.amdhsa_next_free_vgpr 98
		.amdhsa_next_free_sgpr 16
		.amdhsa_reserve_vcc 1
		.amdhsa_reserve_flat_scratch 0
		.amdhsa_float_round_mode_32 0
		.amdhsa_float_round_mode_16_64 0
		.amdhsa_float_denorm_mode_32 3
		.amdhsa_float_denorm_mode_16_64 3
		.amdhsa_dx10_clamp 1
		.amdhsa_ieee_mode 1
		.amdhsa_fp16_overflow 0
		.amdhsa_workgroup_processor_mode 1
		.amdhsa_memory_ordered 1
		.amdhsa_forward_progress 1
		.amdhsa_shared_vgpr_count 0
		.amdhsa_exception_fp_ieee_invalid_op 0
		.amdhsa_exception_fp_denorm_src 0
		.amdhsa_exception_fp_ieee_div_zero 0
		.amdhsa_exception_fp_ieee_overflow 0
		.amdhsa_exception_fp_ieee_underflow 0
		.amdhsa_exception_fp_ieee_inexact 0
		.amdhsa_exception_int_div_zero 0
	.end_amdhsa_kernel
	.section	.text._ZN9rocsparseL19gebsrmvn_2xn_kernelILj128ELj14ELj16EdEEvi20rocsparse_direction_NS_24const_host_device_scalarIT2_EEPKiS6_PKS3_S8_S4_PS3_21rocsparse_index_base_b,"axG",@progbits,_ZN9rocsparseL19gebsrmvn_2xn_kernelILj128ELj14ELj16EdEEvi20rocsparse_direction_NS_24const_host_device_scalarIT2_EEPKiS6_PKS3_S8_S4_PS3_21rocsparse_index_base_b,comdat
.Lfunc_end138:
	.size	_ZN9rocsparseL19gebsrmvn_2xn_kernelILj128ELj14ELj16EdEEvi20rocsparse_direction_NS_24const_host_device_scalarIT2_EEPKiS6_PKS3_S8_S4_PS3_21rocsparse_index_base_b, .Lfunc_end138-_ZN9rocsparseL19gebsrmvn_2xn_kernelILj128ELj14ELj16EdEEvi20rocsparse_direction_NS_24const_host_device_scalarIT2_EEPKiS6_PKS3_S8_S4_PS3_21rocsparse_index_base_b
                                        ; -- End function
	.set _ZN9rocsparseL19gebsrmvn_2xn_kernelILj128ELj14ELj16EdEEvi20rocsparse_direction_NS_24const_host_device_scalarIT2_EEPKiS6_PKS3_S8_S4_PS3_21rocsparse_index_base_b.num_vgpr, 98
	.set _ZN9rocsparseL19gebsrmvn_2xn_kernelILj128ELj14ELj16EdEEvi20rocsparse_direction_NS_24const_host_device_scalarIT2_EEPKiS6_PKS3_S8_S4_PS3_21rocsparse_index_base_b.num_agpr, 0
	.set _ZN9rocsparseL19gebsrmvn_2xn_kernelILj128ELj14ELj16EdEEvi20rocsparse_direction_NS_24const_host_device_scalarIT2_EEPKiS6_PKS3_S8_S4_PS3_21rocsparse_index_base_b.numbered_sgpr, 16
	.set _ZN9rocsparseL19gebsrmvn_2xn_kernelILj128ELj14ELj16EdEEvi20rocsparse_direction_NS_24const_host_device_scalarIT2_EEPKiS6_PKS3_S8_S4_PS3_21rocsparse_index_base_b.num_named_barrier, 0
	.set _ZN9rocsparseL19gebsrmvn_2xn_kernelILj128ELj14ELj16EdEEvi20rocsparse_direction_NS_24const_host_device_scalarIT2_EEPKiS6_PKS3_S8_S4_PS3_21rocsparse_index_base_b.private_seg_size, 0
	.set _ZN9rocsparseL19gebsrmvn_2xn_kernelILj128ELj14ELj16EdEEvi20rocsparse_direction_NS_24const_host_device_scalarIT2_EEPKiS6_PKS3_S8_S4_PS3_21rocsparse_index_base_b.uses_vcc, 1
	.set _ZN9rocsparseL19gebsrmvn_2xn_kernelILj128ELj14ELj16EdEEvi20rocsparse_direction_NS_24const_host_device_scalarIT2_EEPKiS6_PKS3_S8_S4_PS3_21rocsparse_index_base_b.uses_flat_scratch, 0
	.set _ZN9rocsparseL19gebsrmvn_2xn_kernelILj128ELj14ELj16EdEEvi20rocsparse_direction_NS_24const_host_device_scalarIT2_EEPKiS6_PKS3_S8_S4_PS3_21rocsparse_index_base_b.has_dyn_sized_stack, 0
	.set _ZN9rocsparseL19gebsrmvn_2xn_kernelILj128ELj14ELj16EdEEvi20rocsparse_direction_NS_24const_host_device_scalarIT2_EEPKiS6_PKS3_S8_S4_PS3_21rocsparse_index_base_b.has_recursion, 0
	.set _ZN9rocsparseL19gebsrmvn_2xn_kernelILj128ELj14ELj16EdEEvi20rocsparse_direction_NS_24const_host_device_scalarIT2_EEPKiS6_PKS3_S8_S4_PS3_21rocsparse_index_base_b.has_indirect_call, 0
	.section	.AMDGPU.csdata,"",@progbits
; Kernel info:
; codeLenInByte = 3540
; TotalNumSgprs: 18
; NumVgprs: 98
; ScratchSize: 0
; MemoryBound: 1
; FloatMode: 240
; IeeeMode: 1
; LDSByteSize: 0 bytes/workgroup (compile time only)
; SGPRBlocks: 0
; VGPRBlocks: 12
; NumSGPRsForWavesPerEU: 18
; NumVGPRsForWavesPerEU: 98
; Occupancy: 9
; WaveLimiterHint : 1
; COMPUTE_PGM_RSRC2:SCRATCH_EN: 0
; COMPUTE_PGM_RSRC2:USER_SGPR: 6
; COMPUTE_PGM_RSRC2:TRAP_HANDLER: 0
; COMPUTE_PGM_RSRC2:TGID_X_EN: 1
; COMPUTE_PGM_RSRC2:TGID_Y_EN: 0
; COMPUTE_PGM_RSRC2:TGID_Z_EN: 0
; COMPUTE_PGM_RSRC2:TIDIG_COMP_CNT: 0
	.section	.text._ZN9rocsparseL19gebsrmvn_2xn_kernelILj128ELj14ELj32EdEEvi20rocsparse_direction_NS_24const_host_device_scalarIT2_EEPKiS6_PKS3_S8_S4_PS3_21rocsparse_index_base_b,"axG",@progbits,_ZN9rocsparseL19gebsrmvn_2xn_kernelILj128ELj14ELj32EdEEvi20rocsparse_direction_NS_24const_host_device_scalarIT2_EEPKiS6_PKS3_S8_S4_PS3_21rocsparse_index_base_b,comdat
	.globl	_ZN9rocsparseL19gebsrmvn_2xn_kernelILj128ELj14ELj32EdEEvi20rocsparse_direction_NS_24const_host_device_scalarIT2_EEPKiS6_PKS3_S8_S4_PS3_21rocsparse_index_base_b ; -- Begin function _ZN9rocsparseL19gebsrmvn_2xn_kernelILj128ELj14ELj32EdEEvi20rocsparse_direction_NS_24const_host_device_scalarIT2_EEPKiS6_PKS3_S8_S4_PS3_21rocsparse_index_base_b
	.p2align	8
	.type	_ZN9rocsparseL19gebsrmvn_2xn_kernelILj128ELj14ELj32EdEEvi20rocsparse_direction_NS_24const_host_device_scalarIT2_EEPKiS6_PKS3_S8_S4_PS3_21rocsparse_index_base_b,@function
_ZN9rocsparseL19gebsrmvn_2xn_kernelILj128ELj14ELj32EdEEvi20rocsparse_direction_NS_24const_host_device_scalarIT2_EEPKiS6_PKS3_S8_S4_PS3_21rocsparse_index_base_b: ; @_ZN9rocsparseL19gebsrmvn_2xn_kernelILj128ELj14ELj32EdEEvi20rocsparse_direction_NS_24const_host_device_scalarIT2_EEPKiS6_PKS3_S8_S4_PS3_21rocsparse_index_base_b
; %bb.0:
	s_clause 0x2
	s_load_dwordx2 s[2:3], s[4:5], 0x40
	s_load_dwordx2 s[8:9], s[4:5], 0x8
	;; [unrolled: 1-line block ×3, first 2 shown]
	s_waitcnt lgkmcnt(0)
	s_bitcmp1_b32 s3, 0
	v_mov_b32_e32 v1, s8
	v_mov_b32_e32 v2, s9
	s_cselect_b32 s3, -1, 0
	s_and_b32 vcc_lo, exec_lo, s3
	s_xor_b32 s3, s3, -1
	s_cbranch_vccnz .LBB139_2
; %bb.1:
	v_mov_b32_e32 v1, s8
	v_mov_b32_e32 v2, s9
	flat_load_dwordx2 v[1:2], v[1:2]
.LBB139_2:
	v_mov_b32_e32 v4, s1
	v_mov_b32_e32 v3, s0
	s_andn2_b32 vcc_lo, exec_lo, s3
	s_cbranch_vccnz .LBB139_4
; %bb.3:
	v_mov_b32_e32 v4, s1
	v_mov_b32_e32 v3, s0
	flat_load_dwordx2 v[3:4], v[3:4]
.LBB139_4:
	s_waitcnt vmcnt(0) lgkmcnt(0)
	v_cmp_neq_f64_e32 vcc_lo, 0, v[1:2]
	v_cmp_neq_f64_e64 s0, 1.0, v[3:4]
	s_or_b32 s0, vcc_lo, s0
	s_and_saveexec_b32 s1, s0
	s_cbranch_execz .LBB139_23
; %bb.5:
	s_load_dwordx2 s[0:1], s[4:5], 0x0
	v_lshrrev_b32_e32 v5, 5, v0
	v_lshl_or_b32 v5, s6, 2, v5
	s_waitcnt lgkmcnt(0)
	v_cmp_gt_i32_e32 vcc_lo, s0, v5
	s_and_b32 exec_lo, exec_lo, vcc_lo
	s_cbranch_execz .LBB139_23
; %bb.6:
	s_load_dwordx8 s[8:15], s[4:5], 0x10
	v_ashrrev_i32_e32 v6, 31, v5
	v_and_b32_e32 v0, 31, v0
	s_cmp_lg_u32 s1, 0
	v_lshlrev_b64 v[6:7], 2, v[5:6]
	s_waitcnt lgkmcnt(0)
	v_add_co_u32 v6, vcc_lo, s8, v6
	v_add_co_ci_u32_e64 v7, null, s9, v7, vcc_lo
	global_load_dwordx2 v[6:7], v[6:7], off
	s_waitcnt vmcnt(0)
	v_subrev_nc_u32_e32 v6, s2, v6
	v_subrev_nc_u32_e32 v17, s2, v7
	v_add_nc_u32_e32 v6, v6, v0
	v_cmp_lt_i32_e64 s0, v6, v17
	s_cbranch_scc0 .LBB139_12
; %bb.7:
	v_mov_b32_e32 v8, 0
	v_mov_b32_e32 v10, 0
	;; [unrolled: 1-line block ×4, first 2 shown]
	s_and_saveexec_b32 s1, s0
	s_cbranch_execz .LBB139_11
; %bb.8:
	v_mad_u64_u32 v[12:13], null, v6, 28, 26
	v_mov_b32_e32 v8, 0
	v_mov_b32_e32 v10, 0
	;; [unrolled: 1-line block ×6, first 2 shown]
	s_mov_b32 s3, 0
.LBB139_9:                              ; =>This Inner Loop Header: Depth=1
	v_ashrrev_i32_e32 v16, 31, v15
	v_subrev_nc_u32_e32 v13, 26, v12
	v_mov_b32_e32 v91, v14
	v_lshlrev_b64 v[18:19], 2, v[15:16]
	v_add_nc_u32_e32 v15, 32, v15
	v_add_co_u32 v18, vcc_lo, s10, v18
	v_add_co_ci_u32_e64 v19, null, s11, v19, vcc_lo
	global_load_dword v7, v[18:19], off
	v_lshlrev_b64 v[18:19], 3, v[13:14]
	v_subrev_nc_u32_e32 v13, 22, v12
	v_lshlrev_b64 v[30:31], 3, v[13:14]
	v_add_co_u32 v22, vcc_lo, s12, v18
	v_add_co_ci_u32_e64 v23, null, s13, v19, vcc_lo
	s_clause 0x1
	global_load_dwordx4 v[18:21], v[22:23], off offset:16
	global_load_dwordx4 v[22:25], v[22:23], off
	s_waitcnt vmcnt(2)
	v_subrev_nc_u32_e32 v7, s2, v7
	v_mul_lo_u32 v90, v7, 14
	v_lshlrev_b64 v[26:27], 3, v[90:91]
	v_add_nc_u32_e32 v13, 2, v90
	v_lshlrev_b64 v[32:33], 3, v[13:14]
	v_add_co_u32 v26, vcc_lo, s14, v26
	v_add_co_ci_u32_e64 v27, null, s15, v27, vcc_lo
	v_add_co_u32 v30, vcc_lo, s12, v30
	v_add_co_ci_u32_e64 v31, null, s13, v31, vcc_lo
	global_load_dwordx4 v[26:29], v[26:27], off
	v_add_co_u32 v34, vcc_lo, s14, v32
	v_add_co_ci_u32_e64 v35, null, s15, v33, vcc_lo
	global_load_dwordx4 v[30:33], v[30:31], off
	global_load_dwordx4 v[34:37], v[34:35], off
	v_subrev_nc_u32_e32 v13, 20, v12
	v_lshlrev_b64 v[38:39], 3, v[13:14]
	v_subrev_nc_u32_e32 v13, 18, v12
	v_add_co_u32 v38, vcc_lo, s12, v38
	v_add_co_ci_u32_e64 v39, null, s13, v39, vcc_lo
	v_lshlrev_b64 v[42:43], 3, v[13:14]
	v_add_nc_u32_e32 v13, 4, v90
	global_load_dwordx4 v[38:41], v[38:39], off
	v_lshlrev_b64 v[44:45], 3, v[13:14]
	v_add_co_u32 v42, vcc_lo, s12, v42
	v_add_co_ci_u32_e64 v43, null, s13, v43, vcc_lo
	v_add_nc_u32_e32 v13, -16, v12
	v_add_co_u32 v46, vcc_lo, s14, v44
	v_add_co_ci_u32_e64 v47, null, s15, v45, vcc_lo
	global_load_dwordx4 v[42:45], v[42:43], off
	global_load_dwordx4 v[46:49], v[46:47], off
	v_lshlrev_b64 v[50:51], 3, v[13:14]
	v_add_nc_u32_e32 v13, -14, v12
	v_add_co_u32 v50, vcc_lo, s12, v50
	v_add_co_ci_u32_e64 v51, null, s13, v51, vcc_lo
	v_lshlrev_b64 v[54:55], 3, v[13:14]
	v_add_nc_u32_e32 v13, 6, v90
	global_load_dwordx4 v[50:53], v[50:51], off
	v_lshlrev_b64 v[56:57], 3, v[13:14]
	v_add_co_u32 v54, vcc_lo, s12, v54
	v_add_co_ci_u32_e64 v55, null, s13, v55, vcc_lo
	v_add_nc_u32_e32 v13, -12, v12
	v_add_co_u32 v58, vcc_lo, s14, v56
	v_add_co_ci_u32_e64 v59, null, s15, v57, vcc_lo
	global_load_dwordx4 v[54:57], v[54:55], off
	global_load_dwordx4 v[58:61], v[58:59], off
	v_lshlrev_b64 v[62:63], 3, v[13:14]
	v_add_nc_u32_e32 v13, -10, v12
	;; [unrolled: 15-line block ×4, first 2 shown]
	v_add_co_u32 v86, vcc_lo, s12, v86
	v_add_co_ci_u32_e64 v87, null, s13, v87, vcc_lo
	v_lshlrev_b64 v[91:92], 3, v[13:14]
	v_add_nc_u32_e32 v13, 12, v90
	global_load_dwordx4 v[86:89], v[86:87], off
	v_lshlrev_b64 v[93:94], 3, v[13:14]
	v_add_co_u32 v90, vcc_lo, s12, v91
	v_add_co_ci_u32_e64 v91, null, s13, v92, vcc_lo
	v_mov_b32_e32 v13, v14
	v_add_co_u32 v95, vcc_lo, s14, v93
	v_add_co_ci_u32_e64 v96, null, s15, v94, vcc_lo
	global_load_dwordx4 v[90:93], v[90:91], off
	global_load_dwordx4 v[94:97], v[95:96], off
	s_waitcnt vmcnt(17)
	v_fma_f64 v[22:23], v[22:23], v[26:27], v[8:9]
	v_lshlrev_b64 v[7:8], 3, v[12:13]
	v_fma_f64 v[24:25], v[24:25], v[26:27], v[10:11]
	v_add_nc_u32_e32 v12, 0x380, v12
	v_add_co_u32 v7, vcc_lo, s12, v7
	v_add_co_ci_u32_e64 v8, null, s13, v8, vcc_lo
	v_cmp_ge_i32_e32 vcc_lo, v15, v17
	global_load_dwordx4 v[8:11], v[7:8], off
	s_or_b32 s3, vcc_lo, s3
	v_fma_f64 v[18:19], v[18:19], v[28:29], v[22:23]
	v_fma_f64 v[20:21], v[20:21], v[28:29], v[24:25]
	s_waitcnt vmcnt(16)
	v_fma_f64 v[18:19], v[30:31], v[34:35], v[18:19]
	v_fma_f64 v[20:21], v[32:33], v[34:35], v[20:21]
	s_waitcnt vmcnt(15)
	;; [unrolled: 3-line block ×12, first 2 shown]
	v_fma_f64 v[8:9], v[8:9], v[96:97], v[18:19]
	v_fma_f64 v[10:11], v[10:11], v[96:97], v[20:21]
	s_andn2_b32 exec_lo, exec_lo, s3
	s_cbranch_execnz .LBB139_9
; %bb.10:
	s_or_b32 exec_lo, exec_lo, s3
.LBB139_11:
	s_or_b32 exec_lo, exec_lo, s1
	s_cbranch_execz .LBB139_13
	s_branch .LBB139_18
.LBB139_12:
                                        ; implicit-def: $vgpr8_vgpr9
                                        ; implicit-def: $vgpr10_vgpr11
.LBB139_13:
	v_mov_b32_e32 v8, 0
	v_mov_b32_e32 v10, 0
	;; [unrolled: 1-line block ×4, first 2 shown]
	s_and_saveexec_b32 s1, s0
	s_cbranch_execz .LBB139_17
; %bb.14:
	v_mad_u64_u32 v[12:13], null, v6, 28, 27
	v_mov_b32_e32 v8, 0
	v_mov_b32_e32 v10, 0
	;; [unrolled: 1-line block ×5, first 2 shown]
	s_mov_b32 s0, 0
.LBB139_15:                             ; =>This Inner Loop Header: Depth=1
	v_ashrrev_i32_e32 v7, 31, v6
	v_add_nc_u32_e32 v18, -13, v12
	v_mov_b32_e32 v19, v15
	v_mov_b32_e32 v43, v15
	v_lshlrev_b64 v[13:14], 2, v[6:7]
	v_add_nc_u32_e32 v6, 32, v6
	v_lshlrev_b64 v[18:19], 3, v[18:19]
	v_add_co_u32 v13, vcc_lo, s10, v13
	v_add_co_ci_u32_e64 v14, null, s11, v14, vcc_lo
	global_load_dword v7, v[13:14], off
	v_subrev_nc_u32_e32 v14, 27, v12
	v_mov_b32_e32 v13, v15
	v_lshlrev_b64 v[20:21], 3, v[14:15]
	v_add_nc_u32_e32 v14, -12, v12
	v_lshlrev_b64 v[22:23], 3, v[14:15]
	v_add_co_u32 v24, vcc_lo, s12, v20
	v_add_co_ci_u32_e64 v25, null, s13, v21, vcc_lo
	v_add_co_u32 v26, vcc_lo, s12, v18
	v_add_co_ci_u32_e64 v27, null, s13, v19, vcc_lo
	;; [unrolled: 2-line block ×3, first 2 shown]
	s_clause 0x3
	global_load_dwordx4 v[18:21], v[24:25], off offset:16
	global_load_dwordx4 v[22:25], v[24:25], off
	global_load_dwordx2 v[44:45], v[26:27], off
	global_load_dwordx2 v[46:47], v[28:29], off
	s_waitcnt vmcnt(4)
	v_subrev_nc_u32_e32 v7, s2, v7
	v_mul_lo_u32 v42, v7, 14
	v_lshlrev_b64 v[26:27], 3, v[42:43]
	v_add_nc_u32_e32 v14, 2, v42
	v_lshlrev_b64 v[30:31], 3, v[14:15]
	v_add_co_u32 v26, vcc_lo, s14, v26
	v_add_co_ci_u32_e64 v27, null, s15, v27, vcc_lo
	v_add_nc_u32_e32 v14, -11, v12
	v_add_co_u32 v30, vcc_lo, s14, v30
	global_load_dwordx4 v[26:29], v[26:27], off
	v_add_co_ci_u32_e64 v31, null, s15, v31, vcc_lo
	v_lshlrev_b64 v[34:35], 3, v[14:15]
	v_add_nc_u32_e32 v14, -10, v12
	global_load_dwordx4 v[30:33], v[30:31], off
	v_add_co_u32 v34, vcc_lo, s12, v34
	v_add_co_ci_u32_e64 v35, null, s13, v35, vcc_lo
	v_lshlrev_b64 v[36:37], 3, v[14:15]
	v_subrev_nc_u32_e32 v14, 23, v12
	global_load_dwordx2 v[48:49], v[34:35], off
	v_add_co_u32 v34, vcc_lo, s12, v36
	v_add_co_ci_u32_e64 v35, null, s13, v37, vcc_lo
	v_lshlrev_b64 v[38:39], 3, v[14:15]
	v_add_nc_u32_e32 v14, 4, v42
	global_load_dwordx2 v[50:51], v[34:35], off
	v_lshlrev_b64 v[36:37], 3, v[14:15]
	v_add_nc_u32_e32 v14, -9, v12
	v_add_co_u32 v34, vcc_lo, s12, v38
	v_add_co_ci_u32_e64 v35, null, s13, v39, vcc_lo
	v_lshlrev_b64 v[38:39], 3, v[14:15]
	v_subrev_nc_u32_e32 v14, 22, v12
	v_add_co_u32 v36, vcc_lo, s14, v36
	v_add_co_ci_u32_e64 v37, null, s15, v37, vcc_lo
	v_lshlrev_b64 v[40:41], 3, v[14:15]
	v_add_co_u32 v38, vcc_lo, s12, v38
	v_add_co_ci_u32_e64 v39, null, s13, v39, vcc_lo
	global_load_dwordx2 v[52:53], v[34:35], off
	v_add_co_u32 v40, vcc_lo, s12, v40
	v_add_co_ci_u32_e64 v41, null, s13, v41, vcc_lo
	global_load_dwordx2 v[56:57], v[38:39], off
	v_add_nc_u32_e32 v14, -8, v12
	global_load_dwordx2 v[58:59], v[40:41], off
	global_load_dwordx4 v[34:37], v[36:37], off
	v_lshlrev_b64 v[54:55], 3, v[14:15]
	v_subrev_nc_u32_e32 v14, 21, v12
	v_add_co_u32 v54, vcc_lo, s12, v54
	v_lshlrev_b64 v[38:39], 3, v[14:15]
	v_add_nc_u32_e32 v14, 6, v42
	v_add_co_ci_u32_e64 v55, null, s13, v55, vcc_lo
	v_lshlrev_b64 v[40:41], 3, v[14:15]
	v_add_nc_u32_e32 v14, -7, v12
	global_load_dwordx2 v[54:55], v[54:55], off
	v_add_co_u32 v38, vcc_lo, s12, v38
	v_add_co_ci_u32_e64 v39, null, s13, v39, vcc_lo
	v_lshlrev_b64 v[60:61], 3, v[14:15]
	v_subrev_nc_u32_e32 v14, 20, v12
	v_add_co_u32 v40, vcc_lo, s14, v40
	v_add_co_ci_u32_e64 v41, null, s15, v41, vcc_lo
	v_lshlrev_b64 v[64:65], 3, v[14:15]
	v_add_co_u32 v60, vcc_lo, s12, v60
	v_add_co_ci_u32_e64 v61, null, s13, v61, vcc_lo
	v_add_nc_u32_e32 v14, -6, v12
	v_add_co_u32 v64, vcc_lo, s12, v64
	v_add_co_ci_u32_e64 v65, null, s13, v65, vcc_lo
	global_load_dwordx2 v[60:61], v[60:61], off
	v_lshlrev_b64 v[66:67], 3, v[14:15]
	v_subrev_nc_u32_e32 v14, 19, v12
	s_clause 0x1
	global_load_dwordx2 v[64:65], v[64:65], off
	global_load_dwordx2 v[62:63], v[38:39], off
	global_load_dwordx4 v[38:41], v[40:41], off
	v_add_co_u32 v66, vcc_lo, s12, v66
	v_lshlrev_b64 v[68:69], 3, v[14:15]
	v_add_nc_u32_e32 v14, 8, v42
	v_add_co_ci_u32_e64 v67, null, s13, v67, vcc_lo
	v_lshlrev_b64 v[70:71], 3, v[14:15]
	v_add_nc_u32_e32 v14, -5, v12
	global_load_dwordx2 v[66:67], v[66:67], off
	v_add_co_u32 v68, vcc_lo, s12, v68
	v_add_co_ci_u32_e64 v69, null, s13, v69, vcc_lo
	v_lshlrev_b64 v[72:73], 3, v[14:15]
	v_subrev_nc_u32_e32 v14, 18, v12
	v_add_co_u32 v70, vcc_lo, s14, v70
	v_add_co_ci_u32_e64 v71, null, s15, v71, vcc_lo
	v_lshlrev_b64 v[74:75], 3, v[14:15]
	v_add_nc_u32_e32 v14, -4, v12
	v_add_co_u32 v72, vcc_lo, s12, v72
	v_add_co_ci_u32_e64 v73, null, s13, v73, vcc_lo
	v_lshlrev_b64 v[76:77], 3, v[14:15]
	v_add_co_u32 v74, vcc_lo, s12, v74
	v_add_co_ci_u32_e64 v75, null, s13, v75, vcc_lo
	v_subrev_nc_u32_e32 v14, 17, v12
	v_add_co_u32 v76, vcc_lo, s12, v76
	global_load_dwordx2 v[68:69], v[68:69], off
	v_add_co_ci_u32_e64 v77, null, s13, v77, vcc_lo
	v_lshlrev_b64 v[78:79], 3, v[14:15]
	v_add_nc_u32_e32 v14, 10, v42
	v_lshlrev_b64 v[80:81], 3, v[14:15]
	v_add_nc_u32_e32 v14, -3, v12
	v_add_co_u32 v78, vcc_lo, s12, v78
	v_add_co_ci_u32_e64 v79, null, s13, v79, vcc_lo
	v_add_co_u32 v80, vcc_lo, s14, v80
	v_add_co_ci_u32_e64 v81, null, s15, v81, vcc_lo
	s_waitcnt vmcnt(14)
	v_fma_f64 v[7:8], v[22:23], v[26:27], v[8:9]
	v_fma_f64 v[82:83], v[24:25], v[28:29], v[7:8]
	global_load_dwordx4 v[22:25], v[70:71], off
	s_clause 0x2
	global_load_dwordx2 v[70:71], v[72:73], off
	global_load_dwordx2 v[72:73], v[74:75], off
	;; [unrolled: 1-line block ×3, first 2 shown]
	v_lshlrev_b64 v[7:8], 3, v[14:15]
	v_add_nc_u32_e32 v14, -16, v12
	global_load_dwordx2 v[76:77], v[78:79], off
	v_add_co_u32 v84, vcc_lo, s12, v7
	v_add_co_ci_u32_e64 v85, null, s13, v8, vcc_lo
	v_fma_f64 v[7:8], v[44:45], v[26:27], v[10:11]
	v_lshlrev_b64 v[26:27], 3, v[14:15]
	v_add_nc_u32_e32 v14, -2, v12
	v_lshlrev_b64 v[43:44], 3, v[14:15]
	v_add_nc_u32_e32 v14, -15, v12
	v_add_co_u32 v26, vcc_lo, s12, v26
	s_waitcnt vmcnt(18)
	v_fma_f64 v[18:19], v[18:19], v[30:31], v[82:83]
	v_add_co_ci_u32_e64 v27, null, s13, v27, vcc_lo
	v_lshlrev_b64 v[78:79], 3, v[14:15]
	v_add_nc_u32_e32 v14, 12, v42
	v_add_co_u32 v42, vcc_lo, s12, v43
	v_add_co_ci_u32_e64 v43, null, s13, v44, vcc_lo
	global_load_dwordx2 v[26:27], v[26:27], off
	v_add_co_u32 v78, vcc_lo, s12, v78
	v_fma_f64 v[28:29], v[46:47], v[28:29], v[7:8]
	global_load_dwordx4 v[7:10], v[80:81], off
	s_clause 0x1
	global_load_dwordx2 v[45:46], v[84:85], off
	global_load_dwordx2 v[42:43], v[42:43], off
	v_lshlrev_b64 v[80:81], 3, v[14:15]
	v_add_nc_u32_e32 v14, -1, v12
	v_add_co_ci_u32_e64 v79, null, s13, v79, vcc_lo
	v_fma_f64 v[82:83], v[20:21], v[32:33], v[18:19]
	v_lshlrev_b64 v[18:19], 3, v[14:15]
	v_add_co_u32 v20, vcc_lo, s14, v80
	v_add_co_ci_u32_e64 v21, null, s15, v81, vcc_lo
	global_load_dwordx2 v[78:79], v[78:79], off
	v_add_co_u32 v80, vcc_lo, s12, v18
	v_add_co_ci_u32_e64 v81, null, s13, v19, vcc_lo
	global_load_dwordx4 v[18:21], v[20:21], off
	global_load_dwordx2 v[80:81], v[80:81], off
	s_waitcnt vmcnt(24)
	v_fma_f64 v[28:29], v[48:49], v[30:31], v[28:29]
	v_add_nc_u32_e32 v14, -14, v12
	v_lshlrev_b64 v[30:31], 3, v[12:13]
	v_add_nc_u32_e32 v12, 0x380, v12
	v_add_co_u32 v13, vcc_lo, s12, v30
	s_waitcnt vmcnt(23)
	v_fma_f64 v[28:29], v[50:51], v[32:33], v[28:29]
	v_lshlrev_b64 v[32:33], 3, v[14:15]
	v_add_co_ci_u32_e64 v14, null, s13, v31, vcc_lo
	v_add_co_u32 v30, vcc_lo, s12, v32
	v_add_co_ci_u32_e64 v31, null, s13, v33, vcc_lo
	s_clause 0x1
	global_load_dwordx2 v[30:31], v[30:31], off
	global_load_dwordx2 v[13:14], v[13:14], off
	s_waitcnt vmcnt(21)
	v_fma_f64 v[32:33], v[52:53], v[34:35], v[82:83]
	v_cmp_ge_i32_e32 vcc_lo, v6, v17
	s_or_b32 s0, vcc_lo, s0
	v_fma_f64 v[28:29], v[56:57], v[34:35], v[28:29]
	v_fma_f64 v[32:33], v[58:59], v[36:37], v[32:33]
	s_waitcnt vmcnt(20)
	v_fma_f64 v[28:29], v[54:55], v[36:37], v[28:29]
	s_waitcnt vmcnt(16)
	v_fma_f64 v[32:33], v[62:63], v[38:39], v[32:33]
	v_fma_f64 v[28:29], v[60:61], v[38:39], v[28:29]
	;; [unrolled: 1-line block ×3, first 2 shown]
	s_waitcnt vmcnt(15)
	v_fma_f64 v[28:29], v[66:67], v[40:41], v[28:29]
	s_waitcnt vmcnt(13)
	v_fma_f64 v[32:33], v[68:69], v[22:23], v[32:33]
	;; [unrolled: 2-line block ×7, first 2 shown]
	v_fma_f64 v[22:23], v[26:27], v[9:10], v[24:25]
	s_waitcnt vmcnt(5)
	v_fma_f64 v[7:8], v[42:43], v[9:10], v[7:8]
	s_waitcnt vmcnt(3)
	;; [unrolled: 2-line block ×5, first 2 shown]
	v_fma_f64 v[10:11], v[13:14], v[20:21], v[18:19]
	s_andn2_b32 exec_lo, exec_lo, s0
	s_cbranch_execnz .LBB139_15
; %bb.16:
	s_or_b32 exec_lo, exec_lo, s0
.LBB139_17:
	s_or_b32 exec_lo, exec_lo, s1
.LBB139_18:
	v_mbcnt_lo_u32_b32 v14, -1, 0
	v_xor_b32_e32 v6, 16, v14
	v_cmp_gt_i32_e32 vcc_lo, 32, v6
	v_cndmask_b32_e32 v6, v14, v6, vcc_lo
	v_lshlrev_b32_e32 v13, 2, v6
	ds_bpermute_b32 v6, v13, v8
	ds_bpermute_b32 v7, v13, v9
	;; [unrolled: 1-line block ×4, first 2 shown]
	s_waitcnt lgkmcnt(2)
	v_add_f64 v[6:7], v[8:9], v[6:7]
	s_waitcnt lgkmcnt(0)
	v_add_f64 v[8:9], v[10:11], v[12:13]
	v_xor_b32_e32 v10, 8, v14
	v_cmp_gt_i32_e32 vcc_lo, 32, v10
	v_cndmask_b32_e32 v10, v14, v10, vcc_lo
	v_lshlrev_b32_e32 v13, 2, v10
	ds_bpermute_b32 v10, v13, v6
	ds_bpermute_b32 v11, v13, v7
	;; [unrolled: 1-line block ×4, first 2 shown]
	s_waitcnt lgkmcnt(2)
	v_add_f64 v[6:7], v[6:7], v[10:11]
	v_xor_b32_e32 v10, 4, v14
	s_waitcnt lgkmcnt(0)
	v_add_f64 v[8:9], v[8:9], v[12:13]
	v_cmp_gt_i32_e32 vcc_lo, 32, v10
	v_cndmask_b32_e32 v10, v14, v10, vcc_lo
	v_lshlrev_b32_e32 v13, 2, v10
	ds_bpermute_b32 v10, v13, v6
	ds_bpermute_b32 v11, v13, v7
	;; [unrolled: 1-line block ×4, first 2 shown]
	s_waitcnt lgkmcnt(2)
	v_add_f64 v[6:7], v[6:7], v[10:11]
	v_xor_b32_e32 v10, 2, v14
	s_waitcnt lgkmcnt(0)
	v_add_f64 v[8:9], v[8:9], v[12:13]
	v_cmp_gt_i32_e32 vcc_lo, 32, v10
	v_cndmask_b32_e32 v10, v14, v10, vcc_lo
	v_lshlrev_b32_e32 v13, 2, v10
	ds_bpermute_b32 v10, v13, v6
	ds_bpermute_b32 v11, v13, v7
	;; [unrolled: 1-line block ×4, first 2 shown]
	s_waitcnt lgkmcnt(2)
	v_add_f64 v[6:7], v[6:7], v[10:11]
	s_waitcnt lgkmcnt(0)
	v_add_f64 v[10:11], v[8:9], v[12:13]
	v_xor_b32_e32 v8, 1, v14
	v_cmp_gt_i32_e32 vcc_lo, 32, v8
	v_cndmask_b32_e32 v8, v14, v8, vcc_lo
	v_cmp_eq_u32_e32 vcc_lo, 31, v0
	v_lshlrev_b32_e32 v13, 2, v8
	ds_bpermute_b32 v8, v13, v6
	ds_bpermute_b32 v9, v13, v7
	;; [unrolled: 1-line block ×4, first 2 shown]
	s_and_b32 exec_lo, exec_lo, vcc_lo
	s_cbranch_execz .LBB139_23
; %bb.19:
	s_waitcnt lgkmcnt(2)
	v_add_f64 v[8:9], v[6:7], v[8:9]
	s_waitcnt lgkmcnt(0)
	v_add_f64 v[6:7], v[10:11], v[12:13]
	s_load_dwordx2 s[0:1], s[4:5], 0x38
	s_mov_b32 s2, exec_lo
	v_cmpx_eq_f64_e32 0, v[3:4]
	s_xor_b32 s2, exec_lo, s2
	s_cbranch_execz .LBB139_21
; %bb.20:
	v_lshlrev_b32_e32 v0, 1, v5
	v_mul_f64 v[3:4], v[1:2], v[8:9]
	v_mul_f64 v[5:6], v[1:2], v[6:7]
                                        ; implicit-def: $vgpr8_vgpr9
	v_ashrrev_i32_e32 v1, 31, v0
	v_lshlrev_b64 v[0:1], 3, v[0:1]
	s_waitcnt lgkmcnt(0)
	v_add_co_u32 v0, vcc_lo, s0, v0
	v_add_co_ci_u32_e64 v1, null, s1, v1, vcc_lo
	global_store_dwordx4 v[0:1], v[3:6], off
                                        ; implicit-def: $vgpr5
                                        ; implicit-def: $vgpr1_vgpr2
                                        ; implicit-def: $vgpr3_vgpr4
                                        ; implicit-def: $vgpr6_vgpr7
.LBB139_21:
	s_andn2_saveexec_b32 s2, s2
	s_cbranch_execz .LBB139_23
; %bb.22:
	v_lshlrev_b32_e32 v10, 1, v5
	v_mul_f64 v[8:9], v[1:2], v[8:9]
	v_mul_f64 v[5:6], v[1:2], v[6:7]
	v_ashrrev_i32_e32 v11, 31, v10
	v_lshlrev_b64 v[10:11], 3, v[10:11]
	s_waitcnt lgkmcnt(0)
	v_add_co_u32 v14, vcc_lo, s0, v10
	v_add_co_ci_u32_e64 v15, null, s1, v11, vcc_lo
	global_load_dwordx4 v[10:13], v[14:15], off
	s_waitcnt vmcnt(0)
	v_fma_f64 v[0:1], v[3:4], v[10:11], v[8:9]
	v_fma_f64 v[2:3], v[3:4], v[12:13], v[5:6]
	global_store_dwordx4 v[14:15], v[0:3], off
.LBB139_23:
	s_endpgm
	.section	.rodata,"a",@progbits
	.p2align	6, 0x0
	.amdhsa_kernel _ZN9rocsparseL19gebsrmvn_2xn_kernelILj128ELj14ELj32EdEEvi20rocsparse_direction_NS_24const_host_device_scalarIT2_EEPKiS6_PKS3_S8_S4_PS3_21rocsparse_index_base_b
		.amdhsa_group_segment_fixed_size 0
		.amdhsa_private_segment_fixed_size 0
		.amdhsa_kernarg_size 72
		.amdhsa_user_sgpr_count 6
		.amdhsa_user_sgpr_private_segment_buffer 1
		.amdhsa_user_sgpr_dispatch_ptr 0
		.amdhsa_user_sgpr_queue_ptr 0
		.amdhsa_user_sgpr_kernarg_segment_ptr 1
		.amdhsa_user_sgpr_dispatch_id 0
		.amdhsa_user_sgpr_flat_scratch_init 0
		.amdhsa_user_sgpr_private_segment_size 0
		.amdhsa_wavefront_size32 1
		.amdhsa_uses_dynamic_stack 0
		.amdhsa_system_sgpr_private_segment_wavefront_offset 0
		.amdhsa_system_sgpr_workgroup_id_x 1
		.amdhsa_system_sgpr_workgroup_id_y 0
		.amdhsa_system_sgpr_workgroup_id_z 0
		.amdhsa_system_sgpr_workgroup_info 0
		.amdhsa_system_vgpr_workitem_id 0
		.amdhsa_next_free_vgpr 98
		.amdhsa_next_free_sgpr 16
		.amdhsa_reserve_vcc 1
		.amdhsa_reserve_flat_scratch 0
		.amdhsa_float_round_mode_32 0
		.amdhsa_float_round_mode_16_64 0
		.amdhsa_float_denorm_mode_32 3
		.amdhsa_float_denorm_mode_16_64 3
		.amdhsa_dx10_clamp 1
		.amdhsa_ieee_mode 1
		.amdhsa_fp16_overflow 0
		.amdhsa_workgroup_processor_mode 1
		.amdhsa_memory_ordered 1
		.amdhsa_forward_progress 1
		.amdhsa_shared_vgpr_count 0
		.amdhsa_exception_fp_ieee_invalid_op 0
		.amdhsa_exception_fp_denorm_src 0
		.amdhsa_exception_fp_ieee_div_zero 0
		.amdhsa_exception_fp_ieee_overflow 0
		.amdhsa_exception_fp_ieee_underflow 0
		.amdhsa_exception_fp_ieee_inexact 0
		.amdhsa_exception_int_div_zero 0
	.end_amdhsa_kernel
	.section	.text._ZN9rocsparseL19gebsrmvn_2xn_kernelILj128ELj14ELj32EdEEvi20rocsparse_direction_NS_24const_host_device_scalarIT2_EEPKiS6_PKS3_S8_S4_PS3_21rocsparse_index_base_b,"axG",@progbits,_ZN9rocsparseL19gebsrmvn_2xn_kernelILj128ELj14ELj32EdEEvi20rocsparse_direction_NS_24const_host_device_scalarIT2_EEPKiS6_PKS3_S8_S4_PS3_21rocsparse_index_base_b,comdat
.Lfunc_end139:
	.size	_ZN9rocsparseL19gebsrmvn_2xn_kernelILj128ELj14ELj32EdEEvi20rocsparse_direction_NS_24const_host_device_scalarIT2_EEPKiS6_PKS3_S8_S4_PS3_21rocsparse_index_base_b, .Lfunc_end139-_ZN9rocsparseL19gebsrmvn_2xn_kernelILj128ELj14ELj32EdEEvi20rocsparse_direction_NS_24const_host_device_scalarIT2_EEPKiS6_PKS3_S8_S4_PS3_21rocsparse_index_base_b
                                        ; -- End function
	.set _ZN9rocsparseL19gebsrmvn_2xn_kernelILj128ELj14ELj32EdEEvi20rocsparse_direction_NS_24const_host_device_scalarIT2_EEPKiS6_PKS3_S8_S4_PS3_21rocsparse_index_base_b.num_vgpr, 98
	.set _ZN9rocsparseL19gebsrmvn_2xn_kernelILj128ELj14ELj32EdEEvi20rocsparse_direction_NS_24const_host_device_scalarIT2_EEPKiS6_PKS3_S8_S4_PS3_21rocsparse_index_base_b.num_agpr, 0
	.set _ZN9rocsparseL19gebsrmvn_2xn_kernelILj128ELj14ELj32EdEEvi20rocsparse_direction_NS_24const_host_device_scalarIT2_EEPKiS6_PKS3_S8_S4_PS3_21rocsparse_index_base_b.numbered_sgpr, 16
	.set _ZN9rocsparseL19gebsrmvn_2xn_kernelILj128ELj14ELj32EdEEvi20rocsparse_direction_NS_24const_host_device_scalarIT2_EEPKiS6_PKS3_S8_S4_PS3_21rocsparse_index_base_b.num_named_barrier, 0
	.set _ZN9rocsparseL19gebsrmvn_2xn_kernelILj128ELj14ELj32EdEEvi20rocsparse_direction_NS_24const_host_device_scalarIT2_EEPKiS6_PKS3_S8_S4_PS3_21rocsparse_index_base_b.private_seg_size, 0
	.set _ZN9rocsparseL19gebsrmvn_2xn_kernelILj128ELj14ELj32EdEEvi20rocsparse_direction_NS_24const_host_device_scalarIT2_EEPKiS6_PKS3_S8_S4_PS3_21rocsparse_index_base_b.uses_vcc, 1
	.set _ZN9rocsparseL19gebsrmvn_2xn_kernelILj128ELj14ELj32EdEEvi20rocsparse_direction_NS_24const_host_device_scalarIT2_EEPKiS6_PKS3_S8_S4_PS3_21rocsparse_index_base_b.uses_flat_scratch, 0
	.set _ZN9rocsparseL19gebsrmvn_2xn_kernelILj128ELj14ELj32EdEEvi20rocsparse_direction_NS_24const_host_device_scalarIT2_EEPKiS6_PKS3_S8_S4_PS3_21rocsparse_index_base_b.has_dyn_sized_stack, 0
	.set _ZN9rocsparseL19gebsrmvn_2xn_kernelILj128ELj14ELj32EdEEvi20rocsparse_direction_NS_24const_host_device_scalarIT2_EEPKiS6_PKS3_S8_S4_PS3_21rocsparse_index_base_b.has_recursion, 0
	.set _ZN9rocsparseL19gebsrmvn_2xn_kernelILj128ELj14ELj32EdEEvi20rocsparse_direction_NS_24const_host_device_scalarIT2_EEPKiS6_PKS3_S8_S4_PS3_21rocsparse_index_base_b.has_indirect_call, 0
	.section	.AMDGPU.csdata,"",@progbits
; Kernel info:
; codeLenInByte = 3612
; TotalNumSgprs: 18
; NumVgprs: 98
; ScratchSize: 0
; MemoryBound: 1
; FloatMode: 240
; IeeeMode: 1
; LDSByteSize: 0 bytes/workgroup (compile time only)
; SGPRBlocks: 0
; VGPRBlocks: 12
; NumSGPRsForWavesPerEU: 18
; NumVGPRsForWavesPerEU: 98
; Occupancy: 9
; WaveLimiterHint : 1
; COMPUTE_PGM_RSRC2:SCRATCH_EN: 0
; COMPUTE_PGM_RSRC2:USER_SGPR: 6
; COMPUTE_PGM_RSRC2:TRAP_HANDLER: 0
; COMPUTE_PGM_RSRC2:TGID_X_EN: 1
; COMPUTE_PGM_RSRC2:TGID_Y_EN: 0
; COMPUTE_PGM_RSRC2:TGID_Z_EN: 0
; COMPUTE_PGM_RSRC2:TIDIG_COMP_CNT: 0
	.section	.text._ZN9rocsparseL19gebsrmvn_2xn_kernelILj128ELj14ELj64EdEEvi20rocsparse_direction_NS_24const_host_device_scalarIT2_EEPKiS6_PKS3_S8_S4_PS3_21rocsparse_index_base_b,"axG",@progbits,_ZN9rocsparseL19gebsrmvn_2xn_kernelILj128ELj14ELj64EdEEvi20rocsparse_direction_NS_24const_host_device_scalarIT2_EEPKiS6_PKS3_S8_S4_PS3_21rocsparse_index_base_b,comdat
	.globl	_ZN9rocsparseL19gebsrmvn_2xn_kernelILj128ELj14ELj64EdEEvi20rocsparse_direction_NS_24const_host_device_scalarIT2_EEPKiS6_PKS3_S8_S4_PS3_21rocsparse_index_base_b ; -- Begin function _ZN9rocsparseL19gebsrmvn_2xn_kernelILj128ELj14ELj64EdEEvi20rocsparse_direction_NS_24const_host_device_scalarIT2_EEPKiS6_PKS3_S8_S4_PS3_21rocsparse_index_base_b
	.p2align	8
	.type	_ZN9rocsparseL19gebsrmvn_2xn_kernelILj128ELj14ELj64EdEEvi20rocsparse_direction_NS_24const_host_device_scalarIT2_EEPKiS6_PKS3_S8_S4_PS3_21rocsparse_index_base_b,@function
_ZN9rocsparseL19gebsrmvn_2xn_kernelILj128ELj14ELj64EdEEvi20rocsparse_direction_NS_24const_host_device_scalarIT2_EEPKiS6_PKS3_S8_S4_PS3_21rocsparse_index_base_b: ; @_ZN9rocsparseL19gebsrmvn_2xn_kernelILj128ELj14ELj64EdEEvi20rocsparse_direction_NS_24const_host_device_scalarIT2_EEPKiS6_PKS3_S8_S4_PS3_21rocsparse_index_base_b
; %bb.0:
	s_clause 0x2
	s_load_dwordx2 s[2:3], s[4:5], 0x40
	s_load_dwordx2 s[8:9], s[4:5], 0x8
	;; [unrolled: 1-line block ×3, first 2 shown]
	s_waitcnt lgkmcnt(0)
	s_bitcmp1_b32 s3, 0
	v_mov_b32_e32 v1, s8
	v_mov_b32_e32 v2, s9
	s_cselect_b32 s3, -1, 0
	s_and_b32 vcc_lo, exec_lo, s3
	s_xor_b32 s3, s3, -1
	s_cbranch_vccnz .LBB140_2
; %bb.1:
	v_mov_b32_e32 v1, s8
	v_mov_b32_e32 v2, s9
	flat_load_dwordx2 v[1:2], v[1:2]
.LBB140_2:
	v_mov_b32_e32 v4, s1
	v_mov_b32_e32 v3, s0
	s_andn2_b32 vcc_lo, exec_lo, s3
	s_cbranch_vccnz .LBB140_4
; %bb.3:
	v_mov_b32_e32 v4, s1
	v_mov_b32_e32 v3, s0
	flat_load_dwordx2 v[3:4], v[3:4]
.LBB140_4:
	s_waitcnt vmcnt(0) lgkmcnt(0)
	v_cmp_neq_f64_e32 vcc_lo, 0, v[1:2]
	v_cmp_neq_f64_e64 s0, 1.0, v[3:4]
	s_or_b32 s0, vcc_lo, s0
	s_and_saveexec_b32 s1, s0
	s_cbranch_execz .LBB140_23
; %bb.5:
	s_load_dwordx2 s[0:1], s[4:5], 0x0
	v_lshrrev_b32_e32 v5, 6, v0
	v_lshl_or_b32 v5, s6, 1, v5
	s_waitcnt lgkmcnt(0)
	v_cmp_gt_i32_e32 vcc_lo, s0, v5
	s_and_b32 exec_lo, exec_lo, vcc_lo
	s_cbranch_execz .LBB140_23
; %bb.6:
	s_load_dwordx8 s[8:15], s[4:5], 0x10
	v_ashrrev_i32_e32 v6, 31, v5
	v_and_b32_e32 v0, 63, v0
	s_cmp_lg_u32 s1, 0
	v_lshlrev_b64 v[6:7], 2, v[5:6]
	s_waitcnt lgkmcnt(0)
	v_add_co_u32 v6, vcc_lo, s8, v6
	v_add_co_ci_u32_e64 v7, null, s9, v7, vcc_lo
	global_load_dwordx2 v[6:7], v[6:7], off
	s_waitcnt vmcnt(0)
	v_subrev_nc_u32_e32 v6, s2, v6
	v_subrev_nc_u32_e32 v17, s2, v7
	v_add_nc_u32_e32 v6, v6, v0
	v_cmp_lt_i32_e64 s0, v6, v17
	s_cbranch_scc0 .LBB140_12
; %bb.7:
	v_mov_b32_e32 v8, 0
	v_mov_b32_e32 v10, 0
	;; [unrolled: 1-line block ×4, first 2 shown]
	s_and_saveexec_b32 s1, s0
	s_cbranch_execz .LBB140_11
; %bb.8:
	v_mad_u64_u32 v[12:13], null, v6, 28, 26
	v_mov_b32_e32 v8, 0
	v_mov_b32_e32 v10, 0
	;; [unrolled: 1-line block ×6, first 2 shown]
	s_mov_b32 s3, 0
.LBB140_9:                              ; =>This Inner Loop Header: Depth=1
	v_ashrrev_i32_e32 v16, 31, v15
	v_subrev_nc_u32_e32 v13, 26, v12
	v_mov_b32_e32 v91, v14
	v_lshlrev_b64 v[18:19], 2, v[15:16]
	v_add_nc_u32_e32 v15, 64, v15
	v_add_co_u32 v18, vcc_lo, s10, v18
	v_add_co_ci_u32_e64 v19, null, s11, v19, vcc_lo
	global_load_dword v7, v[18:19], off
	v_lshlrev_b64 v[18:19], 3, v[13:14]
	v_subrev_nc_u32_e32 v13, 22, v12
	v_lshlrev_b64 v[30:31], 3, v[13:14]
	v_add_co_u32 v22, vcc_lo, s12, v18
	v_add_co_ci_u32_e64 v23, null, s13, v19, vcc_lo
	s_clause 0x1
	global_load_dwordx4 v[18:21], v[22:23], off offset:16
	global_load_dwordx4 v[22:25], v[22:23], off
	s_waitcnt vmcnt(2)
	v_subrev_nc_u32_e32 v7, s2, v7
	v_mul_lo_u32 v90, v7, 14
	v_lshlrev_b64 v[26:27], 3, v[90:91]
	v_add_nc_u32_e32 v13, 2, v90
	v_lshlrev_b64 v[32:33], 3, v[13:14]
	v_add_co_u32 v26, vcc_lo, s14, v26
	v_add_co_ci_u32_e64 v27, null, s15, v27, vcc_lo
	v_add_co_u32 v30, vcc_lo, s12, v30
	v_add_co_ci_u32_e64 v31, null, s13, v31, vcc_lo
	global_load_dwordx4 v[26:29], v[26:27], off
	v_add_co_u32 v34, vcc_lo, s14, v32
	v_add_co_ci_u32_e64 v35, null, s15, v33, vcc_lo
	global_load_dwordx4 v[30:33], v[30:31], off
	global_load_dwordx4 v[34:37], v[34:35], off
	v_subrev_nc_u32_e32 v13, 20, v12
	v_lshlrev_b64 v[38:39], 3, v[13:14]
	v_subrev_nc_u32_e32 v13, 18, v12
	v_add_co_u32 v38, vcc_lo, s12, v38
	v_add_co_ci_u32_e64 v39, null, s13, v39, vcc_lo
	v_lshlrev_b64 v[42:43], 3, v[13:14]
	v_add_nc_u32_e32 v13, 4, v90
	global_load_dwordx4 v[38:41], v[38:39], off
	v_lshlrev_b64 v[44:45], 3, v[13:14]
	v_add_co_u32 v42, vcc_lo, s12, v42
	v_add_co_ci_u32_e64 v43, null, s13, v43, vcc_lo
	v_add_nc_u32_e32 v13, -16, v12
	v_add_co_u32 v46, vcc_lo, s14, v44
	v_add_co_ci_u32_e64 v47, null, s15, v45, vcc_lo
	global_load_dwordx4 v[42:45], v[42:43], off
	global_load_dwordx4 v[46:49], v[46:47], off
	v_lshlrev_b64 v[50:51], 3, v[13:14]
	v_add_nc_u32_e32 v13, -14, v12
	v_add_co_u32 v50, vcc_lo, s12, v50
	v_add_co_ci_u32_e64 v51, null, s13, v51, vcc_lo
	v_lshlrev_b64 v[54:55], 3, v[13:14]
	v_add_nc_u32_e32 v13, 6, v90
	global_load_dwordx4 v[50:53], v[50:51], off
	v_lshlrev_b64 v[56:57], 3, v[13:14]
	v_add_co_u32 v54, vcc_lo, s12, v54
	v_add_co_ci_u32_e64 v55, null, s13, v55, vcc_lo
	v_add_nc_u32_e32 v13, -12, v12
	v_add_co_u32 v58, vcc_lo, s14, v56
	v_add_co_ci_u32_e64 v59, null, s15, v57, vcc_lo
	global_load_dwordx4 v[54:57], v[54:55], off
	global_load_dwordx4 v[58:61], v[58:59], off
	v_lshlrev_b64 v[62:63], 3, v[13:14]
	v_add_nc_u32_e32 v13, -10, v12
	;; [unrolled: 15-line block ×4, first 2 shown]
	v_add_co_u32 v86, vcc_lo, s12, v86
	v_add_co_ci_u32_e64 v87, null, s13, v87, vcc_lo
	v_lshlrev_b64 v[91:92], 3, v[13:14]
	v_add_nc_u32_e32 v13, 12, v90
	global_load_dwordx4 v[86:89], v[86:87], off
	v_lshlrev_b64 v[93:94], 3, v[13:14]
	v_add_co_u32 v90, vcc_lo, s12, v91
	v_add_co_ci_u32_e64 v91, null, s13, v92, vcc_lo
	v_mov_b32_e32 v13, v14
	v_add_co_u32 v95, vcc_lo, s14, v93
	v_add_co_ci_u32_e64 v96, null, s15, v94, vcc_lo
	global_load_dwordx4 v[90:93], v[90:91], off
	global_load_dwordx4 v[94:97], v[95:96], off
	s_waitcnt vmcnt(17)
	v_fma_f64 v[22:23], v[22:23], v[26:27], v[8:9]
	v_lshlrev_b64 v[7:8], 3, v[12:13]
	v_fma_f64 v[24:25], v[24:25], v[26:27], v[10:11]
	v_add_nc_u32_e32 v12, 0x700, v12
	v_add_co_u32 v7, vcc_lo, s12, v7
	v_add_co_ci_u32_e64 v8, null, s13, v8, vcc_lo
	v_cmp_ge_i32_e32 vcc_lo, v15, v17
	global_load_dwordx4 v[8:11], v[7:8], off
	s_or_b32 s3, vcc_lo, s3
	v_fma_f64 v[18:19], v[18:19], v[28:29], v[22:23]
	v_fma_f64 v[20:21], v[20:21], v[28:29], v[24:25]
	s_waitcnt vmcnt(16)
	v_fma_f64 v[18:19], v[30:31], v[34:35], v[18:19]
	v_fma_f64 v[20:21], v[32:33], v[34:35], v[20:21]
	s_waitcnt vmcnt(15)
	;; [unrolled: 3-line block ×12, first 2 shown]
	v_fma_f64 v[8:9], v[8:9], v[96:97], v[18:19]
	v_fma_f64 v[10:11], v[10:11], v[96:97], v[20:21]
	s_andn2_b32 exec_lo, exec_lo, s3
	s_cbranch_execnz .LBB140_9
; %bb.10:
	s_or_b32 exec_lo, exec_lo, s3
.LBB140_11:
	s_or_b32 exec_lo, exec_lo, s1
	s_cbranch_execz .LBB140_13
	s_branch .LBB140_18
.LBB140_12:
                                        ; implicit-def: $vgpr8_vgpr9
                                        ; implicit-def: $vgpr10_vgpr11
.LBB140_13:
	v_mov_b32_e32 v8, 0
	v_mov_b32_e32 v10, 0
	v_mov_b32_e32 v9, 0
	v_mov_b32_e32 v11, 0
	s_and_saveexec_b32 s1, s0
	s_cbranch_execz .LBB140_17
; %bb.14:
	v_mad_u64_u32 v[12:13], null, v6, 28, 27
	v_mov_b32_e32 v8, 0
	v_mov_b32_e32 v10, 0
	;; [unrolled: 1-line block ×5, first 2 shown]
	s_mov_b32 s0, 0
.LBB140_15:                             ; =>This Inner Loop Header: Depth=1
	v_ashrrev_i32_e32 v7, 31, v6
	v_add_nc_u32_e32 v18, -13, v12
	v_mov_b32_e32 v19, v15
	v_mov_b32_e32 v43, v15
	v_lshlrev_b64 v[13:14], 2, v[6:7]
	v_add_nc_u32_e32 v6, 64, v6
	v_lshlrev_b64 v[18:19], 3, v[18:19]
	v_add_co_u32 v13, vcc_lo, s10, v13
	v_add_co_ci_u32_e64 v14, null, s11, v14, vcc_lo
	global_load_dword v7, v[13:14], off
	v_subrev_nc_u32_e32 v14, 27, v12
	v_mov_b32_e32 v13, v15
	v_lshlrev_b64 v[20:21], 3, v[14:15]
	v_add_nc_u32_e32 v14, -12, v12
	v_lshlrev_b64 v[22:23], 3, v[14:15]
	v_add_co_u32 v24, vcc_lo, s12, v20
	v_add_co_ci_u32_e64 v25, null, s13, v21, vcc_lo
	v_add_co_u32 v26, vcc_lo, s12, v18
	v_add_co_ci_u32_e64 v27, null, s13, v19, vcc_lo
	;; [unrolled: 2-line block ×3, first 2 shown]
	s_clause 0x3
	global_load_dwordx4 v[18:21], v[24:25], off offset:16
	global_load_dwordx4 v[22:25], v[24:25], off
	global_load_dwordx2 v[44:45], v[26:27], off
	global_load_dwordx2 v[46:47], v[28:29], off
	s_waitcnt vmcnt(4)
	v_subrev_nc_u32_e32 v7, s2, v7
	v_mul_lo_u32 v42, v7, 14
	v_lshlrev_b64 v[26:27], 3, v[42:43]
	v_add_nc_u32_e32 v14, 2, v42
	v_lshlrev_b64 v[30:31], 3, v[14:15]
	v_add_co_u32 v26, vcc_lo, s14, v26
	v_add_co_ci_u32_e64 v27, null, s15, v27, vcc_lo
	v_add_nc_u32_e32 v14, -11, v12
	v_add_co_u32 v30, vcc_lo, s14, v30
	global_load_dwordx4 v[26:29], v[26:27], off
	v_add_co_ci_u32_e64 v31, null, s15, v31, vcc_lo
	v_lshlrev_b64 v[34:35], 3, v[14:15]
	v_add_nc_u32_e32 v14, -10, v12
	global_load_dwordx4 v[30:33], v[30:31], off
	v_add_co_u32 v34, vcc_lo, s12, v34
	v_add_co_ci_u32_e64 v35, null, s13, v35, vcc_lo
	v_lshlrev_b64 v[36:37], 3, v[14:15]
	v_subrev_nc_u32_e32 v14, 23, v12
	global_load_dwordx2 v[48:49], v[34:35], off
	v_add_co_u32 v34, vcc_lo, s12, v36
	v_add_co_ci_u32_e64 v35, null, s13, v37, vcc_lo
	v_lshlrev_b64 v[38:39], 3, v[14:15]
	v_add_nc_u32_e32 v14, 4, v42
	global_load_dwordx2 v[50:51], v[34:35], off
	v_lshlrev_b64 v[36:37], 3, v[14:15]
	v_add_nc_u32_e32 v14, -9, v12
	v_add_co_u32 v34, vcc_lo, s12, v38
	v_add_co_ci_u32_e64 v35, null, s13, v39, vcc_lo
	v_lshlrev_b64 v[38:39], 3, v[14:15]
	v_subrev_nc_u32_e32 v14, 22, v12
	v_add_co_u32 v36, vcc_lo, s14, v36
	v_add_co_ci_u32_e64 v37, null, s15, v37, vcc_lo
	v_lshlrev_b64 v[40:41], 3, v[14:15]
	v_add_co_u32 v38, vcc_lo, s12, v38
	v_add_co_ci_u32_e64 v39, null, s13, v39, vcc_lo
	global_load_dwordx2 v[52:53], v[34:35], off
	v_add_co_u32 v40, vcc_lo, s12, v40
	v_add_co_ci_u32_e64 v41, null, s13, v41, vcc_lo
	global_load_dwordx2 v[56:57], v[38:39], off
	v_add_nc_u32_e32 v14, -8, v12
	global_load_dwordx2 v[58:59], v[40:41], off
	global_load_dwordx4 v[34:37], v[36:37], off
	v_lshlrev_b64 v[54:55], 3, v[14:15]
	v_subrev_nc_u32_e32 v14, 21, v12
	v_add_co_u32 v54, vcc_lo, s12, v54
	v_lshlrev_b64 v[38:39], 3, v[14:15]
	v_add_nc_u32_e32 v14, 6, v42
	v_add_co_ci_u32_e64 v55, null, s13, v55, vcc_lo
	v_lshlrev_b64 v[40:41], 3, v[14:15]
	v_add_nc_u32_e32 v14, -7, v12
	global_load_dwordx2 v[54:55], v[54:55], off
	v_add_co_u32 v38, vcc_lo, s12, v38
	v_add_co_ci_u32_e64 v39, null, s13, v39, vcc_lo
	v_lshlrev_b64 v[60:61], 3, v[14:15]
	v_subrev_nc_u32_e32 v14, 20, v12
	v_add_co_u32 v40, vcc_lo, s14, v40
	v_add_co_ci_u32_e64 v41, null, s15, v41, vcc_lo
	v_lshlrev_b64 v[64:65], 3, v[14:15]
	v_add_co_u32 v60, vcc_lo, s12, v60
	v_add_co_ci_u32_e64 v61, null, s13, v61, vcc_lo
	v_add_nc_u32_e32 v14, -6, v12
	v_add_co_u32 v64, vcc_lo, s12, v64
	v_add_co_ci_u32_e64 v65, null, s13, v65, vcc_lo
	global_load_dwordx2 v[60:61], v[60:61], off
	v_lshlrev_b64 v[66:67], 3, v[14:15]
	v_subrev_nc_u32_e32 v14, 19, v12
	s_clause 0x1
	global_load_dwordx2 v[64:65], v[64:65], off
	global_load_dwordx2 v[62:63], v[38:39], off
	global_load_dwordx4 v[38:41], v[40:41], off
	v_add_co_u32 v66, vcc_lo, s12, v66
	v_lshlrev_b64 v[68:69], 3, v[14:15]
	v_add_nc_u32_e32 v14, 8, v42
	v_add_co_ci_u32_e64 v67, null, s13, v67, vcc_lo
	v_lshlrev_b64 v[70:71], 3, v[14:15]
	v_add_nc_u32_e32 v14, -5, v12
	global_load_dwordx2 v[66:67], v[66:67], off
	v_add_co_u32 v68, vcc_lo, s12, v68
	v_add_co_ci_u32_e64 v69, null, s13, v69, vcc_lo
	v_lshlrev_b64 v[72:73], 3, v[14:15]
	v_subrev_nc_u32_e32 v14, 18, v12
	v_add_co_u32 v70, vcc_lo, s14, v70
	v_add_co_ci_u32_e64 v71, null, s15, v71, vcc_lo
	v_lshlrev_b64 v[74:75], 3, v[14:15]
	v_add_nc_u32_e32 v14, -4, v12
	v_add_co_u32 v72, vcc_lo, s12, v72
	v_add_co_ci_u32_e64 v73, null, s13, v73, vcc_lo
	v_lshlrev_b64 v[76:77], 3, v[14:15]
	v_add_co_u32 v74, vcc_lo, s12, v74
	v_add_co_ci_u32_e64 v75, null, s13, v75, vcc_lo
	v_subrev_nc_u32_e32 v14, 17, v12
	v_add_co_u32 v76, vcc_lo, s12, v76
	global_load_dwordx2 v[68:69], v[68:69], off
	v_add_co_ci_u32_e64 v77, null, s13, v77, vcc_lo
	v_lshlrev_b64 v[78:79], 3, v[14:15]
	v_add_nc_u32_e32 v14, 10, v42
	v_lshlrev_b64 v[80:81], 3, v[14:15]
	v_add_nc_u32_e32 v14, -3, v12
	v_add_co_u32 v78, vcc_lo, s12, v78
	v_add_co_ci_u32_e64 v79, null, s13, v79, vcc_lo
	v_add_co_u32 v80, vcc_lo, s14, v80
	v_add_co_ci_u32_e64 v81, null, s15, v81, vcc_lo
	s_waitcnt vmcnt(14)
	v_fma_f64 v[7:8], v[22:23], v[26:27], v[8:9]
	v_fma_f64 v[82:83], v[24:25], v[28:29], v[7:8]
	global_load_dwordx4 v[22:25], v[70:71], off
	s_clause 0x2
	global_load_dwordx2 v[70:71], v[72:73], off
	global_load_dwordx2 v[72:73], v[74:75], off
	;; [unrolled: 1-line block ×3, first 2 shown]
	v_lshlrev_b64 v[7:8], 3, v[14:15]
	v_add_nc_u32_e32 v14, -16, v12
	global_load_dwordx2 v[76:77], v[78:79], off
	v_add_co_u32 v84, vcc_lo, s12, v7
	v_add_co_ci_u32_e64 v85, null, s13, v8, vcc_lo
	v_fma_f64 v[7:8], v[44:45], v[26:27], v[10:11]
	v_lshlrev_b64 v[26:27], 3, v[14:15]
	v_add_nc_u32_e32 v14, -2, v12
	v_lshlrev_b64 v[43:44], 3, v[14:15]
	v_add_nc_u32_e32 v14, -15, v12
	v_add_co_u32 v26, vcc_lo, s12, v26
	s_waitcnt vmcnt(18)
	v_fma_f64 v[18:19], v[18:19], v[30:31], v[82:83]
	v_add_co_ci_u32_e64 v27, null, s13, v27, vcc_lo
	v_lshlrev_b64 v[78:79], 3, v[14:15]
	v_add_nc_u32_e32 v14, 12, v42
	v_add_co_u32 v42, vcc_lo, s12, v43
	v_add_co_ci_u32_e64 v43, null, s13, v44, vcc_lo
	global_load_dwordx2 v[26:27], v[26:27], off
	v_add_co_u32 v78, vcc_lo, s12, v78
	v_fma_f64 v[28:29], v[46:47], v[28:29], v[7:8]
	global_load_dwordx4 v[7:10], v[80:81], off
	s_clause 0x1
	global_load_dwordx2 v[45:46], v[84:85], off
	global_load_dwordx2 v[42:43], v[42:43], off
	v_lshlrev_b64 v[80:81], 3, v[14:15]
	v_add_nc_u32_e32 v14, -1, v12
	v_add_co_ci_u32_e64 v79, null, s13, v79, vcc_lo
	v_fma_f64 v[82:83], v[20:21], v[32:33], v[18:19]
	v_lshlrev_b64 v[18:19], 3, v[14:15]
	v_add_co_u32 v20, vcc_lo, s14, v80
	v_add_co_ci_u32_e64 v21, null, s15, v81, vcc_lo
	global_load_dwordx2 v[78:79], v[78:79], off
	v_add_co_u32 v80, vcc_lo, s12, v18
	v_add_co_ci_u32_e64 v81, null, s13, v19, vcc_lo
	global_load_dwordx4 v[18:21], v[20:21], off
	global_load_dwordx2 v[80:81], v[80:81], off
	s_waitcnt vmcnt(24)
	v_fma_f64 v[28:29], v[48:49], v[30:31], v[28:29]
	v_add_nc_u32_e32 v14, -14, v12
	v_lshlrev_b64 v[30:31], 3, v[12:13]
	v_add_nc_u32_e32 v12, 0x700, v12
	v_add_co_u32 v13, vcc_lo, s12, v30
	s_waitcnt vmcnt(23)
	v_fma_f64 v[28:29], v[50:51], v[32:33], v[28:29]
	v_lshlrev_b64 v[32:33], 3, v[14:15]
	v_add_co_ci_u32_e64 v14, null, s13, v31, vcc_lo
	v_add_co_u32 v30, vcc_lo, s12, v32
	v_add_co_ci_u32_e64 v31, null, s13, v33, vcc_lo
	s_clause 0x1
	global_load_dwordx2 v[30:31], v[30:31], off
	global_load_dwordx2 v[13:14], v[13:14], off
	s_waitcnt vmcnt(21)
	v_fma_f64 v[32:33], v[52:53], v[34:35], v[82:83]
	v_cmp_ge_i32_e32 vcc_lo, v6, v17
	s_or_b32 s0, vcc_lo, s0
	v_fma_f64 v[28:29], v[56:57], v[34:35], v[28:29]
	v_fma_f64 v[32:33], v[58:59], v[36:37], v[32:33]
	s_waitcnt vmcnt(20)
	v_fma_f64 v[28:29], v[54:55], v[36:37], v[28:29]
	s_waitcnt vmcnt(16)
	v_fma_f64 v[32:33], v[62:63], v[38:39], v[32:33]
	v_fma_f64 v[28:29], v[60:61], v[38:39], v[28:29]
	;; [unrolled: 1-line block ×3, first 2 shown]
	s_waitcnt vmcnt(15)
	v_fma_f64 v[28:29], v[66:67], v[40:41], v[28:29]
	s_waitcnt vmcnt(13)
	v_fma_f64 v[32:33], v[68:69], v[22:23], v[32:33]
	;; [unrolled: 2-line block ×7, first 2 shown]
	v_fma_f64 v[22:23], v[26:27], v[9:10], v[24:25]
	s_waitcnt vmcnt(5)
	v_fma_f64 v[7:8], v[42:43], v[9:10], v[7:8]
	s_waitcnt vmcnt(3)
	;; [unrolled: 2-line block ×5, first 2 shown]
	v_fma_f64 v[10:11], v[13:14], v[20:21], v[18:19]
	s_andn2_b32 exec_lo, exec_lo, s0
	s_cbranch_execnz .LBB140_15
; %bb.16:
	s_or_b32 exec_lo, exec_lo, s0
.LBB140_17:
	s_or_b32 exec_lo, exec_lo, s1
.LBB140_18:
	v_mbcnt_lo_u32_b32 v14, -1, 0
	v_or_b32_e32 v6, 32, v14
	v_cmp_gt_i32_e32 vcc_lo, 32, v6
	v_cndmask_b32_e32 v6, v14, v6, vcc_lo
	v_lshlrev_b32_e32 v13, 2, v6
	ds_bpermute_b32 v6, v13, v8
	ds_bpermute_b32 v7, v13, v9
	;; [unrolled: 1-line block ×4, first 2 shown]
	s_waitcnt lgkmcnt(2)
	v_add_f64 v[6:7], v[8:9], v[6:7]
	s_waitcnt lgkmcnt(0)
	v_add_f64 v[8:9], v[10:11], v[12:13]
	v_xor_b32_e32 v10, 16, v14
	v_cmp_gt_i32_e32 vcc_lo, 32, v10
	v_cndmask_b32_e32 v10, v14, v10, vcc_lo
	v_lshlrev_b32_e32 v13, 2, v10
	ds_bpermute_b32 v10, v13, v6
	ds_bpermute_b32 v11, v13, v7
	ds_bpermute_b32 v12, v13, v8
	ds_bpermute_b32 v13, v13, v9
	s_waitcnt lgkmcnt(2)
	v_add_f64 v[6:7], v[6:7], v[10:11]
	v_xor_b32_e32 v10, 8, v14
	s_waitcnt lgkmcnt(0)
	v_add_f64 v[8:9], v[8:9], v[12:13]
	v_cmp_gt_i32_e32 vcc_lo, 32, v10
	v_cndmask_b32_e32 v10, v14, v10, vcc_lo
	v_lshlrev_b32_e32 v13, 2, v10
	ds_bpermute_b32 v10, v13, v6
	ds_bpermute_b32 v11, v13, v7
	ds_bpermute_b32 v12, v13, v8
	ds_bpermute_b32 v13, v13, v9
	s_waitcnt lgkmcnt(2)
	v_add_f64 v[6:7], v[6:7], v[10:11]
	v_xor_b32_e32 v10, 4, v14
	s_waitcnt lgkmcnt(0)
	v_add_f64 v[8:9], v[8:9], v[12:13]
	;; [unrolled: 12-line block ×3, first 2 shown]
	v_cmp_gt_i32_e32 vcc_lo, 32, v10
	v_cndmask_b32_e32 v10, v14, v10, vcc_lo
	v_lshlrev_b32_e32 v13, 2, v10
	ds_bpermute_b32 v10, v13, v6
	ds_bpermute_b32 v11, v13, v7
	ds_bpermute_b32 v12, v13, v8
	ds_bpermute_b32 v13, v13, v9
	s_waitcnt lgkmcnt(2)
	v_add_f64 v[6:7], v[6:7], v[10:11]
	s_waitcnt lgkmcnt(0)
	v_add_f64 v[10:11], v[8:9], v[12:13]
	v_xor_b32_e32 v8, 1, v14
	v_cmp_gt_i32_e32 vcc_lo, 32, v8
	v_cndmask_b32_e32 v8, v14, v8, vcc_lo
	v_cmp_eq_u32_e32 vcc_lo, 63, v0
	v_lshlrev_b32_e32 v13, 2, v8
	ds_bpermute_b32 v8, v13, v6
	ds_bpermute_b32 v9, v13, v7
	;; [unrolled: 1-line block ×4, first 2 shown]
	s_and_b32 exec_lo, exec_lo, vcc_lo
	s_cbranch_execz .LBB140_23
; %bb.19:
	s_waitcnt lgkmcnt(2)
	v_add_f64 v[8:9], v[6:7], v[8:9]
	s_waitcnt lgkmcnt(0)
	v_add_f64 v[6:7], v[10:11], v[12:13]
	s_load_dwordx2 s[0:1], s[4:5], 0x38
	s_mov_b32 s2, exec_lo
	v_cmpx_eq_f64_e32 0, v[3:4]
	s_xor_b32 s2, exec_lo, s2
	s_cbranch_execz .LBB140_21
; %bb.20:
	v_lshlrev_b32_e32 v0, 1, v5
	v_mul_f64 v[3:4], v[1:2], v[8:9]
	v_mul_f64 v[5:6], v[1:2], v[6:7]
                                        ; implicit-def: $vgpr8_vgpr9
	v_ashrrev_i32_e32 v1, 31, v0
	v_lshlrev_b64 v[0:1], 3, v[0:1]
	s_waitcnt lgkmcnt(0)
	v_add_co_u32 v0, vcc_lo, s0, v0
	v_add_co_ci_u32_e64 v1, null, s1, v1, vcc_lo
	global_store_dwordx4 v[0:1], v[3:6], off
                                        ; implicit-def: $vgpr5
                                        ; implicit-def: $vgpr1_vgpr2
                                        ; implicit-def: $vgpr3_vgpr4
                                        ; implicit-def: $vgpr6_vgpr7
.LBB140_21:
	s_andn2_saveexec_b32 s2, s2
	s_cbranch_execz .LBB140_23
; %bb.22:
	v_lshlrev_b32_e32 v10, 1, v5
	v_mul_f64 v[8:9], v[1:2], v[8:9]
	v_mul_f64 v[5:6], v[1:2], v[6:7]
	v_ashrrev_i32_e32 v11, 31, v10
	v_lshlrev_b64 v[10:11], 3, v[10:11]
	s_waitcnt lgkmcnt(0)
	v_add_co_u32 v14, vcc_lo, s0, v10
	v_add_co_ci_u32_e64 v15, null, s1, v11, vcc_lo
	global_load_dwordx4 v[10:13], v[14:15], off
	s_waitcnt vmcnt(0)
	v_fma_f64 v[0:1], v[3:4], v[10:11], v[8:9]
	v_fma_f64 v[2:3], v[3:4], v[12:13], v[5:6]
	global_store_dwordx4 v[14:15], v[0:3], off
.LBB140_23:
	s_endpgm
	.section	.rodata,"a",@progbits
	.p2align	6, 0x0
	.amdhsa_kernel _ZN9rocsparseL19gebsrmvn_2xn_kernelILj128ELj14ELj64EdEEvi20rocsparse_direction_NS_24const_host_device_scalarIT2_EEPKiS6_PKS3_S8_S4_PS3_21rocsparse_index_base_b
		.amdhsa_group_segment_fixed_size 0
		.amdhsa_private_segment_fixed_size 0
		.amdhsa_kernarg_size 72
		.amdhsa_user_sgpr_count 6
		.amdhsa_user_sgpr_private_segment_buffer 1
		.amdhsa_user_sgpr_dispatch_ptr 0
		.amdhsa_user_sgpr_queue_ptr 0
		.amdhsa_user_sgpr_kernarg_segment_ptr 1
		.amdhsa_user_sgpr_dispatch_id 0
		.amdhsa_user_sgpr_flat_scratch_init 0
		.amdhsa_user_sgpr_private_segment_size 0
		.amdhsa_wavefront_size32 1
		.amdhsa_uses_dynamic_stack 0
		.amdhsa_system_sgpr_private_segment_wavefront_offset 0
		.amdhsa_system_sgpr_workgroup_id_x 1
		.amdhsa_system_sgpr_workgroup_id_y 0
		.amdhsa_system_sgpr_workgroup_id_z 0
		.amdhsa_system_sgpr_workgroup_info 0
		.amdhsa_system_vgpr_workitem_id 0
		.amdhsa_next_free_vgpr 98
		.amdhsa_next_free_sgpr 16
		.amdhsa_reserve_vcc 1
		.amdhsa_reserve_flat_scratch 0
		.amdhsa_float_round_mode_32 0
		.amdhsa_float_round_mode_16_64 0
		.amdhsa_float_denorm_mode_32 3
		.amdhsa_float_denorm_mode_16_64 3
		.amdhsa_dx10_clamp 1
		.amdhsa_ieee_mode 1
		.amdhsa_fp16_overflow 0
		.amdhsa_workgroup_processor_mode 1
		.amdhsa_memory_ordered 1
		.amdhsa_forward_progress 1
		.amdhsa_shared_vgpr_count 0
		.amdhsa_exception_fp_ieee_invalid_op 0
		.amdhsa_exception_fp_denorm_src 0
		.amdhsa_exception_fp_ieee_div_zero 0
		.amdhsa_exception_fp_ieee_overflow 0
		.amdhsa_exception_fp_ieee_underflow 0
		.amdhsa_exception_fp_ieee_inexact 0
		.amdhsa_exception_int_div_zero 0
	.end_amdhsa_kernel
	.section	.text._ZN9rocsparseL19gebsrmvn_2xn_kernelILj128ELj14ELj64EdEEvi20rocsparse_direction_NS_24const_host_device_scalarIT2_EEPKiS6_PKS3_S8_S4_PS3_21rocsparse_index_base_b,"axG",@progbits,_ZN9rocsparseL19gebsrmvn_2xn_kernelILj128ELj14ELj64EdEEvi20rocsparse_direction_NS_24const_host_device_scalarIT2_EEPKiS6_PKS3_S8_S4_PS3_21rocsparse_index_base_b,comdat
.Lfunc_end140:
	.size	_ZN9rocsparseL19gebsrmvn_2xn_kernelILj128ELj14ELj64EdEEvi20rocsparse_direction_NS_24const_host_device_scalarIT2_EEPKiS6_PKS3_S8_S4_PS3_21rocsparse_index_base_b, .Lfunc_end140-_ZN9rocsparseL19gebsrmvn_2xn_kernelILj128ELj14ELj64EdEEvi20rocsparse_direction_NS_24const_host_device_scalarIT2_EEPKiS6_PKS3_S8_S4_PS3_21rocsparse_index_base_b
                                        ; -- End function
	.set _ZN9rocsparseL19gebsrmvn_2xn_kernelILj128ELj14ELj64EdEEvi20rocsparse_direction_NS_24const_host_device_scalarIT2_EEPKiS6_PKS3_S8_S4_PS3_21rocsparse_index_base_b.num_vgpr, 98
	.set _ZN9rocsparseL19gebsrmvn_2xn_kernelILj128ELj14ELj64EdEEvi20rocsparse_direction_NS_24const_host_device_scalarIT2_EEPKiS6_PKS3_S8_S4_PS3_21rocsparse_index_base_b.num_agpr, 0
	.set _ZN9rocsparseL19gebsrmvn_2xn_kernelILj128ELj14ELj64EdEEvi20rocsparse_direction_NS_24const_host_device_scalarIT2_EEPKiS6_PKS3_S8_S4_PS3_21rocsparse_index_base_b.numbered_sgpr, 16
	.set _ZN9rocsparseL19gebsrmvn_2xn_kernelILj128ELj14ELj64EdEEvi20rocsparse_direction_NS_24const_host_device_scalarIT2_EEPKiS6_PKS3_S8_S4_PS3_21rocsparse_index_base_b.num_named_barrier, 0
	.set _ZN9rocsparseL19gebsrmvn_2xn_kernelILj128ELj14ELj64EdEEvi20rocsparse_direction_NS_24const_host_device_scalarIT2_EEPKiS6_PKS3_S8_S4_PS3_21rocsparse_index_base_b.private_seg_size, 0
	.set _ZN9rocsparseL19gebsrmvn_2xn_kernelILj128ELj14ELj64EdEEvi20rocsparse_direction_NS_24const_host_device_scalarIT2_EEPKiS6_PKS3_S8_S4_PS3_21rocsparse_index_base_b.uses_vcc, 1
	.set _ZN9rocsparseL19gebsrmvn_2xn_kernelILj128ELj14ELj64EdEEvi20rocsparse_direction_NS_24const_host_device_scalarIT2_EEPKiS6_PKS3_S8_S4_PS3_21rocsparse_index_base_b.uses_flat_scratch, 0
	.set _ZN9rocsparseL19gebsrmvn_2xn_kernelILj128ELj14ELj64EdEEvi20rocsparse_direction_NS_24const_host_device_scalarIT2_EEPKiS6_PKS3_S8_S4_PS3_21rocsparse_index_base_b.has_dyn_sized_stack, 0
	.set _ZN9rocsparseL19gebsrmvn_2xn_kernelILj128ELj14ELj64EdEEvi20rocsparse_direction_NS_24const_host_device_scalarIT2_EEPKiS6_PKS3_S8_S4_PS3_21rocsparse_index_base_b.has_recursion, 0
	.set _ZN9rocsparseL19gebsrmvn_2xn_kernelILj128ELj14ELj64EdEEvi20rocsparse_direction_NS_24const_host_device_scalarIT2_EEPKiS6_PKS3_S8_S4_PS3_21rocsparse_index_base_b.has_indirect_call, 0
	.section	.AMDGPU.csdata,"",@progbits
; Kernel info:
; codeLenInByte = 3684
; TotalNumSgprs: 18
; NumVgprs: 98
; ScratchSize: 0
; MemoryBound: 1
; FloatMode: 240
; IeeeMode: 1
; LDSByteSize: 0 bytes/workgroup (compile time only)
; SGPRBlocks: 0
; VGPRBlocks: 12
; NumSGPRsForWavesPerEU: 18
; NumVGPRsForWavesPerEU: 98
; Occupancy: 9
; WaveLimiterHint : 1
; COMPUTE_PGM_RSRC2:SCRATCH_EN: 0
; COMPUTE_PGM_RSRC2:USER_SGPR: 6
; COMPUTE_PGM_RSRC2:TRAP_HANDLER: 0
; COMPUTE_PGM_RSRC2:TGID_X_EN: 1
; COMPUTE_PGM_RSRC2:TGID_Y_EN: 0
; COMPUTE_PGM_RSRC2:TGID_Z_EN: 0
; COMPUTE_PGM_RSRC2:TIDIG_COMP_CNT: 0
	.section	.text._ZN9rocsparseL19gebsrmvn_2xn_kernelILj128ELj15ELj4EdEEvi20rocsparse_direction_NS_24const_host_device_scalarIT2_EEPKiS6_PKS3_S8_S4_PS3_21rocsparse_index_base_b,"axG",@progbits,_ZN9rocsparseL19gebsrmvn_2xn_kernelILj128ELj15ELj4EdEEvi20rocsparse_direction_NS_24const_host_device_scalarIT2_EEPKiS6_PKS3_S8_S4_PS3_21rocsparse_index_base_b,comdat
	.globl	_ZN9rocsparseL19gebsrmvn_2xn_kernelILj128ELj15ELj4EdEEvi20rocsparse_direction_NS_24const_host_device_scalarIT2_EEPKiS6_PKS3_S8_S4_PS3_21rocsparse_index_base_b ; -- Begin function _ZN9rocsparseL19gebsrmvn_2xn_kernelILj128ELj15ELj4EdEEvi20rocsparse_direction_NS_24const_host_device_scalarIT2_EEPKiS6_PKS3_S8_S4_PS3_21rocsparse_index_base_b
	.p2align	8
	.type	_ZN9rocsparseL19gebsrmvn_2xn_kernelILj128ELj15ELj4EdEEvi20rocsparse_direction_NS_24const_host_device_scalarIT2_EEPKiS6_PKS3_S8_S4_PS3_21rocsparse_index_base_b,@function
_ZN9rocsparseL19gebsrmvn_2xn_kernelILj128ELj15ELj4EdEEvi20rocsparse_direction_NS_24const_host_device_scalarIT2_EEPKiS6_PKS3_S8_S4_PS3_21rocsparse_index_base_b: ; @_ZN9rocsparseL19gebsrmvn_2xn_kernelILj128ELj15ELj4EdEEvi20rocsparse_direction_NS_24const_host_device_scalarIT2_EEPKiS6_PKS3_S8_S4_PS3_21rocsparse_index_base_b
; %bb.0:
	s_clause 0x2
	s_load_dwordx2 s[2:3], s[4:5], 0x40
	s_load_dwordx2 s[8:9], s[4:5], 0x8
	;; [unrolled: 1-line block ×3, first 2 shown]
	s_waitcnt lgkmcnt(0)
	s_bitcmp1_b32 s3, 0
	v_mov_b32_e32 v1, s8
	v_mov_b32_e32 v2, s9
	s_cselect_b32 s3, -1, 0
	s_and_b32 vcc_lo, exec_lo, s3
	s_xor_b32 s3, s3, -1
	s_cbranch_vccnz .LBB141_2
; %bb.1:
	v_mov_b32_e32 v1, s8
	v_mov_b32_e32 v2, s9
	flat_load_dwordx2 v[1:2], v[1:2]
.LBB141_2:
	v_mov_b32_e32 v4, s1
	v_mov_b32_e32 v3, s0
	s_andn2_b32 vcc_lo, exec_lo, s3
	s_cbranch_vccnz .LBB141_4
; %bb.3:
	v_mov_b32_e32 v4, s1
	v_mov_b32_e32 v3, s0
	flat_load_dwordx2 v[3:4], v[3:4]
.LBB141_4:
	s_waitcnt vmcnt(0) lgkmcnt(0)
	v_cmp_neq_f64_e32 vcc_lo, 0, v[1:2]
	v_cmp_neq_f64_e64 s0, 1.0, v[3:4]
	s_or_b32 s0, vcc_lo, s0
	s_and_saveexec_b32 s1, s0
	s_cbranch_execz .LBB141_23
; %bb.5:
	s_load_dwordx2 s[0:1], s[4:5], 0x0
	v_lshrrev_b32_e32 v5, 2, v0
	v_lshl_or_b32 v5, s6, 5, v5
	s_waitcnt lgkmcnt(0)
	v_cmp_gt_i32_e32 vcc_lo, s0, v5
	s_and_b32 exec_lo, exec_lo, vcc_lo
	s_cbranch_execz .LBB141_23
; %bb.6:
	s_load_dwordx8 s[8:15], s[4:5], 0x10
	v_ashrrev_i32_e32 v6, 31, v5
	v_and_b32_e32 v0, 3, v0
	s_cmp_lg_u32 s1, 0
	v_lshlrev_b64 v[6:7], 2, v[5:6]
	s_waitcnt lgkmcnt(0)
	v_add_co_u32 v6, vcc_lo, s8, v6
	v_add_co_ci_u32_e64 v7, null, s9, v7, vcc_lo
	global_load_dwordx2 v[6:7], v[6:7], off
	s_waitcnt vmcnt(0)
	v_subrev_nc_u32_e32 v6, s2, v6
	v_subrev_nc_u32_e32 v18, s2, v7
	v_add_nc_u32_e32 v6, v6, v0
	v_cmp_lt_i32_e64 s0, v6, v18
	s_cbranch_scc0 .LBB141_12
; %bb.7:
	v_mov_b32_e32 v8, 0
	v_mov_b32_e32 v10, 0
	;; [unrolled: 1-line block ×4, first 2 shown]
	s_and_saveexec_b32 s1, s0
	s_cbranch_execz .LBB141_11
; %bb.8:
	v_mad_u64_u32 v[7:8], null, v6, 30, 28
	v_mov_b32_e32 v8, 0
	v_mov_b32_e32 v10, 0
	;; [unrolled: 1-line block ×6, first 2 shown]
	s_mov_b32 s3, 0
.LBB141_9:                              ; =>This Inner Loop Header: Depth=1
	v_ashrrev_i32_e32 v15, 31, v14
	v_subrev_nc_u32_e32 v12, 28, v7
	v_lshlrev_b64 v[15:16], 2, v[14:15]
	v_lshlrev_b64 v[19:20], 3, v[12:13]
	v_subrev_nc_u32_e32 v12, 26, v7
	v_add_nc_u32_e32 v14, 4, v14
	v_add_co_u32 v15, vcc_lo, s10, v15
	v_add_co_ci_u32_e64 v16, null, s11, v16, vcc_lo
	v_lshlrev_b64 v[21:22], 3, v[12:13]
	v_add_co_u32 v19, vcc_lo, s12, v19
	global_load_dword v15, v[15:16], off
	v_mov_b32_e32 v16, v13
	v_add_co_ci_u32_e64 v20, null, s13, v20, vcc_lo
	v_add_co_u32 v23, vcc_lo, s12, v21
	v_add_co_ci_u32_e64 v24, null, s13, v22, vcc_lo
	s_clause 0x1
	global_load_dwordx4 v[19:22], v[19:20], off
	global_load_dwordx4 v[23:26], v[23:24], off
	s_waitcnt vmcnt(2)
	v_subrev_nc_u32_e32 v12, s2, v15
	v_mul_lo_u32 v15, v12, 15
	v_lshlrev_b64 v[16:17], 3, v[15:16]
	v_add_nc_u32_e32 v12, 1, v15
	v_lshlrev_b64 v[27:28], 3, v[12:13]
	v_add_co_u32 v16, vcc_lo, s14, v16
	v_add_co_ci_u32_e64 v17, null, s15, v17, vcc_lo
	v_subrev_nc_u32_e32 v12, 24, v7
	v_add_co_u32 v27, vcc_lo, s14, v27
	global_load_dwordx2 v[16:17], v[16:17], off
	v_add_co_ci_u32_e64 v28, null, s15, v28, vcc_lo
	v_lshlrev_b64 v[29:30], 3, v[12:13]
	v_add_nc_u32_e32 v12, 2, v15
	global_load_dwordx2 v[47:48], v[27:28], off
	v_lshlrev_b64 v[31:32], 3, v[12:13]
	v_add_co_u32 v27, vcc_lo, s12, v29
	v_add_co_ci_u32_e64 v28, null, s13, v30, vcc_lo
	v_subrev_nc_u32_e32 v12, 22, v7
	v_add_co_u32 v31, vcc_lo, s14, v31
	v_add_co_ci_u32_e64 v32, null, s15, v32, vcc_lo
	global_load_dwordx4 v[27:30], v[27:28], off
	v_lshlrev_b64 v[33:34], 3, v[12:13]
	v_add_nc_u32_e32 v12, 3, v15
	global_load_dwordx2 v[49:50], v[31:32], off
	v_lshlrev_b64 v[35:36], 3, v[12:13]
	v_add_co_u32 v31, vcc_lo, s12, v33
	v_add_co_ci_u32_e64 v32, null, s13, v34, vcc_lo
	v_subrev_nc_u32_e32 v12, 20, v7
	v_add_co_u32 v35, vcc_lo, s14, v35
	v_add_co_ci_u32_e64 v36, null, s15, v36, vcc_lo
	global_load_dwordx4 v[31:34], v[31:32], off
	;; [unrolled: 10-line block ×3, first 2 shown]
	v_lshlrev_b64 v[41:42], 3, v[12:13]
	v_add_nc_u32_e32 v12, 5, v15
	global_load_dwordx2 v[53:54], v[39:40], off
	v_lshlrev_b64 v[43:44], 3, v[12:13]
	v_add_co_u32 v39, vcc_lo, s12, v41
	v_add_co_ci_u32_e64 v40, null, s13, v42, vcc_lo
	v_add_nc_u32_e32 v12, -16, v7
	v_add_co_u32 v43, vcc_lo, s14, v43
	v_add_co_ci_u32_e64 v44, null, s15, v44, vcc_lo
	global_load_dwordx4 v[39:42], v[39:40], off
	v_lshlrev_b64 v[45:46], 3, v[12:13]
	v_add_nc_u32_e32 v12, 6, v15
	global_load_dwordx2 v[57:58], v[43:44], off
	v_lshlrev_b64 v[55:56], 3, v[12:13]
	v_add_co_u32 v43, vcc_lo, s12, v45
	v_add_co_ci_u32_e64 v44, null, s13, v46, vcc_lo
	v_add_nc_u32_e32 v12, -14, v7
	v_add_co_u32 v55, vcc_lo, s14, v55
	v_add_co_ci_u32_e64 v56, null, s15, v56, vcc_lo
	global_load_dwordx4 v[43:46], v[43:44], off
	global_load_dwordx2 v[55:56], v[55:56], off
	v_lshlrev_b64 v[59:60], 3, v[12:13]
	v_add_nc_u32_e32 v12, 7, v15
	v_lshlrev_b64 v[61:62], 3, v[12:13]
	v_add_co_u32 v59, vcc_lo, s12, v59
	v_add_co_ci_u32_e64 v60, null, s13, v60, vcc_lo
	v_add_nc_u32_e32 v12, -12, v7
	v_add_co_u32 v61, vcc_lo, s14, v61
	v_add_co_ci_u32_e64 v62, null, s15, v62, vcc_lo
	s_waitcnt vmcnt(11)
	v_fma_f64 v[8:9], v[19:20], v[16:17], v[8:9]
	v_fma_f64 v[10:11], v[21:22], v[16:17], v[10:11]
	global_load_dwordx4 v[19:22], v[59:60], off
	global_load_dwordx2 v[59:60], v[61:62], off
	v_lshlrev_b64 v[16:17], 3, v[12:13]
	v_add_nc_u32_e32 v12, 8, v15
	v_lshlrev_b64 v[61:62], 3, v[12:13]
	v_add_co_u32 v16, vcc_lo, s12, v16
	v_add_co_ci_u32_e64 v17, null, s13, v17, vcc_lo
	v_add_nc_u32_e32 v12, -10, v7
	v_add_co_u32 v61, vcc_lo, s14, v61
	v_add_co_ci_u32_e64 v62, null, s15, v62, vcc_lo
	s_waitcnt vmcnt(12)
	v_fma_f64 v[8:9], v[23:24], v[47:48], v[8:9]
	v_fma_f64 v[10:11], v[25:26], v[47:48], v[10:11]
	;; [unrolled: 13-line block ×4, first 2 shown]
	global_load_dwordx4 v[31:34], v[49:50], off
	global_load_dwordx2 v[49:50], v[61:62], off
	v_lshlrev_b64 v[51:52], 3, v[12:13]
	v_add_nc_u32_e32 v12, 11, v15
	v_add_co_u32 v51, vcc_lo, s12, v51
	v_lshlrev_b64 v[61:62], 3, v[12:13]
	v_add_co_ci_u32_e64 v52, null, s13, v52, vcc_lo
	v_add_nc_u32_e32 v12, -4, v7
	s_waitcnt vmcnt(12)
	v_fma_f64 v[8:9], v[35:36], v[53:54], v[8:9]
	v_fma_f64 v[10:11], v[37:38], v[53:54], v[10:11]
	global_load_dwordx4 v[35:38], v[51:52], off
	v_add_co_u32 v51, vcc_lo, s14, v61
	v_add_co_ci_u32_e64 v52, null, s15, v62, vcc_lo
	v_lshlrev_b64 v[53:54], 3, v[12:13]
	v_add_nc_u32_e32 v12, 12, v15
	global_load_dwordx2 v[51:52], v[51:52], off
	v_lshlrev_b64 v[61:62], 3, v[12:13]
	v_add_nc_u32_e32 v12, -2, v7
	v_add_co_u32 v53, vcc_lo, s12, v53
	v_add_co_ci_u32_e64 v54, null, s13, v54, vcc_lo
	s_waitcnt vmcnt(12)
	v_fma_f64 v[63:64], v[39:40], v[57:58], v[8:9]
	v_lshlrev_b64 v[39:40], 3, v[12:13]
	v_fma_f64 v[9:10], v[41:42], v[57:58], v[10:11]
	v_add_co_u32 v57, vcc_lo, s14, v61
	v_add_co_ci_u32_e64 v58, null, s15, v62, vcc_lo
	v_add_co_u32 v61, vcc_lo, s12, v39
	v_add_co_ci_u32_e64 v62, null, s13, v40, vcc_lo
	global_load_dwordx4 v[39:42], v[53:54], off
	global_load_dwordx2 v[53:54], v[57:58], off
	v_add_nc_u32_e32 v12, 13, v15
	v_mov_b32_e32 v8, v13
	v_lshlrev_b64 v[11:12], 3, v[12:13]
	s_waitcnt vmcnt(12)
	v_fma_f64 v[57:58], v[43:44], v[55:56], v[63:64]
	v_add_co_u32 v11, vcc_lo, s14, v11
	v_add_co_ci_u32_e64 v12, null, s15, v12, vcc_lo
	v_fma_f64 v[55:56], v[45:46], v[55:56], v[9:10]
	global_load_dwordx4 v[43:46], v[61:62], off
	global_load_dwordx2 v[61:62], v[11:12], off
	v_add_nc_u32_e32 v12, 14, v15
	v_lshlrev_b64 v[8:9], 3, v[7:8]
	v_add_nc_u32_e32 v7, 0x78, v7
	v_lshlrev_b64 v[10:11], 3, v[12:13]
	v_add_co_u32 v8, vcc_lo, s12, v8
	v_add_co_ci_u32_e64 v9, null, s13, v9, vcc_lo
	v_add_co_u32 v63, vcc_lo, s14, v10
	v_add_co_ci_u32_e64 v64, null, s15, v11, vcc_lo
	global_load_dwordx4 v[8:11], v[8:9], off
	global_load_dwordx2 v[63:64], v[63:64], off
	v_cmp_ge_i32_e32 vcc_lo, v14, v18
	s_or_b32 s3, vcc_lo, s3
	s_waitcnt vmcnt(14)
	v_fma_f64 v[19:20], v[19:20], v[59:60], v[57:58]
	v_fma_f64 v[21:22], v[21:22], v[59:60], v[55:56]
	s_waitcnt vmcnt(12)
	v_fma_f64 v[19:20], v[23:24], v[16:17], v[19:20]
	v_fma_f64 v[15:16], v[25:26], v[16:17], v[21:22]
	;; [unrolled: 3-line block ×8, first 2 shown]
	s_andn2_b32 exec_lo, exec_lo, s3
	s_cbranch_execnz .LBB141_9
; %bb.10:
	s_or_b32 exec_lo, exec_lo, s3
.LBB141_11:
	s_or_b32 exec_lo, exec_lo, s1
	s_cbranch_execz .LBB141_13
	s_branch .LBB141_18
.LBB141_12:
                                        ; implicit-def: $vgpr8_vgpr9
                                        ; implicit-def: $vgpr10_vgpr11
.LBB141_13:
	v_mov_b32_e32 v8, 0
	v_mov_b32_e32 v10, 0
	;; [unrolled: 1-line block ×4, first 2 shown]
	s_and_saveexec_b32 s1, s0
	s_cbranch_execz .LBB141_17
; %bb.14:
	v_mad_u64_u32 v[12:13], null, v6, 30, 29
	v_mov_b32_e32 v8, 0
	v_mov_b32_e32 v10, 0
	;; [unrolled: 1-line block ×5, first 2 shown]
	s_mov_b32 s0, 0
.LBB141_15:                             ; =>This Inner Loop Header: Depth=1
	v_ashrrev_i32_e32 v7, 31, v6
	v_subrev_nc_u32_e32 v14, 29, v12
	v_add_nc_u32_e32 v19, -14, v12
	v_mov_b32_e32 v20, v15
	v_mov_b32_e32 v13, v15
	v_lshlrev_b64 v[21:22], 2, v[6:7]
	v_lshlrev_b64 v[23:24], 3, v[14:15]
	v_mov_b32_e32 v17, v15
	v_lshlrev_b64 v[19:20], 3, v[19:20]
	v_lshlrev_b64 v[13:14], 3, v[12:13]
	v_add_nc_u32_e32 v6, 4, v6
	v_add_co_u32 v21, vcc_lo, s10, v21
	v_add_co_ci_u32_e64 v22, null, s11, v22, vcc_lo
	v_add_co_u32 v23, vcc_lo, s12, v23
	v_add_co_ci_u32_e64 v24, null, s13, v24, vcc_lo
	global_load_dword v7, v[21:22], off
	v_add_co_u32 v19, vcc_lo, s12, v19
	v_add_co_ci_u32_e64 v20, null, s13, v20, vcc_lo
	v_add_co_u32 v25, vcc_lo, s12, v13
	v_add_co_ci_u32_e64 v26, null, s13, v14, vcc_lo
	s_waitcnt vmcnt(0)
	v_subrev_nc_u32_e32 v7, s2, v7
	v_mul_lo_u32 v16, v7, 15
	v_add_nc_u32_e32 v14, 1, v16
	v_lshlrev_b64 v[21:22], 3, v[16:17]
	v_lshlrev_b64 v[27:28], 3, v[14:15]
	v_add_nc_u32_e32 v14, -13, v12
	v_add_co_u32 v21, vcc_lo, s14, v21
	v_add_co_ci_u32_e64 v22, null, s15, v22, vcc_lo
	v_lshlrev_b64 v[29:30], 3, v[14:15]
	v_subrev_nc_u32_e32 v14, 27, v12
	v_add_co_u32 v27, vcc_lo, s14, v27
	v_add_co_ci_u32_e64 v28, null, s15, v28, vcc_lo
	v_lshlrev_b64 v[31:32], 3, v[14:15]
	v_add_nc_u32_e32 v14, 2, v16
	v_add_co_u32 v29, vcc_lo, s12, v29
	v_add_co_ci_u32_e64 v30, null, s13, v30, vcc_lo
	v_lshlrev_b64 v[33:34], 3, v[14:15]
	v_add_nc_u32_e32 v14, -12, v12
	v_add_co_u32 v31, vcc_lo, s12, v31
	v_add_co_ci_u32_e64 v32, null, s13, v32, vcc_lo
	v_lshlrev_b64 v[35:36], 3, v[14:15]
	v_subrev_nc_u32_e32 v14, 26, v12
	v_add_co_u32 v33, vcc_lo, s14, v33
	v_add_co_ci_u32_e64 v34, null, s15, v34, vcc_lo
	v_lshlrev_b64 v[37:38], 3, v[14:15]
	v_add_nc_u32_e32 v14, 3, v16
	v_add_co_u32 v35, vcc_lo, s12, v35
	v_add_co_ci_u32_e64 v36, null, s13, v36, vcc_lo
	;; [unrolled: 12-line block ×6, first 2 shown]
	v_lshlrev_b64 v[13:14], 3, v[14:15]
	v_add_co_u32 v61, vcc_lo, s12, v61
	v_add_co_ci_u32_e64 v62, null, s13, v62, vcc_lo
	v_add_co_u32 v63, vcc_lo, s14, v13
	v_add_co_ci_u32_e64 v64, null, s15, v14, vcc_lo
	global_load_dwordx2 v[13:14], v[19:20], off
	global_load_dwordx2 v[65:66], v[21:22], off
	global_load_dwordx4 v[19:22], v[23:24], off
	global_load_dwordx2 v[23:24], v[27:28], off
	s_clause 0x1
	global_load_dwordx2 v[27:28], v[29:30], off
	global_load_dwordx2 v[29:30], v[31:32], off
	global_load_dwordx2 v[33:34], v[33:34], off
	s_clause 0x1
	global_load_dwordx2 v[35:36], v[35:36], off
	global_load_dwordx2 v[37:38], v[37:38], off
	;; [unrolled: 4-line block ×6, first 2 shown]
	s_waitcnt vmcnt(18)
	v_fma_f64 v[7:8], v[19:20], v[65:66], v[8:9]
	v_fma_f64 v[10:11], v[13:14], v[65:66], v[10:11]
	v_add_nc_u32_e32 v14, -7, v12
	v_lshlrev_b64 v[19:20], 3, v[14:15]
	v_subrev_nc_u32_e32 v14, 21, v12
	v_add_co_u32 v19, vcc_lo, s12, v19
	v_add_co_ci_u32_e64 v20, null, s13, v20, vcc_lo
	s_waitcnt vmcnt(17)
	v_fma_f64 v[7:8], v[21:22], v[23:24], v[7:8]
	v_lshlrev_b64 v[21:22], 3, v[14:15]
	v_add_nc_u32_e32 v14, 8, v16
	s_waitcnt vmcnt(16)
	v_fma_f64 v[9:10], v[27:28], v[23:24], v[10:11]
	v_lshlrev_b64 v[31:32], 3, v[14:15]
	v_add_nc_u32_e32 v14, -6, v12
	v_add_co_u32 v21, vcc_lo, s12, v21
	v_add_co_ci_u32_e64 v22, null, s13, v22, vcc_lo
	v_lshlrev_b64 v[23:24], 3, v[14:15]
	v_subrev_nc_u32_e32 v14, 20, v12
	v_add_co_u32 v27, vcc_lo, s14, v31
	v_add_co_ci_u32_e64 v28, null, s15, v32, vcc_lo
	v_lshlrev_b64 v[13:14], 3, v[14:15]
	v_add_co_u32 v23, vcc_lo, s12, v23
	v_add_co_ci_u32_e64 v24, null, s13, v24, vcc_lo
	s_waitcnt vmcnt(14)
	v_fma_f64 v[7:8], v[29:30], v[33:34], v[7:8]
	v_add_co_u32 v31, vcc_lo, s12, v13
	v_add_co_ci_u32_e64 v32, null, s13, v14, vcc_lo
	v_add_nc_u32_e32 v14, 9, v16
	s_waitcnt vmcnt(13)
	v_fma_f64 v[9:10], v[35:36], v[33:34], v[9:10]
	v_lshlrev_b64 v[29:30], 3, v[14:15]
	v_add_nc_u32_e32 v14, -5, v12
	v_lshlrev_b64 v[33:34], 3, v[14:15]
	v_subrev_nc_u32_e32 v14, 19, v12
	v_add_co_u32 v29, vcc_lo, s14, v29
	v_add_co_ci_u32_e64 v30, null, s15, v30, vcc_lo
	v_lshlrev_b64 v[13:14], 3, v[14:15]
	v_add_co_u32 v33, vcc_lo, s12, v33
	v_add_co_ci_u32_e64 v34, null, s13, v34, vcc_lo
	s_waitcnt vmcnt(11)
	v_fma_f64 v[7:8], v[37:38], v[39:40], v[7:8]
	v_add_co_u32 v35, vcc_lo, s12, v13
	v_add_co_ci_u32_e64 v36, null, s13, v14, vcc_lo
	v_add_nc_u32_e32 v14, 10, v16
	s_waitcnt vmcnt(10)
	v_fma_f64 v[9:10], v[41:42], v[39:40], v[9:10]
	v_lshlrev_b64 v[37:38], 3, v[14:15]
	v_add_nc_u32_e32 v14, -4, v12
	;; [unrolled: 16-line block ×4, first 2 shown]
	v_lshlrev_b64 v[51:52], 3, v[14:15]
	v_add_nc_u32_e32 v14, -16, v12
	v_add_co_u32 v49, vcc_lo, s14, v49
	v_add_co_ci_u32_e64 v50, null, s15, v50, vcc_lo
	v_lshlrev_b64 v[13:14], 3, v[14:15]
	v_add_co_u32 v51, vcc_lo, s12, v51
	v_add_co_ci_u32_e64 v52, null, s13, v52, vcc_lo
	s_waitcnt vmcnt(2)
	v_fma_f64 v[7:8], v[55:56], v[57:58], v[7:8]
	v_add_co_u32 v53, vcc_lo, s12, v13
	v_add_co_ci_u32_e64 v54, null, s13, v14, vcc_lo
	v_add_nc_u32_e32 v14, 13, v16
	s_waitcnt vmcnt(1)
	v_fma_f64 v[9:10], v[59:60], v[57:58], v[9:10]
	v_lshlrev_b64 v[55:56], 3, v[14:15]
	v_add_nc_u32_e32 v14, -1, v12
	v_lshlrev_b64 v[57:58], 3, v[14:15]
	v_add_nc_u32_e32 v14, -15, v12
	v_add_co_u32 v55, vcc_lo, s14, v55
	v_add_co_ci_u32_e64 v56, null, s15, v56, vcc_lo
	v_lshlrev_b64 v[59:60], 3, v[14:15]
	v_add_nc_u32_e32 v14, 14, v16
	v_add_co_u32 v16, vcc_lo, s12, v57
	v_add_co_ci_u32_e64 v17, null, s13, v58, vcc_lo
	v_lshlrev_b64 v[13:14], 3, v[14:15]
	v_add_co_u32 v57, vcc_lo, s12, v59
	v_add_co_ci_u32_e64 v58, null, s13, v60, vcc_lo
	v_add_nc_u32_e32 v12, 0x78, v12
	v_add_co_u32 v13, vcc_lo, s14, v13
	v_add_co_ci_u32_e64 v14, null, s15, v14, vcc_lo
	global_load_dwordx2 v[59:60], v[63:64], off
	s_clause 0x1
	global_load_dwordx2 v[19:20], v[19:20], off
	global_load_dwordx2 v[21:22], v[21:22], off
	global_load_dwordx2 v[27:28], v[27:28], off
	s_clause 0x1
	global_load_dwordx2 v[23:24], v[23:24], off
	global_load_dwordx2 v[31:32], v[31:32], off
	;; [unrolled: 4-line block ×7, first 2 shown]
	global_load_dwordx2 v[57:58], v[57:58], off
	global_load_dwordx2 v[13:14], v[13:14], off
	v_cmp_ge_i32_e32 vcc_lo, v6, v18
	s_or_b32 s0, vcc_lo, s0
	s_waitcnt vmcnt(22)
	v_fma_f64 v[7:8], v[61:62], v[59:60], v[7:8]
	s_waitcnt vmcnt(21)
	v_fma_f64 v[9:10], v[19:20], v[59:60], v[9:10]
	;; [unrolled: 2-line block ×15, first 2 shown]
	v_fma_f64 v[10:11], v[25:26], v[13:14], v[10:11]
	s_andn2_b32 exec_lo, exec_lo, s0
	s_cbranch_execnz .LBB141_15
; %bb.16:
	s_or_b32 exec_lo, exec_lo, s0
.LBB141_17:
	s_or_b32 exec_lo, exec_lo, s1
.LBB141_18:
	v_mbcnt_lo_u32_b32 v14, -1, 0
	v_xor_b32_e32 v6, 2, v14
	v_cmp_gt_i32_e32 vcc_lo, 32, v6
	v_cndmask_b32_e32 v6, v14, v6, vcc_lo
	v_lshlrev_b32_e32 v13, 2, v6
	ds_bpermute_b32 v6, v13, v8
	ds_bpermute_b32 v7, v13, v9
	;; [unrolled: 1-line block ×4, first 2 shown]
	s_waitcnt lgkmcnt(2)
	v_add_f64 v[6:7], v[8:9], v[6:7]
	v_xor_b32_e32 v8, 1, v14
	s_waitcnt lgkmcnt(0)
	v_add_f64 v[10:11], v[10:11], v[12:13]
	v_cmp_gt_i32_e32 vcc_lo, 32, v8
	v_cndmask_b32_e32 v8, v14, v8, vcc_lo
	v_cmp_eq_u32_e32 vcc_lo, 3, v0
	v_lshlrev_b32_e32 v13, 2, v8
	ds_bpermute_b32 v8, v13, v6
	ds_bpermute_b32 v9, v13, v7
	;; [unrolled: 1-line block ×4, first 2 shown]
	s_and_b32 exec_lo, exec_lo, vcc_lo
	s_cbranch_execz .LBB141_23
; %bb.19:
	s_waitcnt lgkmcnt(2)
	v_add_f64 v[8:9], v[6:7], v[8:9]
	s_waitcnt lgkmcnt(0)
	v_add_f64 v[6:7], v[10:11], v[12:13]
	s_load_dwordx2 s[0:1], s[4:5], 0x38
	s_mov_b32 s2, exec_lo
	v_cmpx_eq_f64_e32 0, v[3:4]
	s_xor_b32 s2, exec_lo, s2
	s_cbranch_execz .LBB141_21
; %bb.20:
	v_lshlrev_b32_e32 v0, 1, v5
	v_mul_f64 v[3:4], v[1:2], v[8:9]
	v_mul_f64 v[5:6], v[1:2], v[6:7]
                                        ; implicit-def: $vgpr8_vgpr9
	v_ashrrev_i32_e32 v1, 31, v0
	v_lshlrev_b64 v[0:1], 3, v[0:1]
	s_waitcnt lgkmcnt(0)
	v_add_co_u32 v0, vcc_lo, s0, v0
	v_add_co_ci_u32_e64 v1, null, s1, v1, vcc_lo
	global_store_dwordx4 v[0:1], v[3:6], off
                                        ; implicit-def: $vgpr5
                                        ; implicit-def: $vgpr1_vgpr2
                                        ; implicit-def: $vgpr3_vgpr4
                                        ; implicit-def: $vgpr6_vgpr7
.LBB141_21:
	s_andn2_saveexec_b32 s2, s2
	s_cbranch_execz .LBB141_23
; %bb.22:
	v_lshlrev_b32_e32 v10, 1, v5
	v_mul_f64 v[8:9], v[1:2], v[8:9]
	v_mul_f64 v[5:6], v[1:2], v[6:7]
	v_ashrrev_i32_e32 v11, 31, v10
	v_lshlrev_b64 v[10:11], 3, v[10:11]
	s_waitcnt lgkmcnt(0)
	v_add_co_u32 v14, vcc_lo, s0, v10
	v_add_co_ci_u32_e64 v15, null, s1, v11, vcc_lo
	global_load_dwordx4 v[10:13], v[14:15], off
	s_waitcnt vmcnt(0)
	v_fma_f64 v[0:1], v[3:4], v[10:11], v[8:9]
	v_fma_f64 v[2:3], v[3:4], v[12:13], v[5:6]
	global_store_dwordx4 v[14:15], v[0:3], off
.LBB141_23:
	s_endpgm
	.section	.rodata,"a",@progbits
	.p2align	6, 0x0
	.amdhsa_kernel _ZN9rocsparseL19gebsrmvn_2xn_kernelILj128ELj15ELj4EdEEvi20rocsparse_direction_NS_24const_host_device_scalarIT2_EEPKiS6_PKS3_S8_S4_PS3_21rocsparse_index_base_b
		.amdhsa_group_segment_fixed_size 0
		.amdhsa_private_segment_fixed_size 0
		.amdhsa_kernarg_size 72
		.amdhsa_user_sgpr_count 6
		.amdhsa_user_sgpr_private_segment_buffer 1
		.amdhsa_user_sgpr_dispatch_ptr 0
		.amdhsa_user_sgpr_queue_ptr 0
		.amdhsa_user_sgpr_kernarg_segment_ptr 1
		.amdhsa_user_sgpr_dispatch_id 0
		.amdhsa_user_sgpr_flat_scratch_init 0
		.amdhsa_user_sgpr_private_segment_size 0
		.amdhsa_wavefront_size32 1
		.amdhsa_uses_dynamic_stack 0
		.amdhsa_system_sgpr_private_segment_wavefront_offset 0
		.amdhsa_system_sgpr_workgroup_id_x 1
		.amdhsa_system_sgpr_workgroup_id_y 0
		.amdhsa_system_sgpr_workgroup_id_z 0
		.amdhsa_system_sgpr_workgroup_info 0
		.amdhsa_system_vgpr_workitem_id 0
		.amdhsa_next_free_vgpr 67
		.amdhsa_next_free_sgpr 16
		.amdhsa_reserve_vcc 1
		.amdhsa_reserve_flat_scratch 0
		.amdhsa_float_round_mode_32 0
		.amdhsa_float_round_mode_16_64 0
		.amdhsa_float_denorm_mode_32 3
		.amdhsa_float_denorm_mode_16_64 3
		.amdhsa_dx10_clamp 1
		.amdhsa_ieee_mode 1
		.amdhsa_fp16_overflow 0
		.amdhsa_workgroup_processor_mode 1
		.amdhsa_memory_ordered 1
		.amdhsa_forward_progress 1
		.amdhsa_shared_vgpr_count 0
		.amdhsa_exception_fp_ieee_invalid_op 0
		.amdhsa_exception_fp_denorm_src 0
		.amdhsa_exception_fp_ieee_div_zero 0
		.amdhsa_exception_fp_ieee_overflow 0
		.amdhsa_exception_fp_ieee_underflow 0
		.amdhsa_exception_fp_ieee_inexact 0
		.amdhsa_exception_int_div_zero 0
	.end_amdhsa_kernel
	.section	.text._ZN9rocsparseL19gebsrmvn_2xn_kernelILj128ELj15ELj4EdEEvi20rocsparse_direction_NS_24const_host_device_scalarIT2_EEPKiS6_PKS3_S8_S4_PS3_21rocsparse_index_base_b,"axG",@progbits,_ZN9rocsparseL19gebsrmvn_2xn_kernelILj128ELj15ELj4EdEEvi20rocsparse_direction_NS_24const_host_device_scalarIT2_EEPKiS6_PKS3_S8_S4_PS3_21rocsparse_index_base_b,comdat
.Lfunc_end141:
	.size	_ZN9rocsparseL19gebsrmvn_2xn_kernelILj128ELj15ELj4EdEEvi20rocsparse_direction_NS_24const_host_device_scalarIT2_EEPKiS6_PKS3_S8_S4_PS3_21rocsparse_index_base_b, .Lfunc_end141-_ZN9rocsparseL19gebsrmvn_2xn_kernelILj128ELj15ELj4EdEEvi20rocsparse_direction_NS_24const_host_device_scalarIT2_EEPKiS6_PKS3_S8_S4_PS3_21rocsparse_index_base_b
                                        ; -- End function
	.set _ZN9rocsparseL19gebsrmvn_2xn_kernelILj128ELj15ELj4EdEEvi20rocsparse_direction_NS_24const_host_device_scalarIT2_EEPKiS6_PKS3_S8_S4_PS3_21rocsparse_index_base_b.num_vgpr, 67
	.set _ZN9rocsparseL19gebsrmvn_2xn_kernelILj128ELj15ELj4EdEEvi20rocsparse_direction_NS_24const_host_device_scalarIT2_EEPKiS6_PKS3_S8_S4_PS3_21rocsparse_index_base_b.num_agpr, 0
	.set _ZN9rocsparseL19gebsrmvn_2xn_kernelILj128ELj15ELj4EdEEvi20rocsparse_direction_NS_24const_host_device_scalarIT2_EEPKiS6_PKS3_S8_S4_PS3_21rocsparse_index_base_b.numbered_sgpr, 16
	.set _ZN9rocsparseL19gebsrmvn_2xn_kernelILj128ELj15ELj4EdEEvi20rocsparse_direction_NS_24const_host_device_scalarIT2_EEPKiS6_PKS3_S8_S4_PS3_21rocsparse_index_base_b.num_named_barrier, 0
	.set _ZN9rocsparseL19gebsrmvn_2xn_kernelILj128ELj15ELj4EdEEvi20rocsparse_direction_NS_24const_host_device_scalarIT2_EEPKiS6_PKS3_S8_S4_PS3_21rocsparse_index_base_b.private_seg_size, 0
	.set _ZN9rocsparseL19gebsrmvn_2xn_kernelILj128ELj15ELj4EdEEvi20rocsparse_direction_NS_24const_host_device_scalarIT2_EEPKiS6_PKS3_S8_S4_PS3_21rocsparse_index_base_b.uses_vcc, 1
	.set _ZN9rocsparseL19gebsrmvn_2xn_kernelILj128ELj15ELj4EdEEvi20rocsparse_direction_NS_24const_host_device_scalarIT2_EEPKiS6_PKS3_S8_S4_PS3_21rocsparse_index_base_b.uses_flat_scratch, 0
	.set _ZN9rocsparseL19gebsrmvn_2xn_kernelILj128ELj15ELj4EdEEvi20rocsparse_direction_NS_24const_host_device_scalarIT2_EEPKiS6_PKS3_S8_S4_PS3_21rocsparse_index_base_b.has_dyn_sized_stack, 0
	.set _ZN9rocsparseL19gebsrmvn_2xn_kernelILj128ELj15ELj4EdEEvi20rocsparse_direction_NS_24const_host_device_scalarIT2_EEPKiS6_PKS3_S8_S4_PS3_21rocsparse_index_base_b.has_recursion, 0
	.set _ZN9rocsparseL19gebsrmvn_2xn_kernelILj128ELj15ELj4EdEEvi20rocsparse_direction_NS_24const_host_device_scalarIT2_EEPKiS6_PKS3_S8_S4_PS3_21rocsparse_index_base_b.has_indirect_call, 0
	.section	.AMDGPU.csdata,"",@progbits
; Kernel info:
; codeLenInByte = 4280
; TotalNumSgprs: 18
; NumVgprs: 67
; ScratchSize: 0
; MemoryBound: 0
; FloatMode: 240
; IeeeMode: 1
; LDSByteSize: 0 bytes/workgroup (compile time only)
; SGPRBlocks: 0
; VGPRBlocks: 8
; NumSGPRsForWavesPerEU: 18
; NumVGPRsForWavesPerEU: 67
; Occupancy: 12
; WaveLimiterHint : 1
; COMPUTE_PGM_RSRC2:SCRATCH_EN: 0
; COMPUTE_PGM_RSRC2:USER_SGPR: 6
; COMPUTE_PGM_RSRC2:TRAP_HANDLER: 0
; COMPUTE_PGM_RSRC2:TGID_X_EN: 1
; COMPUTE_PGM_RSRC2:TGID_Y_EN: 0
; COMPUTE_PGM_RSRC2:TGID_Z_EN: 0
; COMPUTE_PGM_RSRC2:TIDIG_COMP_CNT: 0
	.section	.text._ZN9rocsparseL19gebsrmvn_2xn_kernelILj128ELj15ELj8EdEEvi20rocsparse_direction_NS_24const_host_device_scalarIT2_EEPKiS6_PKS3_S8_S4_PS3_21rocsparse_index_base_b,"axG",@progbits,_ZN9rocsparseL19gebsrmvn_2xn_kernelILj128ELj15ELj8EdEEvi20rocsparse_direction_NS_24const_host_device_scalarIT2_EEPKiS6_PKS3_S8_S4_PS3_21rocsparse_index_base_b,comdat
	.globl	_ZN9rocsparseL19gebsrmvn_2xn_kernelILj128ELj15ELj8EdEEvi20rocsparse_direction_NS_24const_host_device_scalarIT2_EEPKiS6_PKS3_S8_S4_PS3_21rocsparse_index_base_b ; -- Begin function _ZN9rocsparseL19gebsrmvn_2xn_kernelILj128ELj15ELj8EdEEvi20rocsparse_direction_NS_24const_host_device_scalarIT2_EEPKiS6_PKS3_S8_S4_PS3_21rocsparse_index_base_b
	.p2align	8
	.type	_ZN9rocsparseL19gebsrmvn_2xn_kernelILj128ELj15ELj8EdEEvi20rocsparse_direction_NS_24const_host_device_scalarIT2_EEPKiS6_PKS3_S8_S4_PS3_21rocsparse_index_base_b,@function
_ZN9rocsparseL19gebsrmvn_2xn_kernelILj128ELj15ELj8EdEEvi20rocsparse_direction_NS_24const_host_device_scalarIT2_EEPKiS6_PKS3_S8_S4_PS3_21rocsparse_index_base_b: ; @_ZN9rocsparseL19gebsrmvn_2xn_kernelILj128ELj15ELj8EdEEvi20rocsparse_direction_NS_24const_host_device_scalarIT2_EEPKiS6_PKS3_S8_S4_PS3_21rocsparse_index_base_b
; %bb.0:
	s_clause 0x2
	s_load_dwordx2 s[2:3], s[4:5], 0x40
	s_load_dwordx2 s[8:9], s[4:5], 0x8
	;; [unrolled: 1-line block ×3, first 2 shown]
	s_waitcnt lgkmcnt(0)
	s_bitcmp1_b32 s3, 0
	v_mov_b32_e32 v1, s8
	v_mov_b32_e32 v2, s9
	s_cselect_b32 s3, -1, 0
	s_and_b32 vcc_lo, exec_lo, s3
	s_xor_b32 s3, s3, -1
	s_cbranch_vccnz .LBB142_2
; %bb.1:
	v_mov_b32_e32 v1, s8
	v_mov_b32_e32 v2, s9
	flat_load_dwordx2 v[1:2], v[1:2]
.LBB142_2:
	v_mov_b32_e32 v4, s1
	v_mov_b32_e32 v3, s0
	s_andn2_b32 vcc_lo, exec_lo, s3
	s_cbranch_vccnz .LBB142_4
; %bb.3:
	v_mov_b32_e32 v4, s1
	v_mov_b32_e32 v3, s0
	flat_load_dwordx2 v[3:4], v[3:4]
.LBB142_4:
	s_waitcnt vmcnt(0) lgkmcnt(0)
	v_cmp_neq_f64_e32 vcc_lo, 0, v[1:2]
	v_cmp_neq_f64_e64 s0, 1.0, v[3:4]
	s_or_b32 s0, vcc_lo, s0
	s_and_saveexec_b32 s1, s0
	s_cbranch_execz .LBB142_23
; %bb.5:
	s_load_dwordx2 s[0:1], s[4:5], 0x0
	v_lshrrev_b32_e32 v5, 3, v0
	v_lshl_or_b32 v5, s6, 4, v5
	s_waitcnt lgkmcnt(0)
	v_cmp_gt_i32_e32 vcc_lo, s0, v5
	s_and_b32 exec_lo, exec_lo, vcc_lo
	s_cbranch_execz .LBB142_23
; %bb.6:
	s_load_dwordx8 s[8:15], s[4:5], 0x10
	v_ashrrev_i32_e32 v6, 31, v5
	v_and_b32_e32 v0, 7, v0
	s_cmp_lg_u32 s1, 0
	v_lshlrev_b64 v[6:7], 2, v[5:6]
	s_waitcnt lgkmcnt(0)
	v_add_co_u32 v6, vcc_lo, s8, v6
	v_add_co_ci_u32_e64 v7, null, s9, v7, vcc_lo
	global_load_dwordx2 v[6:7], v[6:7], off
	s_waitcnt vmcnt(0)
	v_subrev_nc_u32_e32 v6, s2, v6
	v_subrev_nc_u32_e32 v18, s2, v7
	v_add_nc_u32_e32 v6, v6, v0
	v_cmp_lt_i32_e64 s0, v6, v18
	s_cbranch_scc0 .LBB142_12
; %bb.7:
	v_mov_b32_e32 v8, 0
	v_mov_b32_e32 v10, 0
	;; [unrolled: 1-line block ×4, first 2 shown]
	s_and_saveexec_b32 s1, s0
	s_cbranch_execz .LBB142_11
; %bb.8:
	v_mad_u64_u32 v[7:8], null, v6, 30, 28
	v_mov_b32_e32 v8, 0
	v_mov_b32_e32 v10, 0
	;; [unrolled: 1-line block ×6, first 2 shown]
	s_mov_b32 s3, 0
.LBB142_9:                              ; =>This Inner Loop Header: Depth=1
	v_ashrrev_i32_e32 v15, 31, v14
	v_subrev_nc_u32_e32 v12, 28, v7
	v_lshlrev_b64 v[15:16], 2, v[14:15]
	v_lshlrev_b64 v[19:20], 3, v[12:13]
	v_subrev_nc_u32_e32 v12, 26, v7
	v_add_nc_u32_e32 v14, 8, v14
	v_add_co_u32 v15, vcc_lo, s10, v15
	v_add_co_ci_u32_e64 v16, null, s11, v16, vcc_lo
	v_lshlrev_b64 v[21:22], 3, v[12:13]
	v_add_co_u32 v19, vcc_lo, s12, v19
	global_load_dword v15, v[15:16], off
	v_mov_b32_e32 v16, v13
	v_add_co_ci_u32_e64 v20, null, s13, v20, vcc_lo
	v_add_co_u32 v23, vcc_lo, s12, v21
	v_add_co_ci_u32_e64 v24, null, s13, v22, vcc_lo
	s_clause 0x1
	global_load_dwordx4 v[19:22], v[19:20], off
	global_load_dwordx4 v[23:26], v[23:24], off
	s_waitcnt vmcnt(2)
	v_subrev_nc_u32_e32 v12, s2, v15
	v_mul_lo_u32 v15, v12, 15
	v_lshlrev_b64 v[16:17], 3, v[15:16]
	v_add_nc_u32_e32 v12, 1, v15
	v_lshlrev_b64 v[27:28], 3, v[12:13]
	v_add_co_u32 v16, vcc_lo, s14, v16
	v_add_co_ci_u32_e64 v17, null, s15, v17, vcc_lo
	v_subrev_nc_u32_e32 v12, 24, v7
	v_add_co_u32 v27, vcc_lo, s14, v27
	global_load_dwordx2 v[16:17], v[16:17], off
	v_add_co_ci_u32_e64 v28, null, s15, v28, vcc_lo
	v_lshlrev_b64 v[29:30], 3, v[12:13]
	v_add_nc_u32_e32 v12, 2, v15
	global_load_dwordx2 v[47:48], v[27:28], off
	v_lshlrev_b64 v[31:32], 3, v[12:13]
	v_add_co_u32 v27, vcc_lo, s12, v29
	v_add_co_ci_u32_e64 v28, null, s13, v30, vcc_lo
	v_subrev_nc_u32_e32 v12, 22, v7
	v_add_co_u32 v31, vcc_lo, s14, v31
	v_add_co_ci_u32_e64 v32, null, s15, v32, vcc_lo
	global_load_dwordx4 v[27:30], v[27:28], off
	v_lshlrev_b64 v[33:34], 3, v[12:13]
	v_add_nc_u32_e32 v12, 3, v15
	global_load_dwordx2 v[49:50], v[31:32], off
	v_lshlrev_b64 v[35:36], 3, v[12:13]
	v_add_co_u32 v31, vcc_lo, s12, v33
	v_add_co_ci_u32_e64 v32, null, s13, v34, vcc_lo
	v_subrev_nc_u32_e32 v12, 20, v7
	v_add_co_u32 v35, vcc_lo, s14, v35
	v_add_co_ci_u32_e64 v36, null, s15, v36, vcc_lo
	global_load_dwordx4 v[31:34], v[31:32], off
	;; [unrolled: 10-line block ×3, first 2 shown]
	v_lshlrev_b64 v[41:42], 3, v[12:13]
	v_add_nc_u32_e32 v12, 5, v15
	global_load_dwordx2 v[53:54], v[39:40], off
	v_lshlrev_b64 v[43:44], 3, v[12:13]
	v_add_co_u32 v39, vcc_lo, s12, v41
	v_add_co_ci_u32_e64 v40, null, s13, v42, vcc_lo
	v_add_nc_u32_e32 v12, -16, v7
	v_add_co_u32 v43, vcc_lo, s14, v43
	v_add_co_ci_u32_e64 v44, null, s15, v44, vcc_lo
	global_load_dwordx4 v[39:42], v[39:40], off
	v_lshlrev_b64 v[45:46], 3, v[12:13]
	v_add_nc_u32_e32 v12, 6, v15
	global_load_dwordx2 v[57:58], v[43:44], off
	v_lshlrev_b64 v[55:56], 3, v[12:13]
	v_add_co_u32 v43, vcc_lo, s12, v45
	v_add_co_ci_u32_e64 v44, null, s13, v46, vcc_lo
	v_add_nc_u32_e32 v12, -14, v7
	v_add_co_u32 v55, vcc_lo, s14, v55
	v_add_co_ci_u32_e64 v56, null, s15, v56, vcc_lo
	global_load_dwordx4 v[43:46], v[43:44], off
	global_load_dwordx2 v[55:56], v[55:56], off
	v_lshlrev_b64 v[59:60], 3, v[12:13]
	v_add_nc_u32_e32 v12, 7, v15
	v_lshlrev_b64 v[61:62], 3, v[12:13]
	v_add_co_u32 v59, vcc_lo, s12, v59
	v_add_co_ci_u32_e64 v60, null, s13, v60, vcc_lo
	v_add_nc_u32_e32 v12, -12, v7
	v_add_co_u32 v61, vcc_lo, s14, v61
	v_add_co_ci_u32_e64 v62, null, s15, v62, vcc_lo
	s_waitcnt vmcnt(11)
	v_fma_f64 v[8:9], v[19:20], v[16:17], v[8:9]
	v_fma_f64 v[10:11], v[21:22], v[16:17], v[10:11]
	global_load_dwordx4 v[19:22], v[59:60], off
	global_load_dwordx2 v[59:60], v[61:62], off
	v_lshlrev_b64 v[16:17], 3, v[12:13]
	v_add_nc_u32_e32 v12, 8, v15
	v_lshlrev_b64 v[61:62], 3, v[12:13]
	v_add_co_u32 v16, vcc_lo, s12, v16
	v_add_co_ci_u32_e64 v17, null, s13, v17, vcc_lo
	v_add_nc_u32_e32 v12, -10, v7
	v_add_co_u32 v61, vcc_lo, s14, v61
	v_add_co_ci_u32_e64 v62, null, s15, v62, vcc_lo
	s_waitcnt vmcnt(12)
	v_fma_f64 v[8:9], v[23:24], v[47:48], v[8:9]
	v_fma_f64 v[10:11], v[25:26], v[47:48], v[10:11]
	;; [unrolled: 13-line block ×4, first 2 shown]
	global_load_dwordx4 v[31:34], v[49:50], off
	global_load_dwordx2 v[49:50], v[61:62], off
	v_lshlrev_b64 v[51:52], 3, v[12:13]
	v_add_nc_u32_e32 v12, 11, v15
	v_add_co_u32 v51, vcc_lo, s12, v51
	v_lshlrev_b64 v[61:62], 3, v[12:13]
	v_add_co_ci_u32_e64 v52, null, s13, v52, vcc_lo
	v_add_nc_u32_e32 v12, -4, v7
	s_waitcnt vmcnt(12)
	v_fma_f64 v[8:9], v[35:36], v[53:54], v[8:9]
	v_fma_f64 v[10:11], v[37:38], v[53:54], v[10:11]
	global_load_dwordx4 v[35:38], v[51:52], off
	v_add_co_u32 v51, vcc_lo, s14, v61
	v_add_co_ci_u32_e64 v52, null, s15, v62, vcc_lo
	v_lshlrev_b64 v[53:54], 3, v[12:13]
	v_add_nc_u32_e32 v12, 12, v15
	global_load_dwordx2 v[51:52], v[51:52], off
	v_lshlrev_b64 v[61:62], 3, v[12:13]
	v_add_nc_u32_e32 v12, -2, v7
	v_add_co_u32 v53, vcc_lo, s12, v53
	v_add_co_ci_u32_e64 v54, null, s13, v54, vcc_lo
	s_waitcnt vmcnt(12)
	v_fma_f64 v[63:64], v[39:40], v[57:58], v[8:9]
	v_lshlrev_b64 v[39:40], 3, v[12:13]
	v_fma_f64 v[9:10], v[41:42], v[57:58], v[10:11]
	v_add_co_u32 v57, vcc_lo, s14, v61
	v_add_co_ci_u32_e64 v58, null, s15, v62, vcc_lo
	v_add_co_u32 v61, vcc_lo, s12, v39
	v_add_co_ci_u32_e64 v62, null, s13, v40, vcc_lo
	global_load_dwordx4 v[39:42], v[53:54], off
	global_load_dwordx2 v[53:54], v[57:58], off
	v_add_nc_u32_e32 v12, 13, v15
	v_mov_b32_e32 v8, v13
	v_lshlrev_b64 v[11:12], 3, v[12:13]
	s_waitcnt vmcnt(12)
	v_fma_f64 v[57:58], v[43:44], v[55:56], v[63:64]
	v_add_co_u32 v11, vcc_lo, s14, v11
	v_add_co_ci_u32_e64 v12, null, s15, v12, vcc_lo
	v_fma_f64 v[55:56], v[45:46], v[55:56], v[9:10]
	global_load_dwordx4 v[43:46], v[61:62], off
	global_load_dwordx2 v[61:62], v[11:12], off
	v_add_nc_u32_e32 v12, 14, v15
	v_lshlrev_b64 v[8:9], 3, v[7:8]
	v_add_nc_u32_e32 v7, 0xf0, v7
	v_lshlrev_b64 v[10:11], 3, v[12:13]
	v_add_co_u32 v8, vcc_lo, s12, v8
	v_add_co_ci_u32_e64 v9, null, s13, v9, vcc_lo
	v_add_co_u32 v63, vcc_lo, s14, v10
	v_add_co_ci_u32_e64 v64, null, s15, v11, vcc_lo
	global_load_dwordx4 v[8:11], v[8:9], off
	global_load_dwordx2 v[63:64], v[63:64], off
	v_cmp_ge_i32_e32 vcc_lo, v14, v18
	s_or_b32 s3, vcc_lo, s3
	s_waitcnt vmcnt(14)
	v_fma_f64 v[19:20], v[19:20], v[59:60], v[57:58]
	v_fma_f64 v[21:22], v[21:22], v[59:60], v[55:56]
	s_waitcnt vmcnt(12)
	v_fma_f64 v[19:20], v[23:24], v[16:17], v[19:20]
	v_fma_f64 v[15:16], v[25:26], v[16:17], v[21:22]
	;; [unrolled: 3-line block ×8, first 2 shown]
	s_andn2_b32 exec_lo, exec_lo, s3
	s_cbranch_execnz .LBB142_9
; %bb.10:
	s_or_b32 exec_lo, exec_lo, s3
.LBB142_11:
	s_or_b32 exec_lo, exec_lo, s1
	s_cbranch_execz .LBB142_13
	s_branch .LBB142_18
.LBB142_12:
                                        ; implicit-def: $vgpr8_vgpr9
                                        ; implicit-def: $vgpr10_vgpr11
.LBB142_13:
	v_mov_b32_e32 v8, 0
	v_mov_b32_e32 v10, 0
	;; [unrolled: 1-line block ×4, first 2 shown]
	s_and_saveexec_b32 s1, s0
	s_cbranch_execz .LBB142_17
; %bb.14:
	v_mad_u64_u32 v[12:13], null, v6, 30, 29
	v_mov_b32_e32 v8, 0
	v_mov_b32_e32 v10, 0
	;; [unrolled: 1-line block ×5, first 2 shown]
	s_mov_b32 s0, 0
.LBB142_15:                             ; =>This Inner Loop Header: Depth=1
	v_ashrrev_i32_e32 v7, 31, v6
	v_subrev_nc_u32_e32 v14, 29, v12
	v_add_nc_u32_e32 v19, -14, v12
	v_mov_b32_e32 v20, v15
	v_mov_b32_e32 v13, v15
	v_lshlrev_b64 v[21:22], 2, v[6:7]
	v_lshlrev_b64 v[23:24], 3, v[14:15]
	v_mov_b32_e32 v17, v15
	v_lshlrev_b64 v[19:20], 3, v[19:20]
	v_lshlrev_b64 v[13:14], 3, v[12:13]
	v_add_nc_u32_e32 v6, 8, v6
	v_add_co_u32 v21, vcc_lo, s10, v21
	v_add_co_ci_u32_e64 v22, null, s11, v22, vcc_lo
	v_add_co_u32 v23, vcc_lo, s12, v23
	v_add_co_ci_u32_e64 v24, null, s13, v24, vcc_lo
	global_load_dword v7, v[21:22], off
	v_add_co_u32 v19, vcc_lo, s12, v19
	v_add_co_ci_u32_e64 v20, null, s13, v20, vcc_lo
	v_add_co_u32 v25, vcc_lo, s12, v13
	v_add_co_ci_u32_e64 v26, null, s13, v14, vcc_lo
	s_waitcnt vmcnt(0)
	v_subrev_nc_u32_e32 v7, s2, v7
	v_mul_lo_u32 v16, v7, 15
	v_add_nc_u32_e32 v14, 1, v16
	v_lshlrev_b64 v[21:22], 3, v[16:17]
	v_lshlrev_b64 v[27:28], 3, v[14:15]
	v_add_nc_u32_e32 v14, -13, v12
	v_add_co_u32 v21, vcc_lo, s14, v21
	v_add_co_ci_u32_e64 v22, null, s15, v22, vcc_lo
	v_lshlrev_b64 v[29:30], 3, v[14:15]
	v_subrev_nc_u32_e32 v14, 27, v12
	v_add_co_u32 v27, vcc_lo, s14, v27
	v_add_co_ci_u32_e64 v28, null, s15, v28, vcc_lo
	v_lshlrev_b64 v[31:32], 3, v[14:15]
	v_add_nc_u32_e32 v14, 2, v16
	v_add_co_u32 v29, vcc_lo, s12, v29
	v_add_co_ci_u32_e64 v30, null, s13, v30, vcc_lo
	v_lshlrev_b64 v[33:34], 3, v[14:15]
	v_add_nc_u32_e32 v14, -12, v12
	v_add_co_u32 v31, vcc_lo, s12, v31
	v_add_co_ci_u32_e64 v32, null, s13, v32, vcc_lo
	v_lshlrev_b64 v[35:36], 3, v[14:15]
	v_subrev_nc_u32_e32 v14, 26, v12
	v_add_co_u32 v33, vcc_lo, s14, v33
	v_add_co_ci_u32_e64 v34, null, s15, v34, vcc_lo
	v_lshlrev_b64 v[37:38], 3, v[14:15]
	v_add_nc_u32_e32 v14, 3, v16
	v_add_co_u32 v35, vcc_lo, s12, v35
	v_add_co_ci_u32_e64 v36, null, s13, v36, vcc_lo
	;; [unrolled: 12-line block ×6, first 2 shown]
	v_lshlrev_b64 v[13:14], 3, v[14:15]
	v_add_co_u32 v61, vcc_lo, s12, v61
	v_add_co_ci_u32_e64 v62, null, s13, v62, vcc_lo
	v_add_co_u32 v63, vcc_lo, s14, v13
	v_add_co_ci_u32_e64 v64, null, s15, v14, vcc_lo
	global_load_dwordx2 v[13:14], v[19:20], off
	global_load_dwordx2 v[65:66], v[21:22], off
	global_load_dwordx4 v[19:22], v[23:24], off
	global_load_dwordx2 v[23:24], v[27:28], off
	s_clause 0x1
	global_load_dwordx2 v[27:28], v[29:30], off
	global_load_dwordx2 v[29:30], v[31:32], off
	global_load_dwordx2 v[33:34], v[33:34], off
	s_clause 0x1
	global_load_dwordx2 v[35:36], v[35:36], off
	global_load_dwordx2 v[37:38], v[37:38], off
	;; [unrolled: 4-line block ×6, first 2 shown]
	s_waitcnt vmcnt(18)
	v_fma_f64 v[7:8], v[19:20], v[65:66], v[8:9]
	v_fma_f64 v[10:11], v[13:14], v[65:66], v[10:11]
	v_add_nc_u32_e32 v14, -7, v12
	v_lshlrev_b64 v[19:20], 3, v[14:15]
	v_subrev_nc_u32_e32 v14, 21, v12
	v_add_co_u32 v19, vcc_lo, s12, v19
	v_add_co_ci_u32_e64 v20, null, s13, v20, vcc_lo
	s_waitcnt vmcnt(17)
	v_fma_f64 v[7:8], v[21:22], v[23:24], v[7:8]
	v_lshlrev_b64 v[21:22], 3, v[14:15]
	v_add_nc_u32_e32 v14, 8, v16
	s_waitcnt vmcnt(16)
	v_fma_f64 v[9:10], v[27:28], v[23:24], v[10:11]
	v_lshlrev_b64 v[31:32], 3, v[14:15]
	v_add_nc_u32_e32 v14, -6, v12
	v_add_co_u32 v21, vcc_lo, s12, v21
	v_add_co_ci_u32_e64 v22, null, s13, v22, vcc_lo
	v_lshlrev_b64 v[23:24], 3, v[14:15]
	v_subrev_nc_u32_e32 v14, 20, v12
	v_add_co_u32 v27, vcc_lo, s14, v31
	v_add_co_ci_u32_e64 v28, null, s15, v32, vcc_lo
	v_lshlrev_b64 v[13:14], 3, v[14:15]
	v_add_co_u32 v23, vcc_lo, s12, v23
	v_add_co_ci_u32_e64 v24, null, s13, v24, vcc_lo
	s_waitcnt vmcnt(14)
	v_fma_f64 v[7:8], v[29:30], v[33:34], v[7:8]
	v_add_co_u32 v31, vcc_lo, s12, v13
	v_add_co_ci_u32_e64 v32, null, s13, v14, vcc_lo
	v_add_nc_u32_e32 v14, 9, v16
	s_waitcnt vmcnt(13)
	v_fma_f64 v[9:10], v[35:36], v[33:34], v[9:10]
	v_lshlrev_b64 v[29:30], 3, v[14:15]
	v_add_nc_u32_e32 v14, -5, v12
	v_lshlrev_b64 v[33:34], 3, v[14:15]
	v_subrev_nc_u32_e32 v14, 19, v12
	v_add_co_u32 v29, vcc_lo, s14, v29
	v_add_co_ci_u32_e64 v30, null, s15, v30, vcc_lo
	v_lshlrev_b64 v[13:14], 3, v[14:15]
	v_add_co_u32 v33, vcc_lo, s12, v33
	v_add_co_ci_u32_e64 v34, null, s13, v34, vcc_lo
	s_waitcnt vmcnt(11)
	v_fma_f64 v[7:8], v[37:38], v[39:40], v[7:8]
	v_add_co_u32 v35, vcc_lo, s12, v13
	v_add_co_ci_u32_e64 v36, null, s13, v14, vcc_lo
	v_add_nc_u32_e32 v14, 10, v16
	s_waitcnt vmcnt(10)
	v_fma_f64 v[9:10], v[41:42], v[39:40], v[9:10]
	v_lshlrev_b64 v[37:38], 3, v[14:15]
	v_add_nc_u32_e32 v14, -4, v12
	;; [unrolled: 16-line block ×4, first 2 shown]
	v_lshlrev_b64 v[51:52], 3, v[14:15]
	v_add_nc_u32_e32 v14, -16, v12
	v_add_co_u32 v49, vcc_lo, s14, v49
	v_add_co_ci_u32_e64 v50, null, s15, v50, vcc_lo
	v_lshlrev_b64 v[13:14], 3, v[14:15]
	v_add_co_u32 v51, vcc_lo, s12, v51
	v_add_co_ci_u32_e64 v52, null, s13, v52, vcc_lo
	s_waitcnt vmcnt(2)
	v_fma_f64 v[7:8], v[55:56], v[57:58], v[7:8]
	v_add_co_u32 v53, vcc_lo, s12, v13
	v_add_co_ci_u32_e64 v54, null, s13, v14, vcc_lo
	v_add_nc_u32_e32 v14, 13, v16
	s_waitcnt vmcnt(1)
	v_fma_f64 v[9:10], v[59:60], v[57:58], v[9:10]
	v_lshlrev_b64 v[55:56], 3, v[14:15]
	v_add_nc_u32_e32 v14, -1, v12
	v_lshlrev_b64 v[57:58], 3, v[14:15]
	v_add_nc_u32_e32 v14, -15, v12
	v_add_co_u32 v55, vcc_lo, s14, v55
	v_add_co_ci_u32_e64 v56, null, s15, v56, vcc_lo
	v_lshlrev_b64 v[59:60], 3, v[14:15]
	v_add_nc_u32_e32 v14, 14, v16
	v_add_co_u32 v16, vcc_lo, s12, v57
	v_add_co_ci_u32_e64 v17, null, s13, v58, vcc_lo
	v_lshlrev_b64 v[13:14], 3, v[14:15]
	v_add_co_u32 v57, vcc_lo, s12, v59
	v_add_co_ci_u32_e64 v58, null, s13, v60, vcc_lo
	v_add_nc_u32_e32 v12, 0xf0, v12
	v_add_co_u32 v13, vcc_lo, s14, v13
	v_add_co_ci_u32_e64 v14, null, s15, v14, vcc_lo
	global_load_dwordx2 v[59:60], v[63:64], off
	s_clause 0x1
	global_load_dwordx2 v[19:20], v[19:20], off
	global_load_dwordx2 v[21:22], v[21:22], off
	global_load_dwordx2 v[27:28], v[27:28], off
	s_clause 0x1
	global_load_dwordx2 v[23:24], v[23:24], off
	global_load_dwordx2 v[31:32], v[31:32], off
	;; [unrolled: 4-line block ×7, first 2 shown]
	global_load_dwordx2 v[57:58], v[57:58], off
	global_load_dwordx2 v[13:14], v[13:14], off
	v_cmp_ge_i32_e32 vcc_lo, v6, v18
	s_or_b32 s0, vcc_lo, s0
	s_waitcnt vmcnt(22)
	v_fma_f64 v[7:8], v[61:62], v[59:60], v[7:8]
	s_waitcnt vmcnt(21)
	v_fma_f64 v[9:10], v[19:20], v[59:60], v[9:10]
	;; [unrolled: 2-line block ×15, first 2 shown]
	v_fma_f64 v[10:11], v[25:26], v[13:14], v[10:11]
	s_andn2_b32 exec_lo, exec_lo, s0
	s_cbranch_execnz .LBB142_15
; %bb.16:
	s_or_b32 exec_lo, exec_lo, s0
.LBB142_17:
	s_or_b32 exec_lo, exec_lo, s1
.LBB142_18:
	v_mbcnt_lo_u32_b32 v14, -1, 0
	v_xor_b32_e32 v6, 4, v14
	v_cmp_gt_i32_e32 vcc_lo, 32, v6
	v_cndmask_b32_e32 v6, v14, v6, vcc_lo
	v_lshlrev_b32_e32 v13, 2, v6
	ds_bpermute_b32 v6, v13, v8
	ds_bpermute_b32 v7, v13, v9
	;; [unrolled: 1-line block ×4, first 2 shown]
	s_waitcnt lgkmcnt(2)
	v_add_f64 v[6:7], v[8:9], v[6:7]
	s_waitcnt lgkmcnt(0)
	v_add_f64 v[8:9], v[10:11], v[12:13]
	v_xor_b32_e32 v10, 2, v14
	v_cmp_gt_i32_e32 vcc_lo, 32, v10
	v_cndmask_b32_e32 v10, v14, v10, vcc_lo
	v_lshlrev_b32_e32 v13, 2, v10
	ds_bpermute_b32 v10, v13, v6
	ds_bpermute_b32 v11, v13, v7
	;; [unrolled: 1-line block ×4, first 2 shown]
	s_waitcnt lgkmcnt(2)
	v_add_f64 v[6:7], v[6:7], v[10:11]
	s_waitcnt lgkmcnt(0)
	v_add_f64 v[10:11], v[8:9], v[12:13]
	v_xor_b32_e32 v8, 1, v14
	v_cmp_gt_i32_e32 vcc_lo, 32, v8
	v_cndmask_b32_e32 v8, v14, v8, vcc_lo
	v_cmp_eq_u32_e32 vcc_lo, 7, v0
	v_lshlrev_b32_e32 v13, 2, v8
	ds_bpermute_b32 v8, v13, v6
	ds_bpermute_b32 v9, v13, v7
	;; [unrolled: 1-line block ×4, first 2 shown]
	s_and_b32 exec_lo, exec_lo, vcc_lo
	s_cbranch_execz .LBB142_23
; %bb.19:
	s_waitcnt lgkmcnt(2)
	v_add_f64 v[8:9], v[6:7], v[8:9]
	s_waitcnt lgkmcnt(0)
	v_add_f64 v[6:7], v[10:11], v[12:13]
	s_load_dwordx2 s[0:1], s[4:5], 0x38
	s_mov_b32 s2, exec_lo
	v_cmpx_eq_f64_e32 0, v[3:4]
	s_xor_b32 s2, exec_lo, s2
	s_cbranch_execz .LBB142_21
; %bb.20:
	v_lshlrev_b32_e32 v0, 1, v5
	v_mul_f64 v[3:4], v[1:2], v[8:9]
	v_mul_f64 v[5:6], v[1:2], v[6:7]
                                        ; implicit-def: $vgpr8_vgpr9
	v_ashrrev_i32_e32 v1, 31, v0
	v_lshlrev_b64 v[0:1], 3, v[0:1]
	s_waitcnt lgkmcnt(0)
	v_add_co_u32 v0, vcc_lo, s0, v0
	v_add_co_ci_u32_e64 v1, null, s1, v1, vcc_lo
	global_store_dwordx4 v[0:1], v[3:6], off
                                        ; implicit-def: $vgpr5
                                        ; implicit-def: $vgpr1_vgpr2
                                        ; implicit-def: $vgpr3_vgpr4
                                        ; implicit-def: $vgpr6_vgpr7
.LBB142_21:
	s_andn2_saveexec_b32 s2, s2
	s_cbranch_execz .LBB142_23
; %bb.22:
	v_lshlrev_b32_e32 v10, 1, v5
	v_mul_f64 v[8:9], v[1:2], v[8:9]
	v_mul_f64 v[5:6], v[1:2], v[6:7]
	v_ashrrev_i32_e32 v11, 31, v10
	v_lshlrev_b64 v[10:11], 3, v[10:11]
	s_waitcnt lgkmcnt(0)
	v_add_co_u32 v14, vcc_lo, s0, v10
	v_add_co_ci_u32_e64 v15, null, s1, v11, vcc_lo
	global_load_dwordx4 v[10:13], v[14:15], off
	s_waitcnt vmcnt(0)
	v_fma_f64 v[0:1], v[3:4], v[10:11], v[8:9]
	v_fma_f64 v[2:3], v[3:4], v[12:13], v[5:6]
	global_store_dwordx4 v[14:15], v[0:3], off
.LBB142_23:
	s_endpgm
	.section	.rodata,"a",@progbits
	.p2align	6, 0x0
	.amdhsa_kernel _ZN9rocsparseL19gebsrmvn_2xn_kernelILj128ELj15ELj8EdEEvi20rocsparse_direction_NS_24const_host_device_scalarIT2_EEPKiS6_PKS3_S8_S4_PS3_21rocsparse_index_base_b
		.amdhsa_group_segment_fixed_size 0
		.amdhsa_private_segment_fixed_size 0
		.amdhsa_kernarg_size 72
		.amdhsa_user_sgpr_count 6
		.amdhsa_user_sgpr_private_segment_buffer 1
		.amdhsa_user_sgpr_dispatch_ptr 0
		.amdhsa_user_sgpr_queue_ptr 0
		.amdhsa_user_sgpr_kernarg_segment_ptr 1
		.amdhsa_user_sgpr_dispatch_id 0
		.amdhsa_user_sgpr_flat_scratch_init 0
		.amdhsa_user_sgpr_private_segment_size 0
		.amdhsa_wavefront_size32 1
		.amdhsa_uses_dynamic_stack 0
		.amdhsa_system_sgpr_private_segment_wavefront_offset 0
		.amdhsa_system_sgpr_workgroup_id_x 1
		.amdhsa_system_sgpr_workgroup_id_y 0
		.amdhsa_system_sgpr_workgroup_id_z 0
		.amdhsa_system_sgpr_workgroup_info 0
		.amdhsa_system_vgpr_workitem_id 0
		.amdhsa_next_free_vgpr 67
		.amdhsa_next_free_sgpr 16
		.amdhsa_reserve_vcc 1
		.amdhsa_reserve_flat_scratch 0
		.amdhsa_float_round_mode_32 0
		.amdhsa_float_round_mode_16_64 0
		.amdhsa_float_denorm_mode_32 3
		.amdhsa_float_denorm_mode_16_64 3
		.amdhsa_dx10_clamp 1
		.amdhsa_ieee_mode 1
		.amdhsa_fp16_overflow 0
		.amdhsa_workgroup_processor_mode 1
		.amdhsa_memory_ordered 1
		.amdhsa_forward_progress 1
		.amdhsa_shared_vgpr_count 0
		.amdhsa_exception_fp_ieee_invalid_op 0
		.amdhsa_exception_fp_denorm_src 0
		.amdhsa_exception_fp_ieee_div_zero 0
		.amdhsa_exception_fp_ieee_overflow 0
		.amdhsa_exception_fp_ieee_underflow 0
		.amdhsa_exception_fp_ieee_inexact 0
		.amdhsa_exception_int_div_zero 0
	.end_amdhsa_kernel
	.section	.text._ZN9rocsparseL19gebsrmvn_2xn_kernelILj128ELj15ELj8EdEEvi20rocsparse_direction_NS_24const_host_device_scalarIT2_EEPKiS6_PKS3_S8_S4_PS3_21rocsparse_index_base_b,"axG",@progbits,_ZN9rocsparseL19gebsrmvn_2xn_kernelILj128ELj15ELj8EdEEvi20rocsparse_direction_NS_24const_host_device_scalarIT2_EEPKiS6_PKS3_S8_S4_PS3_21rocsparse_index_base_b,comdat
.Lfunc_end142:
	.size	_ZN9rocsparseL19gebsrmvn_2xn_kernelILj128ELj15ELj8EdEEvi20rocsparse_direction_NS_24const_host_device_scalarIT2_EEPKiS6_PKS3_S8_S4_PS3_21rocsparse_index_base_b, .Lfunc_end142-_ZN9rocsparseL19gebsrmvn_2xn_kernelILj128ELj15ELj8EdEEvi20rocsparse_direction_NS_24const_host_device_scalarIT2_EEPKiS6_PKS3_S8_S4_PS3_21rocsparse_index_base_b
                                        ; -- End function
	.set _ZN9rocsparseL19gebsrmvn_2xn_kernelILj128ELj15ELj8EdEEvi20rocsparse_direction_NS_24const_host_device_scalarIT2_EEPKiS6_PKS3_S8_S4_PS3_21rocsparse_index_base_b.num_vgpr, 67
	.set _ZN9rocsparseL19gebsrmvn_2xn_kernelILj128ELj15ELj8EdEEvi20rocsparse_direction_NS_24const_host_device_scalarIT2_EEPKiS6_PKS3_S8_S4_PS3_21rocsparse_index_base_b.num_agpr, 0
	.set _ZN9rocsparseL19gebsrmvn_2xn_kernelILj128ELj15ELj8EdEEvi20rocsparse_direction_NS_24const_host_device_scalarIT2_EEPKiS6_PKS3_S8_S4_PS3_21rocsparse_index_base_b.numbered_sgpr, 16
	.set _ZN9rocsparseL19gebsrmvn_2xn_kernelILj128ELj15ELj8EdEEvi20rocsparse_direction_NS_24const_host_device_scalarIT2_EEPKiS6_PKS3_S8_S4_PS3_21rocsparse_index_base_b.num_named_barrier, 0
	.set _ZN9rocsparseL19gebsrmvn_2xn_kernelILj128ELj15ELj8EdEEvi20rocsparse_direction_NS_24const_host_device_scalarIT2_EEPKiS6_PKS3_S8_S4_PS3_21rocsparse_index_base_b.private_seg_size, 0
	.set _ZN9rocsparseL19gebsrmvn_2xn_kernelILj128ELj15ELj8EdEEvi20rocsparse_direction_NS_24const_host_device_scalarIT2_EEPKiS6_PKS3_S8_S4_PS3_21rocsparse_index_base_b.uses_vcc, 1
	.set _ZN9rocsparseL19gebsrmvn_2xn_kernelILj128ELj15ELj8EdEEvi20rocsparse_direction_NS_24const_host_device_scalarIT2_EEPKiS6_PKS3_S8_S4_PS3_21rocsparse_index_base_b.uses_flat_scratch, 0
	.set _ZN9rocsparseL19gebsrmvn_2xn_kernelILj128ELj15ELj8EdEEvi20rocsparse_direction_NS_24const_host_device_scalarIT2_EEPKiS6_PKS3_S8_S4_PS3_21rocsparse_index_base_b.has_dyn_sized_stack, 0
	.set _ZN9rocsparseL19gebsrmvn_2xn_kernelILj128ELj15ELj8EdEEvi20rocsparse_direction_NS_24const_host_device_scalarIT2_EEPKiS6_PKS3_S8_S4_PS3_21rocsparse_index_base_b.has_recursion, 0
	.set _ZN9rocsparseL19gebsrmvn_2xn_kernelILj128ELj15ELj8EdEEvi20rocsparse_direction_NS_24const_host_device_scalarIT2_EEPKiS6_PKS3_S8_S4_PS3_21rocsparse_index_base_b.has_indirect_call, 0
	.section	.AMDGPU.csdata,"",@progbits
; Kernel info:
; codeLenInByte = 4352
; TotalNumSgprs: 18
; NumVgprs: 67
; ScratchSize: 0
; MemoryBound: 0
; FloatMode: 240
; IeeeMode: 1
; LDSByteSize: 0 bytes/workgroup (compile time only)
; SGPRBlocks: 0
; VGPRBlocks: 8
; NumSGPRsForWavesPerEU: 18
; NumVGPRsForWavesPerEU: 67
; Occupancy: 12
; WaveLimiterHint : 1
; COMPUTE_PGM_RSRC2:SCRATCH_EN: 0
; COMPUTE_PGM_RSRC2:USER_SGPR: 6
; COMPUTE_PGM_RSRC2:TRAP_HANDLER: 0
; COMPUTE_PGM_RSRC2:TGID_X_EN: 1
; COMPUTE_PGM_RSRC2:TGID_Y_EN: 0
; COMPUTE_PGM_RSRC2:TGID_Z_EN: 0
; COMPUTE_PGM_RSRC2:TIDIG_COMP_CNT: 0
	.section	.text._ZN9rocsparseL19gebsrmvn_2xn_kernelILj128ELj15ELj16EdEEvi20rocsparse_direction_NS_24const_host_device_scalarIT2_EEPKiS6_PKS3_S8_S4_PS3_21rocsparse_index_base_b,"axG",@progbits,_ZN9rocsparseL19gebsrmvn_2xn_kernelILj128ELj15ELj16EdEEvi20rocsparse_direction_NS_24const_host_device_scalarIT2_EEPKiS6_PKS3_S8_S4_PS3_21rocsparse_index_base_b,comdat
	.globl	_ZN9rocsparseL19gebsrmvn_2xn_kernelILj128ELj15ELj16EdEEvi20rocsparse_direction_NS_24const_host_device_scalarIT2_EEPKiS6_PKS3_S8_S4_PS3_21rocsparse_index_base_b ; -- Begin function _ZN9rocsparseL19gebsrmvn_2xn_kernelILj128ELj15ELj16EdEEvi20rocsparse_direction_NS_24const_host_device_scalarIT2_EEPKiS6_PKS3_S8_S4_PS3_21rocsparse_index_base_b
	.p2align	8
	.type	_ZN9rocsparseL19gebsrmvn_2xn_kernelILj128ELj15ELj16EdEEvi20rocsparse_direction_NS_24const_host_device_scalarIT2_EEPKiS6_PKS3_S8_S4_PS3_21rocsparse_index_base_b,@function
_ZN9rocsparseL19gebsrmvn_2xn_kernelILj128ELj15ELj16EdEEvi20rocsparse_direction_NS_24const_host_device_scalarIT2_EEPKiS6_PKS3_S8_S4_PS3_21rocsparse_index_base_b: ; @_ZN9rocsparseL19gebsrmvn_2xn_kernelILj128ELj15ELj16EdEEvi20rocsparse_direction_NS_24const_host_device_scalarIT2_EEPKiS6_PKS3_S8_S4_PS3_21rocsparse_index_base_b
; %bb.0:
	s_clause 0x2
	s_load_dwordx2 s[2:3], s[4:5], 0x40
	s_load_dwordx2 s[8:9], s[4:5], 0x8
	;; [unrolled: 1-line block ×3, first 2 shown]
	s_waitcnt lgkmcnt(0)
	s_bitcmp1_b32 s3, 0
	v_mov_b32_e32 v1, s8
	v_mov_b32_e32 v2, s9
	s_cselect_b32 s3, -1, 0
	s_and_b32 vcc_lo, exec_lo, s3
	s_xor_b32 s3, s3, -1
	s_cbranch_vccnz .LBB143_2
; %bb.1:
	v_mov_b32_e32 v1, s8
	v_mov_b32_e32 v2, s9
	flat_load_dwordx2 v[1:2], v[1:2]
.LBB143_2:
	v_mov_b32_e32 v4, s1
	v_mov_b32_e32 v3, s0
	s_andn2_b32 vcc_lo, exec_lo, s3
	s_cbranch_vccnz .LBB143_4
; %bb.3:
	v_mov_b32_e32 v4, s1
	v_mov_b32_e32 v3, s0
	flat_load_dwordx2 v[3:4], v[3:4]
.LBB143_4:
	s_waitcnt vmcnt(0) lgkmcnt(0)
	v_cmp_neq_f64_e32 vcc_lo, 0, v[1:2]
	v_cmp_neq_f64_e64 s0, 1.0, v[3:4]
	s_or_b32 s0, vcc_lo, s0
	s_and_saveexec_b32 s1, s0
	s_cbranch_execz .LBB143_23
; %bb.5:
	s_load_dwordx2 s[0:1], s[4:5], 0x0
	v_lshrrev_b32_e32 v5, 4, v0
	v_lshl_or_b32 v5, s6, 3, v5
	s_waitcnt lgkmcnt(0)
	v_cmp_gt_i32_e32 vcc_lo, s0, v5
	s_and_b32 exec_lo, exec_lo, vcc_lo
	s_cbranch_execz .LBB143_23
; %bb.6:
	s_load_dwordx8 s[8:15], s[4:5], 0x10
	v_ashrrev_i32_e32 v6, 31, v5
	v_and_b32_e32 v0, 15, v0
	s_cmp_lg_u32 s1, 0
	v_lshlrev_b64 v[6:7], 2, v[5:6]
	s_waitcnt lgkmcnt(0)
	v_add_co_u32 v6, vcc_lo, s8, v6
	v_add_co_ci_u32_e64 v7, null, s9, v7, vcc_lo
	global_load_dwordx2 v[6:7], v[6:7], off
	s_waitcnt vmcnt(0)
	v_subrev_nc_u32_e32 v6, s2, v6
	v_subrev_nc_u32_e32 v18, s2, v7
	v_add_nc_u32_e32 v6, v6, v0
	v_cmp_lt_i32_e64 s0, v6, v18
	s_cbranch_scc0 .LBB143_12
; %bb.7:
	v_mov_b32_e32 v8, 0
	v_mov_b32_e32 v10, 0
	;; [unrolled: 1-line block ×4, first 2 shown]
	s_and_saveexec_b32 s1, s0
	s_cbranch_execz .LBB143_11
; %bb.8:
	v_mad_u64_u32 v[7:8], null, v6, 30, 28
	v_mov_b32_e32 v8, 0
	v_mov_b32_e32 v10, 0
	v_mov_b32_e32 v9, 0
	v_mov_b32_e32 v13, 0
	v_mov_b32_e32 v11, 0
	v_mov_b32_e32 v14, v6
	s_mov_b32 s3, 0
.LBB143_9:                              ; =>This Inner Loop Header: Depth=1
	v_ashrrev_i32_e32 v15, 31, v14
	v_subrev_nc_u32_e32 v12, 28, v7
	v_lshlrev_b64 v[15:16], 2, v[14:15]
	v_lshlrev_b64 v[19:20], 3, v[12:13]
	v_subrev_nc_u32_e32 v12, 26, v7
	v_add_nc_u32_e32 v14, 16, v14
	v_add_co_u32 v15, vcc_lo, s10, v15
	v_add_co_ci_u32_e64 v16, null, s11, v16, vcc_lo
	v_lshlrev_b64 v[21:22], 3, v[12:13]
	v_add_co_u32 v19, vcc_lo, s12, v19
	global_load_dword v15, v[15:16], off
	v_mov_b32_e32 v16, v13
	v_add_co_ci_u32_e64 v20, null, s13, v20, vcc_lo
	v_add_co_u32 v23, vcc_lo, s12, v21
	v_add_co_ci_u32_e64 v24, null, s13, v22, vcc_lo
	s_clause 0x1
	global_load_dwordx4 v[19:22], v[19:20], off
	global_load_dwordx4 v[23:26], v[23:24], off
	s_waitcnt vmcnt(2)
	v_subrev_nc_u32_e32 v12, s2, v15
	v_mul_lo_u32 v15, v12, 15
	v_lshlrev_b64 v[16:17], 3, v[15:16]
	v_add_nc_u32_e32 v12, 1, v15
	v_lshlrev_b64 v[27:28], 3, v[12:13]
	v_add_co_u32 v16, vcc_lo, s14, v16
	v_add_co_ci_u32_e64 v17, null, s15, v17, vcc_lo
	v_subrev_nc_u32_e32 v12, 24, v7
	v_add_co_u32 v27, vcc_lo, s14, v27
	global_load_dwordx2 v[16:17], v[16:17], off
	v_add_co_ci_u32_e64 v28, null, s15, v28, vcc_lo
	v_lshlrev_b64 v[29:30], 3, v[12:13]
	v_add_nc_u32_e32 v12, 2, v15
	global_load_dwordx2 v[47:48], v[27:28], off
	v_lshlrev_b64 v[31:32], 3, v[12:13]
	v_add_co_u32 v27, vcc_lo, s12, v29
	v_add_co_ci_u32_e64 v28, null, s13, v30, vcc_lo
	v_subrev_nc_u32_e32 v12, 22, v7
	v_add_co_u32 v31, vcc_lo, s14, v31
	v_add_co_ci_u32_e64 v32, null, s15, v32, vcc_lo
	global_load_dwordx4 v[27:30], v[27:28], off
	v_lshlrev_b64 v[33:34], 3, v[12:13]
	v_add_nc_u32_e32 v12, 3, v15
	global_load_dwordx2 v[49:50], v[31:32], off
	v_lshlrev_b64 v[35:36], 3, v[12:13]
	v_add_co_u32 v31, vcc_lo, s12, v33
	v_add_co_ci_u32_e64 v32, null, s13, v34, vcc_lo
	v_subrev_nc_u32_e32 v12, 20, v7
	v_add_co_u32 v35, vcc_lo, s14, v35
	v_add_co_ci_u32_e64 v36, null, s15, v36, vcc_lo
	global_load_dwordx4 v[31:34], v[31:32], off
	;; [unrolled: 10-line block ×3, first 2 shown]
	v_lshlrev_b64 v[41:42], 3, v[12:13]
	v_add_nc_u32_e32 v12, 5, v15
	global_load_dwordx2 v[53:54], v[39:40], off
	v_lshlrev_b64 v[43:44], 3, v[12:13]
	v_add_co_u32 v39, vcc_lo, s12, v41
	v_add_co_ci_u32_e64 v40, null, s13, v42, vcc_lo
	v_add_nc_u32_e32 v12, -16, v7
	v_add_co_u32 v43, vcc_lo, s14, v43
	v_add_co_ci_u32_e64 v44, null, s15, v44, vcc_lo
	global_load_dwordx4 v[39:42], v[39:40], off
	v_lshlrev_b64 v[45:46], 3, v[12:13]
	v_add_nc_u32_e32 v12, 6, v15
	global_load_dwordx2 v[57:58], v[43:44], off
	v_lshlrev_b64 v[55:56], 3, v[12:13]
	v_add_co_u32 v43, vcc_lo, s12, v45
	v_add_co_ci_u32_e64 v44, null, s13, v46, vcc_lo
	v_add_nc_u32_e32 v12, -14, v7
	v_add_co_u32 v55, vcc_lo, s14, v55
	v_add_co_ci_u32_e64 v56, null, s15, v56, vcc_lo
	global_load_dwordx4 v[43:46], v[43:44], off
	global_load_dwordx2 v[55:56], v[55:56], off
	v_lshlrev_b64 v[59:60], 3, v[12:13]
	v_add_nc_u32_e32 v12, 7, v15
	v_lshlrev_b64 v[61:62], 3, v[12:13]
	v_add_co_u32 v59, vcc_lo, s12, v59
	v_add_co_ci_u32_e64 v60, null, s13, v60, vcc_lo
	v_add_nc_u32_e32 v12, -12, v7
	v_add_co_u32 v61, vcc_lo, s14, v61
	v_add_co_ci_u32_e64 v62, null, s15, v62, vcc_lo
	s_waitcnt vmcnt(11)
	v_fma_f64 v[8:9], v[19:20], v[16:17], v[8:9]
	v_fma_f64 v[10:11], v[21:22], v[16:17], v[10:11]
	global_load_dwordx4 v[19:22], v[59:60], off
	global_load_dwordx2 v[59:60], v[61:62], off
	v_lshlrev_b64 v[16:17], 3, v[12:13]
	v_add_nc_u32_e32 v12, 8, v15
	v_lshlrev_b64 v[61:62], 3, v[12:13]
	v_add_co_u32 v16, vcc_lo, s12, v16
	v_add_co_ci_u32_e64 v17, null, s13, v17, vcc_lo
	v_add_nc_u32_e32 v12, -10, v7
	v_add_co_u32 v61, vcc_lo, s14, v61
	v_add_co_ci_u32_e64 v62, null, s15, v62, vcc_lo
	s_waitcnt vmcnt(12)
	v_fma_f64 v[8:9], v[23:24], v[47:48], v[8:9]
	v_fma_f64 v[10:11], v[25:26], v[47:48], v[10:11]
	;; [unrolled: 13-line block ×4, first 2 shown]
	global_load_dwordx4 v[31:34], v[49:50], off
	global_load_dwordx2 v[49:50], v[61:62], off
	v_lshlrev_b64 v[51:52], 3, v[12:13]
	v_add_nc_u32_e32 v12, 11, v15
	v_add_co_u32 v51, vcc_lo, s12, v51
	v_lshlrev_b64 v[61:62], 3, v[12:13]
	v_add_co_ci_u32_e64 v52, null, s13, v52, vcc_lo
	v_add_nc_u32_e32 v12, -4, v7
	s_waitcnt vmcnt(12)
	v_fma_f64 v[8:9], v[35:36], v[53:54], v[8:9]
	v_fma_f64 v[10:11], v[37:38], v[53:54], v[10:11]
	global_load_dwordx4 v[35:38], v[51:52], off
	v_add_co_u32 v51, vcc_lo, s14, v61
	v_add_co_ci_u32_e64 v52, null, s15, v62, vcc_lo
	v_lshlrev_b64 v[53:54], 3, v[12:13]
	v_add_nc_u32_e32 v12, 12, v15
	global_load_dwordx2 v[51:52], v[51:52], off
	v_lshlrev_b64 v[61:62], 3, v[12:13]
	v_add_nc_u32_e32 v12, -2, v7
	v_add_co_u32 v53, vcc_lo, s12, v53
	v_add_co_ci_u32_e64 v54, null, s13, v54, vcc_lo
	s_waitcnt vmcnt(12)
	v_fma_f64 v[63:64], v[39:40], v[57:58], v[8:9]
	v_lshlrev_b64 v[39:40], 3, v[12:13]
	v_fma_f64 v[9:10], v[41:42], v[57:58], v[10:11]
	v_add_co_u32 v57, vcc_lo, s14, v61
	v_add_co_ci_u32_e64 v58, null, s15, v62, vcc_lo
	v_add_co_u32 v61, vcc_lo, s12, v39
	v_add_co_ci_u32_e64 v62, null, s13, v40, vcc_lo
	global_load_dwordx4 v[39:42], v[53:54], off
	global_load_dwordx2 v[53:54], v[57:58], off
	v_add_nc_u32_e32 v12, 13, v15
	v_mov_b32_e32 v8, v13
	v_lshlrev_b64 v[11:12], 3, v[12:13]
	s_waitcnt vmcnt(12)
	v_fma_f64 v[57:58], v[43:44], v[55:56], v[63:64]
	v_add_co_u32 v11, vcc_lo, s14, v11
	v_add_co_ci_u32_e64 v12, null, s15, v12, vcc_lo
	v_fma_f64 v[55:56], v[45:46], v[55:56], v[9:10]
	global_load_dwordx4 v[43:46], v[61:62], off
	global_load_dwordx2 v[61:62], v[11:12], off
	v_add_nc_u32_e32 v12, 14, v15
	v_lshlrev_b64 v[8:9], 3, v[7:8]
	v_add_nc_u32_e32 v7, 0x1e0, v7
	v_lshlrev_b64 v[10:11], 3, v[12:13]
	v_add_co_u32 v8, vcc_lo, s12, v8
	v_add_co_ci_u32_e64 v9, null, s13, v9, vcc_lo
	v_add_co_u32 v63, vcc_lo, s14, v10
	v_add_co_ci_u32_e64 v64, null, s15, v11, vcc_lo
	global_load_dwordx4 v[8:11], v[8:9], off
	global_load_dwordx2 v[63:64], v[63:64], off
	v_cmp_ge_i32_e32 vcc_lo, v14, v18
	s_or_b32 s3, vcc_lo, s3
	s_waitcnt vmcnt(14)
	v_fma_f64 v[19:20], v[19:20], v[59:60], v[57:58]
	v_fma_f64 v[21:22], v[21:22], v[59:60], v[55:56]
	s_waitcnt vmcnt(12)
	v_fma_f64 v[19:20], v[23:24], v[16:17], v[19:20]
	v_fma_f64 v[15:16], v[25:26], v[16:17], v[21:22]
	;; [unrolled: 3-line block ×8, first 2 shown]
	s_andn2_b32 exec_lo, exec_lo, s3
	s_cbranch_execnz .LBB143_9
; %bb.10:
	s_or_b32 exec_lo, exec_lo, s3
.LBB143_11:
	s_or_b32 exec_lo, exec_lo, s1
	s_cbranch_execz .LBB143_13
	s_branch .LBB143_18
.LBB143_12:
                                        ; implicit-def: $vgpr8_vgpr9
                                        ; implicit-def: $vgpr10_vgpr11
.LBB143_13:
	v_mov_b32_e32 v8, 0
	v_mov_b32_e32 v10, 0
	;; [unrolled: 1-line block ×4, first 2 shown]
	s_and_saveexec_b32 s1, s0
	s_cbranch_execz .LBB143_17
; %bb.14:
	v_mad_u64_u32 v[12:13], null, v6, 30, 29
	v_mov_b32_e32 v8, 0
	v_mov_b32_e32 v10, 0
	;; [unrolled: 1-line block ×5, first 2 shown]
	s_mov_b32 s0, 0
.LBB143_15:                             ; =>This Inner Loop Header: Depth=1
	v_ashrrev_i32_e32 v7, 31, v6
	v_subrev_nc_u32_e32 v14, 29, v12
	v_add_nc_u32_e32 v19, -14, v12
	v_mov_b32_e32 v20, v15
	v_mov_b32_e32 v13, v15
	v_lshlrev_b64 v[21:22], 2, v[6:7]
	v_lshlrev_b64 v[23:24], 3, v[14:15]
	v_mov_b32_e32 v17, v15
	v_lshlrev_b64 v[19:20], 3, v[19:20]
	v_lshlrev_b64 v[13:14], 3, v[12:13]
	v_add_nc_u32_e32 v6, 16, v6
	v_add_co_u32 v21, vcc_lo, s10, v21
	v_add_co_ci_u32_e64 v22, null, s11, v22, vcc_lo
	v_add_co_u32 v23, vcc_lo, s12, v23
	v_add_co_ci_u32_e64 v24, null, s13, v24, vcc_lo
	global_load_dword v7, v[21:22], off
	v_add_co_u32 v19, vcc_lo, s12, v19
	v_add_co_ci_u32_e64 v20, null, s13, v20, vcc_lo
	v_add_co_u32 v25, vcc_lo, s12, v13
	v_add_co_ci_u32_e64 v26, null, s13, v14, vcc_lo
	s_waitcnt vmcnt(0)
	v_subrev_nc_u32_e32 v7, s2, v7
	v_mul_lo_u32 v16, v7, 15
	v_add_nc_u32_e32 v14, 1, v16
	v_lshlrev_b64 v[21:22], 3, v[16:17]
	v_lshlrev_b64 v[27:28], 3, v[14:15]
	v_add_nc_u32_e32 v14, -13, v12
	v_add_co_u32 v21, vcc_lo, s14, v21
	v_add_co_ci_u32_e64 v22, null, s15, v22, vcc_lo
	v_lshlrev_b64 v[29:30], 3, v[14:15]
	v_subrev_nc_u32_e32 v14, 27, v12
	v_add_co_u32 v27, vcc_lo, s14, v27
	v_add_co_ci_u32_e64 v28, null, s15, v28, vcc_lo
	v_lshlrev_b64 v[31:32], 3, v[14:15]
	v_add_nc_u32_e32 v14, 2, v16
	v_add_co_u32 v29, vcc_lo, s12, v29
	v_add_co_ci_u32_e64 v30, null, s13, v30, vcc_lo
	v_lshlrev_b64 v[33:34], 3, v[14:15]
	v_add_nc_u32_e32 v14, -12, v12
	v_add_co_u32 v31, vcc_lo, s12, v31
	v_add_co_ci_u32_e64 v32, null, s13, v32, vcc_lo
	v_lshlrev_b64 v[35:36], 3, v[14:15]
	v_subrev_nc_u32_e32 v14, 26, v12
	v_add_co_u32 v33, vcc_lo, s14, v33
	v_add_co_ci_u32_e64 v34, null, s15, v34, vcc_lo
	v_lshlrev_b64 v[37:38], 3, v[14:15]
	v_add_nc_u32_e32 v14, 3, v16
	v_add_co_u32 v35, vcc_lo, s12, v35
	v_add_co_ci_u32_e64 v36, null, s13, v36, vcc_lo
	;; [unrolled: 12-line block ×6, first 2 shown]
	v_lshlrev_b64 v[13:14], 3, v[14:15]
	v_add_co_u32 v61, vcc_lo, s12, v61
	v_add_co_ci_u32_e64 v62, null, s13, v62, vcc_lo
	v_add_co_u32 v63, vcc_lo, s14, v13
	v_add_co_ci_u32_e64 v64, null, s15, v14, vcc_lo
	global_load_dwordx2 v[13:14], v[19:20], off
	global_load_dwordx2 v[65:66], v[21:22], off
	global_load_dwordx4 v[19:22], v[23:24], off
	global_load_dwordx2 v[23:24], v[27:28], off
	s_clause 0x1
	global_load_dwordx2 v[27:28], v[29:30], off
	global_load_dwordx2 v[29:30], v[31:32], off
	global_load_dwordx2 v[33:34], v[33:34], off
	s_clause 0x1
	global_load_dwordx2 v[35:36], v[35:36], off
	global_load_dwordx2 v[37:38], v[37:38], off
	;; [unrolled: 4-line block ×6, first 2 shown]
	s_waitcnt vmcnt(18)
	v_fma_f64 v[7:8], v[19:20], v[65:66], v[8:9]
	v_fma_f64 v[10:11], v[13:14], v[65:66], v[10:11]
	v_add_nc_u32_e32 v14, -7, v12
	v_lshlrev_b64 v[19:20], 3, v[14:15]
	v_subrev_nc_u32_e32 v14, 21, v12
	v_add_co_u32 v19, vcc_lo, s12, v19
	v_add_co_ci_u32_e64 v20, null, s13, v20, vcc_lo
	s_waitcnt vmcnt(17)
	v_fma_f64 v[7:8], v[21:22], v[23:24], v[7:8]
	v_lshlrev_b64 v[21:22], 3, v[14:15]
	v_add_nc_u32_e32 v14, 8, v16
	s_waitcnt vmcnt(16)
	v_fma_f64 v[9:10], v[27:28], v[23:24], v[10:11]
	v_lshlrev_b64 v[31:32], 3, v[14:15]
	v_add_nc_u32_e32 v14, -6, v12
	v_add_co_u32 v21, vcc_lo, s12, v21
	v_add_co_ci_u32_e64 v22, null, s13, v22, vcc_lo
	v_lshlrev_b64 v[23:24], 3, v[14:15]
	v_subrev_nc_u32_e32 v14, 20, v12
	v_add_co_u32 v27, vcc_lo, s14, v31
	v_add_co_ci_u32_e64 v28, null, s15, v32, vcc_lo
	v_lshlrev_b64 v[13:14], 3, v[14:15]
	v_add_co_u32 v23, vcc_lo, s12, v23
	v_add_co_ci_u32_e64 v24, null, s13, v24, vcc_lo
	s_waitcnt vmcnt(14)
	v_fma_f64 v[7:8], v[29:30], v[33:34], v[7:8]
	v_add_co_u32 v31, vcc_lo, s12, v13
	v_add_co_ci_u32_e64 v32, null, s13, v14, vcc_lo
	v_add_nc_u32_e32 v14, 9, v16
	s_waitcnt vmcnt(13)
	v_fma_f64 v[9:10], v[35:36], v[33:34], v[9:10]
	v_lshlrev_b64 v[29:30], 3, v[14:15]
	v_add_nc_u32_e32 v14, -5, v12
	v_lshlrev_b64 v[33:34], 3, v[14:15]
	v_subrev_nc_u32_e32 v14, 19, v12
	v_add_co_u32 v29, vcc_lo, s14, v29
	v_add_co_ci_u32_e64 v30, null, s15, v30, vcc_lo
	v_lshlrev_b64 v[13:14], 3, v[14:15]
	v_add_co_u32 v33, vcc_lo, s12, v33
	v_add_co_ci_u32_e64 v34, null, s13, v34, vcc_lo
	s_waitcnt vmcnt(11)
	v_fma_f64 v[7:8], v[37:38], v[39:40], v[7:8]
	v_add_co_u32 v35, vcc_lo, s12, v13
	v_add_co_ci_u32_e64 v36, null, s13, v14, vcc_lo
	v_add_nc_u32_e32 v14, 10, v16
	s_waitcnt vmcnt(10)
	v_fma_f64 v[9:10], v[41:42], v[39:40], v[9:10]
	v_lshlrev_b64 v[37:38], 3, v[14:15]
	v_add_nc_u32_e32 v14, -4, v12
	;; [unrolled: 16-line block ×4, first 2 shown]
	v_lshlrev_b64 v[51:52], 3, v[14:15]
	v_add_nc_u32_e32 v14, -16, v12
	v_add_co_u32 v49, vcc_lo, s14, v49
	v_add_co_ci_u32_e64 v50, null, s15, v50, vcc_lo
	v_lshlrev_b64 v[13:14], 3, v[14:15]
	v_add_co_u32 v51, vcc_lo, s12, v51
	v_add_co_ci_u32_e64 v52, null, s13, v52, vcc_lo
	s_waitcnt vmcnt(2)
	v_fma_f64 v[7:8], v[55:56], v[57:58], v[7:8]
	v_add_co_u32 v53, vcc_lo, s12, v13
	v_add_co_ci_u32_e64 v54, null, s13, v14, vcc_lo
	v_add_nc_u32_e32 v14, 13, v16
	s_waitcnt vmcnt(1)
	v_fma_f64 v[9:10], v[59:60], v[57:58], v[9:10]
	v_lshlrev_b64 v[55:56], 3, v[14:15]
	v_add_nc_u32_e32 v14, -1, v12
	v_lshlrev_b64 v[57:58], 3, v[14:15]
	v_add_nc_u32_e32 v14, -15, v12
	v_add_co_u32 v55, vcc_lo, s14, v55
	v_add_co_ci_u32_e64 v56, null, s15, v56, vcc_lo
	v_lshlrev_b64 v[59:60], 3, v[14:15]
	v_add_nc_u32_e32 v14, 14, v16
	v_add_co_u32 v16, vcc_lo, s12, v57
	v_add_co_ci_u32_e64 v17, null, s13, v58, vcc_lo
	v_lshlrev_b64 v[13:14], 3, v[14:15]
	v_add_co_u32 v57, vcc_lo, s12, v59
	v_add_co_ci_u32_e64 v58, null, s13, v60, vcc_lo
	v_add_nc_u32_e32 v12, 0x1e0, v12
	v_add_co_u32 v13, vcc_lo, s14, v13
	v_add_co_ci_u32_e64 v14, null, s15, v14, vcc_lo
	global_load_dwordx2 v[59:60], v[63:64], off
	s_clause 0x1
	global_load_dwordx2 v[19:20], v[19:20], off
	global_load_dwordx2 v[21:22], v[21:22], off
	global_load_dwordx2 v[27:28], v[27:28], off
	s_clause 0x1
	global_load_dwordx2 v[23:24], v[23:24], off
	global_load_dwordx2 v[31:32], v[31:32], off
	;; [unrolled: 4-line block ×7, first 2 shown]
	global_load_dwordx2 v[57:58], v[57:58], off
	global_load_dwordx2 v[13:14], v[13:14], off
	v_cmp_ge_i32_e32 vcc_lo, v6, v18
	s_or_b32 s0, vcc_lo, s0
	s_waitcnt vmcnt(22)
	v_fma_f64 v[7:8], v[61:62], v[59:60], v[7:8]
	s_waitcnt vmcnt(21)
	v_fma_f64 v[9:10], v[19:20], v[59:60], v[9:10]
	s_waitcnt vmcnt(19)
	v_fma_f64 v[7:8], v[21:22], v[27:28], v[7:8]
	s_waitcnt vmcnt(18)
	v_fma_f64 v[9:10], v[23:24], v[27:28], v[9:10]
	s_waitcnt vmcnt(16)
	v_fma_f64 v[7:8], v[31:32], v[29:30], v[7:8]
	s_waitcnt vmcnt(15)
	v_fma_f64 v[9:10], v[33:34], v[29:30], v[9:10]
	s_waitcnt vmcnt(13)
	v_fma_f64 v[7:8], v[35:36], v[37:38], v[7:8]
	s_waitcnt vmcnt(12)
	v_fma_f64 v[9:10], v[39:40], v[37:38], v[9:10]
	s_waitcnt vmcnt(10)
	v_fma_f64 v[7:8], v[41:42], v[43:44], v[7:8]
	s_waitcnt vmcnt(9)
	v_fma_f64 v[9:10], v[45:46], v[43:44], v[9:10]
	s_waitcnt vmcnt(7)
	v_fma_f64 v[7:8], v[47:48], v[49:50], v[7:8]
	s_waitcnt vmcnt(6)
	v_fma_f64 v[9:10], v[51:52], v[49:50], v[9:10]
	s_waitcnt vmcnt(4)
	v_fma_f64 v[7:8], v[53:54], v[55:56], v[7:8]
	s_waitcnt vmcnt(3)
	v_fma_f64 v[10:11], v[16:17], v[55:56], v[9:10]
	s_waitcnt vmcnt(0)
	v_fma_f64 v[8:9], v[57:58], v[13:14], v[7:8]
	v_fma_f64 v[10:11], v[25:26], v[13:14], v[10:11]
	s_andn2_b32 exec_lo, exec_lo, s0
	s_cbranch_execnz .LBB143_15
; %bb.16:
	s_or_b32 exec_lo, exec_lo, s0
.LBB143_17:
	s_or_b32 exec_lo, exec_lo, s1
.LBB143_18:
	v_mbcnt_lo_u32_b32 v14, -1, 0
	v_xor_b32_e32 v6, 8, v14
	v_cmp_gt_i32_e32 vcc_lo, 32, v6
	v_cndmask_b32_e32 v6, v14, v6, vcc_lo
	v_lshlrev_b32_e32 v13, 2, v6
	ds_bpermute_b32 v6, v13, v8
	ds_bpermute_b32 v7, v13, v9
	;; [unrolled: 1-line block ×4, first 2 shown]
	s_waitcnt lgkmcnt(2)
	v_add_f64 v[6:7], v[8:9], v[6:7]
	s_waitcnt lgkmcnt(0)
	v_add_f64 v[8:9], v[10:11], v[12:13]
	v_xor_b32_e32 v10, 4, v14
	v_cmp_gt_i32_e32 vcc_lo, 32, v10
	v_cndmask_b32_e32 v10, v14, v10, vcc_lo
	v_lshlrev_b32_e32 v13, 2, v10
	ds_bpermute_b32 v10, v13, v6
	ds_bpermute_b32 v11, v13, v7
	;; [unrolled: 1-line block ×4, first 2 shown]
	s_waitcnt lgkmcnt(2)
	v_add_f64 v[6:7], v[6:7], v[10:11]
	v_xor_b32_e32 v10, 2, v14
	s_waitcnt lgkmcnt(0)
	v_add_f64 v[8:9], v[8:9], v[12:13]
	v_cmp_gt_i32_e32 vcc_lo, 32, v10
	v_cndmask_b32_e32 v10, v14, v10, vcc_lo
	v_lshlrev_b32_e32 v13, 2, v10
	ds_bpermute_b32 v10, v13, v6
	ds_bpermute_b32 v11, v13, v7
	;; [unrolled: 1-line block ×4, first 2 shown]
	s_waitcnt lgkmcnt(2)
	v_add_f64 v[6:7], v[6:7], v[10:11]
	s_waitcnt lgkmcnt(0)
	v_add_f64 v[10:11], v[8:9], v[12:13]
	v_xor_b32_e32 v8, 1, v14
	v_cmp_gt_i32_e32 vcc_lo, 32, v8
	v_cndmask_b32_e32 v8, v14, v8, vcc_lo
	v_cmp_eq_u32_e32 vcc_lo, 15, v0
	v_lshlrev_b32_e32 v13, 2, v8
	ds_bpermute_b32 v8, v13, v6
	ds_bpermute_b32 v9, v13, v7
	ds_bpermute_b32 v12, v13, v10
	ds_bpermute_b32 v13, v13, v11
	s_and_b32 exec_lo, exec_lo, vcc_lo
	s_cbranch_execz .LBB143_23
; %bb.19:
	s_waitcnt lgkmcnt(2)
	v_add_f64 v[8:9], v[6:7], v[8:9]
	s_waitcnt lgkmcnt(0)
	v_add_f64 v[6:7], v[10:11], v[12:13]
	s_load_dwordx2 s[0:1], s[4:5], 0x38
	s_mov_b32 s2, exec_lo
	v_cmpx_eq_f64_e32 0, v[3:4]
	s_xor_b32 s2, exec_lo, s2
	s_cbranch_execz .LBB143_21
; %bb.20:
	v_lshlrev_b32_e32 v0, 1, v5
	v_mul_f64 v[3:4], v[1:2], v[8:9]
	v_mul_f64 v[5:6], v[1:2], v[6:7]
                                        ; implicit-def: $vgpr8_vgpr9
	v_ashrrev_i32_e32 v1, 31, v0
	v_lshlrev_b64 v[0:1], 3, v[0:1]
	s_waitcnt lgkmcnt(0)
	v_add_co_u32 v0, vcc_lo, s0, v0
	v_add_co_ci_u32_e64 v1, null, s1, v1, vcc_lo
	global_store_dwordx4 v[0:1], v[3:6], off
                                        ; implicit-def: $vgpr5
                                        ; implicit-def: $vgpr1_vgpr2
                                        ; implicit-def: $vgpr3_vgpr4
                                        ; implicit-def: $vgpr6_vgpr7
.LBB143_21:
	s_andn2_saveexec_b32 s2, s2
	s_cbranch_execz .LBB143_23
; %bb.22:
	v_lshlrev_b32_e32 v10, 1, v5
	v_mul_f64 v[8:9], v[1:2], v[8:9]
	v_mul_f64 v[5:6], v[1:2], v[6:7]
	v_ashrrev_i32_e32 v11, 31, v10
	v_lshlrev_b64 v[10:11], 3, v[10:11]
	s_waitcnt lgkmcnt(0)
	v_add_co_u32 v14, vcc_lo, s0, v10
	v_add_co_ci_u32_e64 v15, null, s1, v11, vcc_lo
	global_load_dwordx4 v[10:13], v[14:15], off
	s_waitcnt vmcnt(0)
	v_fma_f64 v[0:1], v[3:4], v[10:11], v[8:9]
	v_fma_f64 v[2:3], v[3:4], v[12:13], v[5:6]
	global_store_dwordx4 v[14:15], v[0:3], off
.LBB143_23:
	s_endpgm
	.section	.rodata,"a",@progbits
	.p2align	6, 0x0
	.amdhsa_kernel _ZN9rocsparseL19gebsrmvn_2xn_kernelILj128ELj15ELj16EdEEvi20rocsparse_direction_NS_24const_host_device_scalarIT2_EEPKiS6_PKS3_S8_S4_PS3_21rocsparse_index_base_b
		.amdhsa_group_segment_fixed_size 0
		.amdhsa_private_segment_fixed_size 0
		.amdhsa_kernarg_size 72
		.amdhsa_user_sgpr_count 6
		.amdhsa_user_sgpr_private_segment_buffer 1
		.amdhsa_user_sgpr_dispatch_ptr 0
		.amdhsa_user_sgpr_queue_ptr 0
		.amdhsa_user_sgpr_kernarg_segment_ptr 1
		.amdhsa_user_sgpr_dispatch_id 0
		.amdhsa_user_sgpr_flat_scratch_init 0
		.amdhsa_user_sgpr_private_segment_size 0
		.amdhsa_wavefront_size32 1
		.amdhsa_uses_dynamic_stack 0
		.amdhsa_system_sgpr_private_segment_wavefront_offset 0
		.amdhsa_system_sgpr_workgroup_id_x 1
		.amdhsa_system_sgpr_workgroup_id_y 0
		.amdhsa_system_sgpr_workgroup_id_z 0
		.amdhsa_system_sgpr_workgroup_info 0
		.amdhsa_system_vgpr_workitem_id 0
		.amdhsa_next_free_vgpr 67
		.amdhsa_next_free_sgpr 16
		.amdhsa_reserve_vcc 1
		.amdhsa_reserve_flat_scratch 0
		.amdhsa_float_round_mode_32 0
		.amdhsa_float_round_mode_16_64 0
		.amdhsa_float_denorm_mode_32 3
		.amdhsa_float_denorm_mode_16_64 3
		.amdhsa_dx10_clamp 1
		.amdhsa_ieee_mode 1
		.amdhsa_fp16_overflow 0
		.amdhsa_workgroup_processor_mode 1
		.amdhsa_memory_ordered 1
		.amdhsa_forward_progress 1
		.amdhsa_shared_vgpr_count 0
		.amdhsa_exception_fp_ieee_invalid_op 0
		.amdhsa_exception_fp_denorm_src 0
		.amdhsa_exception_fp_ieee_div_zero 0
		.amdhsa_exception_fp_ieee_overflow 0
		.amdhsa_exception_fp_ieee_underflow 0
		.amdhsa_exception_fp_ieee_inexact 0
		.amdhsa_exception_int_div_zero 0
	.end_amdhsa_kernel
	.section	.text._ZN9rocsparseL19gebsrmvn_2xn_kernelILj128ELj15ELj16EdEEvi20rocsparse_direction_NS_24const_host_device_scalarIT2_EEPKiS6_PKS3_S8_S4_PS3_21rocsparse_index_base_b,"axG",@progbits,_ZN9rocsparseL19gebsrmvn_2xn_kernelILj128ELj15ELj16EdEEvi20rocsparse_direction_NS_24const_host_device_scalarIT2_EEPKiS6_PKS3_S8_S4_PS3_21rocsparse_index_base_b,comdat
.Lfunc_end143:
	.size	_ZN9rocsparseL19gebsrmvn_2xn_kernelILj128ELj15ELj16EdEEvi20rocsparse_direction_NS_24const_host_device_scalarIT2_EEPKiS6_PKS3_S8_S4_PS3_21rocsparse_index_base_b, .Lfunc_end143-_ZN9rocsparseL19gebsrmvn_2xn_kernelILj128ELj15ELj16EdEEvi20rocsparse_direction_NS_24const_host_device_scalarIT2_EEPKiS6_PKS3_S8_S4_PS3_21rocsparse_index_base_b
                                        ; -- End function
	.set _ZN9rocsparseL19gebsrmvn_2xn_kernelILj128ELj15ELj16EdEEvi20rocsparse_direction_NS_24const_host_device_scalarIT2_EEPKiS6_PKS3_S8_S4_PS3_21rocsparse_index_base_b.num_vgpr, 67
	.set _ZN9rocsparseL19gebsrmvn_2xn_kernelILj128ELj15ELj16EdEEvi20rocsparse_direction_NS_24const_host_device_scalarIT2_EEPKiS6_PKS3_S8_S4_PS3_21rocsparse_index_base_b.num_agpr, 0
	.set _ZN9rocsparseL19gebsrmvn_2xn_kernelILj128ELj15ELj16EdEEvi20rocsparse_direction_NS_24const_host_device_scalarIT2_EEPKiS6_PKS3_S8_S4_PS3_21rocsparse_index_base_b.numbered_sgpr, 16
	.set _ZN9rocsparseL19gebsrmvn_2xn_kernelILj128ELj15ELj16EdEEvi20rocsparse_direction_NS_24const_host_device_scalarIT2_EEPKiS6_PKS3_S8_S4_PS3_21rocsparse_index_base_b.num_named_barrier, 0
	.set _ZN9rocsparseL19gebsrmvn_2xn_kernelILj128ELj15ELj16EdEEvi20rocsparse_direction_NS_24const_host_device_scalarIT2_EEPKiS6_PKS3_S8_S4_PS3_21rocsparse_index_base_b.private_seg_size, 0
	.set _ZN9rocsparseL19gebsrmvn_2xn_kernelILj128ELj15ELj16EdEEvi20rocsparse_direction_NS_24const_host_device_scalarIT2_EEPKiS6_PKS3_S8_S4_PS3_21rocsparse_index_base_b.uses_vcc, 1
	.set _ZN9rocsparseL19gebsrmvn_2xn_kernelILj128ELj15ELj16EdEEvi20rocsparse_direction_NS_24const_host_device_scalarIT2_EEPKiS6_PKS3_S8_S4_PS3_21rocsparse_index_base_b.uses_flat_scratch, 0
	.set _ZN9rocsparseL19gebsrmvn_2xn_kernelILj128ELj15ELj16EdEEvi20rocsparse_direction_NS_24const_host_device_scalarIT2_EEPKiS6_PKS3_S8_S4_PS3_21rocsparse_index_base_b.has_dyn_sized_stack, 0
	.set _ZN9rocsparseL19gebsrmvn_2xn_kernelILj128ELj15ELj16EdEEvi20rocsparse_direction_NS_24const_host_device_scalarIT2_EEPKiS6_PKS3_S8_S4_PS3_21rocsparse_index_base_b.has_recursion, 0
	.set _ZN9rocsparseL19gebsrmvn_2xn_kernelILj128ELj15ELj16EdEEvi20rocsparse_direction_NS_24const_host_device_scalarIT2_EEPKiS6_PKS3_S8_S4_PS3_21rocsparse_index_base_b.has_indirect_call, 0
	.section	.AMDGPU.csdata,"",@progbits
; Kernel info:
; codeLenInByte = 4424
; TotalNumSgprs: 18
; NumVgprs: 67
; ScratchSize: 0
; MemoryBound: 0
; FloatMode: 240
; IeeeMode: 1
; LDSByteSize: 0 bytes/workgroup (compile time only)
; SGPRBlocks: 0
; VGPRBlocks: 8
; NumSGPRsForWavesPerEU: 18
; NumVGPRsForWavesPerEU: 67
; Occupancy: 12
; WaveLimiterHint : 1
; COMPUTE_PGM_RSRC2:SCRATCH_EN: 0
; COMPUTE_PGM_RSRC2:USER_SGPR: 6
; COMPUTE_PGM_RSRC2:TRAP_HANDLER: 0
; COMPUTE_PGM_RSRC2:TGID_X_EN: 1
; COMPUTE_PGM_RSRC2:TGID_Y_EN: 0
; COMPUTE_PGM_RSRC2:TGID_Z_EN: 0
; COMPUTE_PGM_RSRC2:TIDIG_COMP_CNT: 0
	.section	.text._ZN9rocsparseL19gebsrmvn_2xn_kernelILj128ELj15ELj32EdEEvi20rocsparse_direction_NS_24const_host_device_scalarIT2_EEPKiS6_PKS3_S8_S4_PS3_21rocsparse_index_base_b,"axG",@progbits,_ZN9rocsparseL19gebsrmvn_2xn_kernelILj128ELj15ELj32EdEEvi20rocsparse_direction_NS_24const_host_device_scalarIT2_EEPKiS6_PKS3_S8_S4_PS3_21rocsparse_index_base_b,comdat
	.globl	_ZN9rocsparseL19gebsrmvn_2xn_kernelILj128ELj15ELj32EdEEvi20rocsparse_direction_NS_24const_host_device_scalarIT2_EEPKiS6_PKS3_S8_S4_PS3_21rocsparse_index_base_b ; -- Begin function _ZN9rocsparseL19gebsrmvn_2xn_kernelILj128ELj15ELj32EdEEvi20rocsparse_direction_NS_24const_host_device_scalarIT2_EEPKiS6_PKS3_S8_S4_PS3_21rocsparse_index_base_b
	.p2align	8
	.type	_ZN9rocsparseL19gebsrmvn_2xn_kernelILj128ELj15ELj32EdEEvi20rocsparse_direction_NS_24const_host_device_scalarIT2_EEPKiS6_PKS3_S8_S4_PS3_21rocsparse_index_base_b,@function
_ZN9rocsparseL19gebsrmvn_2xn_kernelILj128ELj15ELj32EdEEvi20rocsparse_direction_NS_24const_host_device_scalarIT2_EEPKiS6_PKS3_S8_S4_PS3_21rocsparse_index_base_b: ; @_ZN9rocsparseL19gebsrmvn_2xn_kernelILj128ELj15ELj32EdEEvi20rocsparse_direction_NS_24const_host_device_scalarIT2_EEPKiS6_PKS3_S8_S4_PS3_21rocsparse_index_base_b
; %bb.0:
	s_clause 0x2
	s_load_dwordx2 s[2:3], s[4:5], 0x40
	s_load_dwordx2 s[8:9], s[4:5], 0x8
	;; [unrolled: 1-line block ×3, first 2 shown]
	s_waitcnt lgkmcnt(0)
	s_bitcmp1_b32 s3, 0
	v_mov_b32_e32 v1, s8
	v_mov_b32_e32 v2, s9
	s_cselect_b32 s3, -1, 0
	s_and_b32 vcc_lo, exec_lo, s3
	s_xor_b32 s3, s3, -1
	s_cbranch_vccnz .LBB144_2
; %bb.1:
	v_mov_b32_e32 v1, s8
	v_mov_b32_e32 v2, s9
	flat_load_dwordx2 v[1:2], v[1:2]
.LBB144_2:
	v_mov_b32_e32 v4, s1
	v_mov_b32_e32 v3, s0
	s_andn2_b32 vcc_lo, exec_lo, s3
	s_cbranch_vccnz .LBB144_4
; %bb.3:
	v_mov_b32_e32 v4, s1
	v_mov_b32_e32 v3, s0
	flat_load_dwordx2 v[3:4], v[3:4]
.LBB144_4:
	s_waitcnt vmcnt(0) lgkmcnt(0)
	v_cmp_neq_f64_e32 vcc_lo, 0, v[1:2]
	v_cmp_neq_f64_e64 s0, 1.0, v[3:4]
	s_or_b32 s0, vcc_lo, s0
	s_and_saveexec_b32 s1, s0
	s_cbranch_execz .LBB144_23
; %bb.5:
	s_load_dwordx2 s[0:1], s[4:5], 0x0
	v_lshrrev_b32_e32 v5, 5, v0
	v_lshl_or_b32 v5, s6, 2, v5
	s_waitcnt lgkmcnt(0)
	v_cmp_gt_i32_e32 vcc_lo, s0, v5
	s_and_b32 exec_lo, exec_lo, vcc_lo
	s_cbranch_execz .LBB144_23
; %bb.6:
	s_load_dwordx8 s[8:15], s[4:5], 0x10
	v_ashrrev_i32_e32 v6, 31, v5
	v_and_b32_e32 v0, 31, v0
	s_cmp_lg_u32 s1, 0
	v_lshlrev_b64 v[6:7], 2, v[5:6]
	s_waitcnt lgkmcnt(0)
	v_add_co_u32 v6, vcc_lo, s8, v6
	v_add_co_ci_u32_e64 v7, null, s9, v7, vcc_lo
	global_load_dwordx2 v[6:7], v[6:7], off
	s_waitcnt vmcnt(0)
	v_subrev_nc_u32_e32 v6, s2, v6
	v_subrev_nc_u32_e32 v18, s2, v7
	v_add_nc_u32_e32 v6, v6, v0
	v_cmp_lt_i32_e64 s0, v6, v18
	s_cbranch_scc0 .LBB144_12
; %bb.7:
	v_mov_b32_e32 v8, 0
	v_mov_b32_e32 v10, 0
	v_mov_b32_e32 v9, 0
	v_mov_b32_e32 v11, 0
	s_and_saveexec_b32 s1, s0
	s_cbranch_execz .LBB144_11
; %bb.8:
	v_mad_u64_u32 v[7:8], null, v6, 30, 28
	v_mov_b32_e32 v8, 0
	v_mov_b32_e32 v10, 0
	;; [unrolled: 1-line block ×6, first 2 shown]
	s_mov_b32 s3, 0
.LBB144_9:                              ; =>This Inner Loop Header: Depth=1
	v_ashrrev_i32_e32 v15, 31, v14
	v_subrev_nc_u32_e32 v12, 28, v7
	v_lshlrev_b64 v[15:16], 2, v[14:15]
	v_lshlrev_b64 v[19:20], 3, v[12:13]
	v_subrev_nc_u32_e32 v12, 26, v7
	v_add_nc_u32_e32 v14, 32, v14
	v_add_co_u32 v15, vcc_lo, s10, v15
	v_add_co_ci_u32_e64 v16, null, s11, v16, vcc_lo
	v_lshlrev_b64 v[21:22], 3, v[12:13]
	v_add_co_u32 v19, vcc_lo, s12, v19
	global_load_dword v15, v[15:16], off
	v_mov_b32_e32 v16, v13
	v_add_co_ci_u32_e64 v20, null, s13, v20, vcc_lo
	v_add_co_u32 v23, vcc_lo, s12, v21
	v_add_co_ci_u32_e64 v24, null, s13, v22, vcc_lo
	s_clause 0x1
	global_load_dwordx4 v[19:22], v[19:20], off
	global_load_dwordx4 v[23:26], v[23:24], off
	s_waitcnt vmcnt(2)
	v_subrev_nc_u32_e32 v12, s2, v15
	v_mul_lo_u32 v15, v12, 15
	v_lshlrev_b64 v[16:17], 3, v[15:16]
	v_add_nc_u32_e32 v12, 1, v15
	v_lshlrev_b64 v[27:28], 3, v[12:13]
	v_add_co_u32 v16, vcc_lo, s14, v16
	v_add_co_ci_u32_e64 v17, null, s15, v17, vcc_lo
	v_subrev_nc_u32_e32 v12, 24, v7
	v_add_co_u32 v27, vcc_lo, s14, v27
	global_load_dwordx2 v[16:17], v[16:17], off
	v_add_co_ci_u32_e64 v28, null, s15, v28, vcc_lo
	v_lshlrev_b64 v[29:30], 3, v[12:13]
	v_add_nc_u32_e32 v12, 2, v15
	global_load_dwordx2 v[47:48], v[27:28], off
	v_lshlrev_b64 v[31:32], 3, v[12:13]
	v_add_co_u32 v27, vcc_lo, s12, v29
	v_add_co_ci_u32_e64 v28, null, s13, v30, vcc_lo
	v_subrev_nc_u32_e32 v12, 22, v7
	v_add_co_u32 v31, vcc_lo, s14, v31
	v_add_co_ci_u32_e64 v32, null, s15, v32, vcc_lo
	global_load_dwordx4 v[27:30], v[27:28], off
	v_lshlrev_b64 v[33:34], 3, v[12:13]
	v_add_nc_u32_e32 v12, 3, v15
	global_load_dwordx2 v[49:50], v[31:32], off
	v_lshlrev_b64 v[35:36], 3, v[12:13]
	v_add_co_u32 v31, vcc_lo, s12, v33
	v_add_co_ci_u32_e64 v32, null, s13, v34, vcc_lo
	v_subrev_nc_u32_e32 v12, 20, v7
	v_add_co_u32 v35, vcc_lo, s14, v35
	v_add_co_ci_u32_e64 v36, null, s15, v36, vcc_lo
	global_load_dwordx4 v[31:34], v[31:32], off
	v_lshlrev_b64 v[37:38], 3, v[12:13]
	v_add_nc_u32_e32 v12, 4, v15
	global_load_dwordx2 v[51:52], v[35:36], off
	v_lshlrev_b64 v[39:40], 3, v[12:13]
	v_add_co_u32 v35, vcc_lo, s12, v37
	v_add_co_ci_u32_e64 v36, null, s13, v38, vcc_lo
	v_subrev_nc_u32_e32 v12, 18, v7
	v_add_co_u32 v39, vcc_lo, s14, v39
	v_add_co_ci_u32_e64 v40, null, s15, v40, vcc_lo
	global_load_dwordx4 v[35:38], v[35:36], off
	v_lshlrev_b64 v[41:42], 3, v[12:13]
	v_add_nc_u32_e32 v12, 5, v15
	global_load_dwordx2 v[53:54], v[39:40], off
	v_lshlrev_b64 v[43:44], 3, v[12:13]
	v_add_co_u32 v39, vcc_lo, s12, v41
	v_add_co_ci_u32_e64 v40, null, s13, v42, vcc_lo
	v_add_nc_u32_e32 v12, -16, v7
	v_add_co_u32 v43, vcc_lo, s14, v43
	v_add_co_ci_u32_e64 v44, null, s15, v44, vcc_lo
	global_load_dwordx4 v[39:42], v[39:40], off
	v_lshlrev_b64 v[45:46], 3, v[12:13]
	v_add_nc_u32_e32 v12, 6, v15
	global_load_dwordx2 v[57:58], v[43:44], off
	v_lshlrev_b64 v[55:56], 3, v[12:13]
	v_add_co_u32 v43, vcc_lo, s12, v45
	v_add_co_ci_u32_e64 v44, null, s13, v46, vcc_lo
	v_add_nc_u32_e32 v12, -14, v7
	v_add_co_u32 v55, vcc_lo, s14, v55
	v_add_co_ci_u32_e64 v56, null, s15, v56, vcc_lo
	global_load_dwordx4 v[43:46], v[43:44], off
	global_load_dwordx2 v[55:56], v[55:56], off
	v_lshlrev_b64 v[59:60], 3, v[12:13]
	v_add_nc_u32_e32 v12, 7, v15
	v_lshlrev_b64 v[61:62], 3, v[12:13]
	v_add_co_u32 v59, vcc_lo, s12, v59
	v_add_co_ci_u32_e64 v60, null, s13, v60, vcc_lo
	v_add_nc_u32_e32 v12, -12, v7
	v_add_co_u32 v61, vcc_lo, s14, v61
	v_add_co_ci_u32_e64 v62, null, s15, v62, vcc_lo
	s_waitcnt vmcnt(11)
	v_fma_f64 v[8:9], v[19:20], v[16:17], v[8:9]
	v_fma_f64 v[10:11], v[21:22], v[16:17], v[10:11]
	global_load_dwordx4 v[19:22], v[59:60], off
	global_load_dwordx2 v[59:60], v[61:62], off
	v_lshlrev_b64 v[16:17], 3, v[12:13]
	v_add_nc_u32_e32 v12, 8, v15
	v_lshlrev_b64 v[61:62], 3, v[12:13]
	v_add_co_u32 v16, vcc_lo, s12, v16
	v_add_co_ci_u32_e64 v17, null, s13, v17, vcc_lo
	v_add_nc_u32_e32 v12, -10, v7
	v_add_co_u32 v61, vcc_lo, s14, v61
	v_add_co_ci_u32_e64 v62, null, s15, v62, vcc_lo
	s_waitcnt vmcnt(12)
	v_fma_f64 v[8:9], v[23:24], v[47:48], v[8:9]
	v_fma_f64 v[10:11], v[25:26], v[47:48], v[10:11]
	;; [unrolled: 13-line block ×4, first 2 shown]
	global_load_dwordx4 v[31:34], v[49:50], off
	global_load_dwordx2 v[49:50], v[61:62], off
	v_lshlrev_b64 v[51:52], 3, v[12:13]
	v_add_nc_u32_e32 v12, 11, v15
	v_add_co_u32 v51, vcc_lo, s12, v51
	v_lshlrev_b64 v[61:62], 3, v[12:13]
	v_add_co_ci_u32_e64 v52, null, s13, v52, vcc_lo
	v_add_nc_u32_e32 v12, -4, v7
	s_waitcnt vmcnt(12)
	v_fma_f64 v[8:9], v[35:36], v[53:54], v[8:9]
	v_fma_f64 v[10:11], v[37:38], v[53:54], v[10:11]
	global_load_dwordx4 v[35:38], v[51:52], off
	v_add_co_u32 v51, vcc_lo, s14, v61
	v_add_co_ci_u32_e64 v52, null, s15, v62, vcc_lo
	v_lshlrev_b64 v[53:54], 3, v[12:13]
	v_add_nc_u32_e32 v12, 12, v15
	global_load_dwordx2 v[51:52], v[51:52], off
	v_lshlrev_b64 v[61:62], 3, v[12:13]
	v_add_nc_u32_e32 v12, -2, v7
	v_add_co_u32 v53, vcc_lo, s12, v53
	v_add_co_ci_u32_e64 v54, null, s13, v54, vcc_lo
	s_waitcnt vmcnt(12)
	v_fma_f64 v[63:64], v[39:40], v[57:58], v[8:9]
	v_lshlrev_b64 v[39:40], 3, v[12:13]
	v_fma_f64 v[9:10], v[41:42], v[57:58], v[10:11]
	v_add_co_u32 v57, vcc_lo, s14, v61
	v_add_co_ci_u32_e64 v58, null, s15, v62, vcc_lo
	v_add_co_u32 v61, vcc_lo, s12, v39
	v_add_co_ci_u32_e64 v62, null, s13, v40, vcc_lo
	global_load_dwordx4 v[39:42], v[53:54], off
	global_load_dwordx2 v[53:54], v[57:58], off
	v_add_nc_u32_e32 v12, 13, v15
	v_mov_b32_e32 v8, v13
	v_lshlrev_b64 v[11:12], 3, v[12:13]
	s_waitcnt vmcnt(12)
	v_fma_f64 v[57:58], v[43:44], v[55:56], v[63:64]
	v_add_co_u32 v11, vcc_lo, s14, v11
	v_add_co_ci_u32_e64 v12, null, s15, v12, vcc_lo
	v_fma_f64 v[55:56], v[45:46], v[55:56], v[9:10]
	global_load_dwordx4 v[43:46], v[61:62], off
	global_load_dwordx2 v[61:62], v[11:12], off
	v_add_nc_u32_e32 v12, 14, v15
	v_lshlrev_b64 v[8:9], 3, v[7:8]
	v_add_nc_u32_e32 v7, 0x3c0, v7
	v_lshlrev_b64 v[10:11], 3, v[12:13]
	v_add_co_u32 v8, vcc_lo, s12, v8
	v_add_co_ci_u32_e64 v9, null, s13, v9, vcc_lo
	v_add_co_u32 v63, vcc_lo, s14, v10
	v_add_co_ci_u32_e64 v64, null, s15, v11, vcc_lo
	global_load_dwordx4 v[8:11], v[8:9], off
	global_load_dwordx2 v[63:64], v[63:64], off
	v_cmp_ge_i32_e32 vcc_lo, v14, v18
	s_or_b32 s3, vcc_lo, s3
	s_waitcnt vmcnt(14)
	v_fma_f64 v[19:20], v[19:20], v[59:60], v[57:58]
	v_fma_f64 v[21:22], v[21:22], v[59:60], v[55:56]
	s_waitcnt vmcnt(12)
	v_fma_f64 v[19:20], v[23:24], v[16:17], v[19:20]
	v_fma_f64 v[15:16], v[25:26], v[16:17], v[21:22]
	;; [unrolled: 3-line block ×8, first 2 shown]
	s_andn2_b32 exec_lo, exec_lo, s3
	s_cbranch_execnz .LBB144_9
; %bb.10:
	s_or_b32 exec_lo, exec_lo, s3
.LBB144_11:
	s_or_b32 exec_lo, exec_lo, s1
	s_cbranch_execz .LBB144_13
	s_branch .LBB144_18
.LBB144_12:
                                        ; implicit-def: $vgpr8_vgpr9
                                        ; implicit-def: $vgpr10_vgpr11
.LBB144_13:
	v_mov_b32_e32 v8, 0
	v_mov_b32_e32 v10, 0
	;; [unrolled: 1-line block ×4, first 2 shown]
	s_and_saveexec_b32 s1, s0
	s_cbranch_execz .LBB144_17
; %bb.14:
	v_mad_u64_u32 v[12:13], null, v6, 30, 29
	v_mov_b32_e32 v8, 0
	v_mov_b32_e32 v10, 0
	;; [unrolled: 1-line block ×5, first 2 shown]
	s_mov_b32 s0, 0
.LBB144_15:                             ; =>This Inner Loop Header: Depth=1
	v_ashrrev_i32_e32 v7, 31, v6
	v_subrev_nc_u32_e32 v14, 29, v12
	v_add_nc_u32_e32 v19, -14, v12
	v_mov_b32_e32 v20, v15
	v_mov_b32_e32 v13, v15
	v_lshlrev_b64 v[21:22], 2, v[6:7]
	v_lshlrev_b64 v[23:24], 3, v[14:15]
	v_mov_b32_e32 v17, v15
	v_lshlrev_b64 v[19:20], 3, v[19:20]
	v_lshlrev_b64 v[13:14], 3, v[12:13]
	v_add_nc_u32_e32 v6, 32, v6
	v_add_co_u32 v21, vcc_lo, s10, v21
	v_add_co_ci_u32_e64 v22, null, s11, v22, vcc_lo
	v_add_co_u32 v23, vcc_lo, s12, v23
	v_add_co_ci_u32_e64 v24, null, s13, v24, vcc_lo
	global_load_dword v7, v[21:22], off
	v_add_co_u32 v19, vcc_lo, s12, v19
	v_add_co_ci_u32_e64 v20, null, s13, v20, vcc_lo
	v_add_co_u32 v25, vcc_lo, s12, v13
	v_add_co_ci_u32_e64 v26, null, s13, v14, vcc_lo
	s_waitcnt vmcnt(0)
	v_subrev_nc_u32_e32 v7, s2, v7
	v_mul_lo_u32 v16, v7, 15
	v_add_nc_u32_e32 v14, 1, v16
	v_lshlrev_b64 v[21:22], 3, v[16:17]
	v_lshlrev_b64 v[27:28], 3, v[14:15]
	v_add_nc_u32_e32 v14, -13, v12
	v_add_co_u32 v21, vcc_lo, s14, v21
	v_add_co_ci_u32_e64 v22, null, s15, v22, vcc_lo
	v_lshlrev_b64 v[29:30], 3, v[14:15]
	v_subrev_nc_u32_e32 v14, 27, v12
	v_add_co_u32 v27, vcc_lo, s14, v27
	v_add_co_ci_u32_e64 v28, null, s15, v28, vcc_lo
	v_lshlrev_b64 v[31:32], 3, v[14:15]
	v_add_nc_u32_e32 v14, 2, v16
	v_add_co_u32 v29, vcc_lo, s12, v29
	v_add_co_ci_u32_e64 v30, null, s13, v30, vcc_lo
	v_lshlrev_b64 v[33:34], 3, v[14:15]
	v_add_nc_u32_e32 v14, -12, v12
	v_add_co_u32 v31, vcc_lo, s12, v31
	v_add_co_ci_u32_e64 v32, null, s13, v32, vcc_lo
	v_lshlrev_b64 v[35:36], 3, v[14:15]
	v_subrev_nc_u32_e32 v14, 26, v12
	v_add_co_u32 v33, vcc_lo, s14, v33
	v_add_co_ci_u32_e64 v34, null, s15, v34, vcc_lo
	v_lshlrev_b64 v[37:38], 3, v[14:15]
	v_add_nc_u32_e32 v14, 3, v16
	v_add_co_u32 v35, vcc_lo, s12, v35
	v_add_co_ci_u32_e64 v36, null, s13, v36, vcc_lo
	;; [unrolled: 12-line block ×6, first 2 shown]
	v_lshlrev_b64 v[13:14], 3, v[14:15]
	v_add_co_u32 v61, vcc_lo, s12, v61
	v_add_co_ci_u32_e64 v62, null, s13, v62, vcc_lo
	v_add_co_u32 v63, vcc_lo, s14, v13
	v_add_co_ci_u32_e64 v64, null, s15, v14, vcc_lo
	global_load_dwordx2 v[13:14], v[19:20], off
	global_load_dwordx2 v[65:66], v[21:22], off
	global_load_dwordx4 v[19:22], v[23:24], off
	global_load_dwordx2 v[23:24], v[27:28], off
	s_clause 0x1
	global_load_dwordx2 v[27:28], v[29:30], off
	global_load_dwordx2 v[29:30], v[31:32], off
	global_load_dwordx2 v[33:34], v[33:34], off
	s_clause 0x1
	global_load_dwordx2 v[35:36], v[35:36], off
	global_load_dwordx2 v[37:38], v[37:38], off
	;; [unrolled: 4-line block ×6, first 2 shown]
	s_waitcnt vmcnt(18)
	v_fma_f64 v[7:8], v[19:20], v[65:66], v[8:9]
	v_fma_f64 v[10:11], v[13:14], v[65:66], v[10:11]
	v_add_nc_u32_e32 v14, -7, v12
	v_lshlrev_b64 v[19:20], 3, v[14:15]
	v_subrev_nc_u32_e32 v14, 21, v12
	v_add_co_u32 v19, vcc_lo, s12, v19
	v_add_co_ci_u32_e64 v20, null, s13, v20, vcc_lo
	s_waitcnt vmcnt(17)
	v_fma_f64 v[7:8], v[21:22], v[23:24], v[7:8]
	v_lshlrev_b64 v[21:22], 3, v[14:15]
	v_add_nc_u32_e32 v14, 8, v16
	s_waitcnt vmcnt(16)
	v_fma_f64 v[9:10], v[27:28], v[23:24], v[10:11]
	v_lshlrev_b64 v[31:32], 3, v[14:15]
	v_add_nc_u32_e32 v14, -6, v12
	v_add_co_u32 v21, vcc_lo, s12, v21
	v_add_co_ci_u32_e64 v22, null, s13, v22, vcc_lo
	v_lshlrev_b64 v[23:24], 3, v[14:15]
	v_subrev_nc_u32_e32 v14, 20, v12
	v_add_co_u32 v27, vcc_lo, s14, v31
	v_add_co_ci_u32_e64 v28, null, s15, v32, vcc_lo
	v_lshlrev_b64 v[13:14], 3, v[14:15]
	v_add_co_u32 v23, vcc_lo, s12, v23
	v_add_co_ci_u32_e64 v24, null, s13, v24, vcc_lo
	s_waitcnt vmcnt(14)
	v_fma_f64 v[7:8], v[29:30], v[33:34], v[7:8]
	v_add_co_u32 v31, vcc_lo, s12, v13
	v_add_co_ci_u32_e64 v32, null, s13, v14, vcc_lo
	v_add_nc_u32_e32 v14, 9, v16
	s_waitcnt vmcnt(13)
	v_fma_f64 v[9:10], v[35:36], v[33:34], v[9:10]
	v_lshlrev_b64 v[29:30], 3, v[14:15]
	v_add_nc_u32_e32 v14, -5, v12
	v_lshlrev_b64 v[33:34], 3, v[14:15]
	v_subrev_nc_u32_e32 v14, 19, v12
	v_add_co_u32 v29, vcc_lo, s14, v29
	v_add_co_ci_u32_e64 v30, null, s15, v30, vcc_lo
	v_lshlrev_b64 v[13:14], 3, v[14:15]
	v_add_co_u32 v33, vcc_lo, s12, v33
	v_add_co_ci_u32_e64 v34, null, s13, v34, vcc_lo
	s_waitcnt vmcnt(11)
	v_fma_f64 v[7:8], v[37:38], v[39:40], v[7:8]
	v_add_co_u32 v35, vcc_lo, s12, v13
	v_add_co_ci_u32_e64 v36, null, s13, v14, vcc_lo
	v_add_nc_u32_e32 v14, 10, v16
	s_waitcnt vmcnt(10)
	v_fma_f64 v[9:10], v[41:42], v[39:40], v[9:10]
	v_lshlrev_b64 v[37:38], 3, v[14:15]
	v_add_nc_u32_e32 v14, -4, v12
	;; [unrolled: 16-line block ×4, first 2 shown]
	v_lshlrev_b64 v[51:52], 3, v[14:15]
	v_add_nc_u32_e32 v14, -16, v12
	v_add_co_u32 v49, vcc_lo, s14, v49
	v_add_co_ci_u32_e64 v50, null, s15, v50, vcc_lo
	v_lshlrev_b64 v[13:14], 3, v[14:15]
	v_add_co_u32 v51, vcc_lo, s12, v51
	v_add_co_ci_u32_e64 v52, null, s13, v52, vcc_lo
	s_waitcnt vmcnt(2)
	v_fma_f64 v[7:8], v[55:56], v[57:58], v[7:8]
	v_add_co_u32 v53, vcc_lo, s12, v13
	v_add_co_ci_u32_e64 v54, null, s13, v14, vcc_lo
	v_add_nc_u32_e32 v14, 13, v16
	s_waitcnt vmcnt(1)
	v_fma_f64 v[9:10], v[59:60], v[57:58], v[9:10]
	v_lshlrev_b64 v[55:56], 3, v[14:15]
	v_add_nc_u32_e32 v14, -1, v12
	v_lshlrev_b64 v[57:58], 3, v[14:15]
	v_add_nc_u32_e32 v14, -15, v12
	v_add_co_u32 v55, vcc_lo, s14, v55
	v_add_co_ci_u32_e64 v56, null, s15, v56, vcc_lo
	v_lshlrev_b64 v[59:60], 3, v[14:15]
	v_add_nc_u32_e32 v14, 14, v16
	v_add_co_u32 v16, vcc_lo, s12, v57
	v_add_co_ci_u32_e64 v17, null, s13, v58, vcc_lo
	v_lshlrev_b64 v[13:14], 3, v[14:15]
	v_add_co_u32 v57, vcc_lo, s12, v59
	v_add_co_ci_u32_e64 v58, null, s13, v60, vcc_lo
	v_add_nc_u32_e32 v12, 0x3c0, v12
	v_add_co_u32 v13, vcc_lo, s14, v13
	v_add_co_ci_u32_e64 v14, null, s15, v14, vcc_lo
	global_load_dwordx2 v[59:60], v[63:64], off
	s_clause 0x1
	global_load_dwordx2 v[19:20], v[19:20], off
	global_load_dwordx2 v[21:22], v[21:22], off
	global_load_dwordx2 v[27:28], v[27:28], off
	s_clause 0x1
	global_load_dwordx2 v[23:24], v[23:24], off
	global_load_dwordx2 v[31:32], v[31:32], off
	;; [unrolled: 4-line block ×7, first 2 shown]
	global_load_dwordx2 v[57:58], v[57:58], off
	global_load_dwordx2 v[13:14], v[13:14], off
	v_cmp_ge_i32_e32 vcc_lo, v6, v18
	s_or_b32 s0, vcc_lo, s0
	s_waitcnt vmcnt(22)
	v_fma_f64 v[7:8], v[61:62], v[59:60], v[7:8]
	s_waitcnt vmcnt(21)
	v_fma_f64 v[9:10], v[19:20], v[59:60], v[9:10]
	;; [unrolled: 2-line block ×15, first 2 shown]
	v_fma_f64 v[10:11], v[25:26], v[13:14], v[10:11]
	s_andn2_b32 exec_lo, exec_lo, s0
	s_cbranch_execnz .LBB144_15
; %bb.16:
	s_or_b32 exec_lo, exec_lo, s0
.LBB144_17:
	s_or_b32 exec_lo, exec_lo, s1
.LBB144_18:
	v_mbcnt_lo_u32_b32 v14, -1, 0
	v_xor_b32_e32 v6, 16, v14
	v_cmp_gt_i32_e32 vcc_lo, 32, v6
	v_cndmask_b32_e32 v6, v14, v6, vcc_lo
	v_lshlrev_b32_e32 v13, 2, v6
	ds_bpermute_b32 v6, v13, v8
	ds_bpermute_b32 v7, v13, v9
	;; [unrolled: 1-line block ×4, first 2 shown]
	s_waitcnt lgkmcnt(2)
	v_add_f64 v[6:7], v[8:9], v[6:7]
	s_waitcnt lgkmcnt(0)
	v_add_f64 v[8:9], v[10:11], v[12:13]
	v_xor_b32_e32 v10, 8, v14
	v_cmp_gt_i32_e32 vcc_lo, 32, v10
	v_cndmask_b32_e32 v10, v14, v10, vcc_lo
	v_lshlrev_b32_e32 v13, 2, v10
	ds_bpermute_b32 v10, v13, v6
	ds_bpermute_b32 v11, v13, v7
	;; [unrolled: 1-line block ×4, first 2 shown]
	s_waitcnt lgkmcnt(2)
	v_add_f64 v[6:7], v[6:7], v[10:11]
	v_xor_b32_e32 v10, 4, v14
	s_waitcnt lgkmcnt(0)
	v_add_f64 v[8:9], v[8:9], v[12:13]
	v_cmp_gt_i32_e32 vcc_lo, 32, v10
	v_cndmask_b32_e32 v10, v14, v10, vcc_lo
	v_lshlrev_b32_e32 v13, 2, v10
	ds_bpermute_b32 v10, v13, v6
	ds_bpermute_b32 v11, v13, v7
	;; [unrolled: 1-line block ×4, first 2 shown]
	s_waitcnt lgkmcnt(2)
	v_add_f64 v[6:7], v[6:7], v[10:11]
	v_xor_b32_e32 v10, 2, v14
	s_waitcnt lgkmcnt(0)
	v_add_f64 v[8:9], v[8:9], v[12:13]
	v_cmp_gt_i32_e32 vcc_lo, 32, v10
	v_cndmask_b32_e32 v10, v14, v10, vcc_lo
	v_lshlrev_b32_e32 v13, 2, v10
	ds_bpermute_b32 v10, v13, v6
	ds_bpermute_b32 v11, v13, v7
	;; [unrolled: 1-line block ×4, first 2 shown]
	s_waitcnt lgkmcnt(2)
	v_add_f64 v[6:7], v[6:7], v[10:11]
	s_waitcnt lgkmcnt(0)
	v_add_f64 v[10:11], v[8:9], v[12:13]
	v_xor_b32_e32 v8, 1, v14
	v_cmp_gt_i32_e32 vcc_lo, 32, v8
	v_cndmask_b32_e32 v8, v14, v8, vcc_lo
	v_cmp_eq_u32_e32 vcc_lo, 31, v0
	v_lshlrev_b32_e32 v13, 2, v8
	ds_bpermute_b32 v8, v13, v6
	ds_bpermute_b32 v9, v13, v7
	;; [unrolled: 1-line block ×4, first 2 shown]
	s_and_b32 exec_lo, exec_lo, vcc_lo
	s_cbranch_execz .LBB144_23
; %bb.19:
	s_waitcnt lgkmcnt(2)
	v_add_f64 v[8:9], v[6:7], v[8:9]
	s_waitcnt lgkmcnt(0)
	v_add_f64 v[6:7], v[10:11], v[12:13]
	s_load_dwordx2 s[0:1], s[4:5], 0x38
	s_mov_b32 s2, exec_lo
	v_cmpx_eq_f64_e32 0, v[3:4]
	s_xor_b32 s2, exec_lo, s2
	s_cbranch_execz .LBB144_21
; %bb.20:
	v_lshlrev_b32_e32 v0, 1, v5
	v_mul_f64 v[3:4], v[1:2], v[8:9]
	v_mul_f64 v[5:6], v[1:2], v[6:7]
                                        ; implicit-def: $vgpr8_vgpr9
	v_ashrrev_i32_e32 v1, 31, v0
	v_lshlrev_b64 v[0:1], 3, v[0:1]
	s_waitcnt lgkmcnt(0)
	v_add_co_u32 v0, vcc_lo, s0, v0
	v_add_co_ci_u32_e64 v1, null, s1, v1, vcc_lo
	global_store_dwordx4 v[0:1], v[3:6], off
                                        ; implicit-def: $vgpr5
                                        ; implicit-def: $vgpr1_vgpr2
                                        ; implicit-def: $vgpr3_vgpr4
                                        ; implicit-def: $vgpr6_vgpr7
.LBB144_21:
	s_andn2_saveexec_b32 s2, s2
	s_cbranch_execz .LBB144_23
; %bb.22:
	v_lshlrev_b32_e32 v10, 1, v5
	v_mul_f64 v[8:9], v[1:2], v[8:9]
	v_mul_f64 v[5:6], v[1:2], v[6:7]
	v_ashrrev_i32_e32 v11, 31, v10
	v_lshlrev_b64 v[10:11], 3, v[10:11]
	s_waitcnt lgkmcnt(0)
	v_add_co_u32 v14, vcc_lo, s0, v10
	v_add_co_ci_u32_e64 v15, null, s1, v11, vcc_lo
	global_load_dwordx4 v[10:13], v[14:15], off
	s_waitcnt vmcnt(0)
	v_fma_f64 v[0:1], v[3:4], v[10:11], v[8:9]
	v_fma_f64 v[2:3], v[3:4], v[12:13], v[5:6]
	global_store_dwordx4 v[14:15], v[0:3], off
.LBB144_23:
	s_endpgm
	.section	.rodata,"a",@progbits
	.p2align	6, 0x0
	.amdhsa_kernel _ZN9rocsparseL19gebsrmvn_2xn_kernelILj128ELj15ELj32EdEEvi20rocsparse_direction_NS_24const_host_device_scalarIT2_EEPKiS6_PKS3_S8_S4_PS3_21rocsparse_index_base_b
		.amdhsa_group_segment_fixed_size 0
		.amdhsa_private_segment_fixed_size 0
		.amdhsa_kernarg_size 72
		.amdhsa_user_sgpr_count 6
		.amdhsa_user_sgpr_private_segment_buffer 1
		.amdhsa_user_sgpr_dispatch_ptr 0
		.amdhsa_user_sgpr_queue_ptr 0
		.amdhsa_user_sgpr_kernarg_segment_ptr 1
		.amdhsa_user_sgpr_dispatch_id 0
		.amdhsa_user_sgpr_flat_scratch_init 0
		.amdhsa_user_sgpr_private_segment_size 0
		.amdhsa_wavefront_size32 1
		.amdhsa_uses_dynamic_stack 0
		.amdhsa_system_sgpr_private_segment_wavefront_offset 0
		.amdhsa_system_sgpr_workgroup_id_x 1
		.amdhsa_system_sgpr_workgroup_id_y 0
		.amdhsa_system_sgpr_workgroup_id_z 0
		.amdhsa_system_sgpr_workgroup_info 0
		.amdhsa_system_vgpr_workitem_id 0
		.amdhsa_next_free_vgpr 67
		.amdhsa_next_free_sgpr 16
		.amdhsa_reserve_vcc 1
		.amdhsa_reserve_flat_scratch 0
		.amdhsa_float_round_mode_32 0
		.amdhsa_float_round_mode_16_64 0
		.amdhsa_float_denorm_mode_32 3
		.amdhsa_float_denorm_mode_16_64 3
		.amdhsa_dx10_clamp 1
		.amdhsa_ieee_mode 1
		.amdhsa_fp16_overflow 0
		.amdhsa_workgroup_processor_mode 1
		.amdhsa_memory_ordered 1
		.amdhsa_forward_progress 1
		.amdhsa_shared_vgpr_count 0
		.amdhsa_exception_fp_ieee_invalid_op 0
		.amdhsa_exception_fp_denorm_src 0
		.amdhsa_exception_fp_ieee_div_zero 0
		.amdhsa_exception_fp_ieee_overflow 0
		.amdhsa_exception_fp_ieee_underflow 0
		.amdhsa_exception_fp_ieee_inexact 0
		.amdhsa_exception_int_div_zero 0
	.end_amdhsa_kernel
	.section	.text._ZN9rocsparseL19gebsrmvn_2xn_kernelILj128ELj15ELj32EdEEvi20rocsparse_direction_NS_24const_host_device_scalarIT2_EEPKiS6_PKS3_S8_S4_PS3_21rocsparse_index_base_b,"axG",@progbits,_ZN9rocsparseL19gebsrmvn_2xn_kernelILj128ELj15ELj32EdEEvi20rocsparse_direction_NS_24const_host_device_scalarIT2_EEPKiS6_PKS3_S8_S4_PS3_21rocsparse_index_base_b,comdat
.Lfunc_end144:
	.size	_ZN9rocsparseL19gebsrmvn_2xn_kernelILj128ELj15ELj32EdEEvi20rocsparse_direction_NS_24const_host_device_scalarIT2_EEPKiS6_PKS3_S8_S4_PS3_21rocsparse_index_base_b, .Lfunc_end144-_ZN9rocsparseL19gebsrmvn_2xn_kernelILj128ELj15ELj32EdEEvi20rocsparse_direction_NS_24const_host_device_scalarIT2_EEPKiS6_PKS3_S8_S4_PS3_21rocsparse_index_base_b
                                        ; -- End function
	.set _ZN9rocsparseL19gebsrmvn_2xn_kernelILj128ELj15ELj32EdEEvi20rocsparse_direction_NS_24const_host_device_scalarIT2_EEPKiS6_PKS3_S8_S4_PS3_21rocsparse_index_base_b.num_vgpr, 67
	.set _ZN9rocsparseL19gebsrmvn_2xn_kernelILj128ELj15ELj32EdEEvi20rocsparse_direction_NS_24const_host_device_scalarIT2_EEPKiS6_PKS3_S8_S4_PS3_21rocsparse_index_base_b.num_agpr, 0
	.set _ZN9rocsparseL19gebsrmvn_2xn_kernelILj128ELj15ELj32EdEEvi20rocsparse_direction_NS_24const_host_device_scalarIT2_EEPKiS6_PKS3_S8_S4_PS3_21rocsparse_index_base_b.numbered_sgpr, 16
	.set _ZN9rocsparseL19gebsrmvn_2xn_kernelILj128ELj15ELj32EdEEvi20rocsparse_direction_NS_24const_host_device_scalarIT2_EEPKiS6_PKS3_S8_S4_PS3_21rocsparse_index_base_b.num_named_barrier, 0
	.set _ZN9rocsparseL19gebsrmvn_2xn_kernelILj128ELj15ELj32EdEEvi20rocsparse_direction_NS_24const_host_device_scalarIT2_EEPKiS6_PKS3_S8_S4_PS3_21rocsparse_index_base_b.private_seg_size, 0
	.set _ZN9rocsparseL19gebsrmvn_2xn_kernelILj128ELj15ELj32EdEEvi20rocsparse_direction_NS_24const_host_device_scalarIT2_EEPKiS6_PKS3_S8_S4_PS3_21rocsparse_index_base_b.uses_vcc, 1
	.set _ZN9rocsparseL19gebsrmvn_2xn_kernelILj128ELj15ELj32EdEEvi20rocsparse_direction_NS_24const_host_device_scalarIT2_EEPKiS6_PKS3_S8_S4_PS3_21rocsparse_index_base_b.uses_flat_scratch, 0
	.set _ZN9rocsparseL19gebsrmvn_2xn_kernelILj128ELj15ELj32EdEEvi20rocsparse_direction_NS_24const_host_device_scalarIT2_EEPKiS6_PKS3_S8_S4_PS3_21rocsparse_index_base_b.has_dyn_sized_stack, 0
	.set _ZN9rocsparseL19gebsrmvn_2xn_kernelILj128ELj15ELj32EdEEvi20rocsparse_direction_NS_24const_host_device_scalarIT2_EEPKiS6_PKS3_S8_S4_PS3_21rocsparse_index_base_b.has_recursion, 0
	.set _ZN9rocsparseL19gebsrmvn_2xn_kernelILj128ELj15ELj32EdEEvi20rocsparse_direction_NS_24const_host_device_scalarIT2_EEPKiS6_PKS3_S8_S4_PS3_21rocsparse_index_base_b.has_indirect_call, 0
	.section	.AMDGPU.csdata,"",@progbits
; Kernel info:
; codeLenInByte = 4496
; TotalNumSgprs: 18
; NumVgprs: 67
; ScratchSize: 0
; MemoryBound: 0
; FloatMode: 240
; IeeeMode: 1
; LDSByteSize: 0 bytes/workgroup (compile time only)
; SGPRBlocks: 0
; VGPRBlocks: 8
; NumSGPRsForWavesPerEU: 18
; NumVGPRsForWavesPerEU: 67
; Occupancy: 12
; WaveLimiterHint : 1
; COMPUTE_PGM_RSRC2:SCRATCH_EN: 0
; COMPUTE_PGM_RSRC2:USER_SGPR: 6
; COMPUTE_PGM_RSRC2:TRAP_HANDLER: 0
; COMPUTE_PGM_RSRC2:TGID_X_EN: 1
; COMPUTE_PGM_RSRC2:TGID_Y_EN: 0
; COMPUTE_PGM_RSRC2:TGID_Z_EN: 0
; COMPUTE_PGM_RSRC2:TIDIG_COMP_CNT: 0
	.section	.text._ZN9rocsparseL19gebsrmvn_2xn_kernelILj128ELj15ELj64EdEEvi20rocsparse_direction_NS_24const_host_device_scalarIT2_EEPKiS6_PKS3_S8_S4_PS3_21rocsparse_index_base_b,"axG",@progbits,_ZN9rocsparseL19gebsrmvn_2xn_kernelILj128ELj15ELj64EdEEvi20rocsparse_direction_NS_24const_host_device_scalarIT2_EEPKiS6_PKS3_S8_S4_PS3_21rocsparse_index_base_b,comdat
	.globl	_ZN9rocsparseL19gebsrmvn_2xn_kernelILj128ELj15ELj64EdEEvi20rocsparse_direction_NS_24const_host_device_scalarIT2_EEPKiS6_PKS3_S8_S4_PS3_21rocsparse_index_base_b ; -- Begin function _ZN9rocsparseL19gebsrmvn_2xn_kernelILj128ELj15ELj64EdEEvi20rocsparse_direction_NS_24const_host_device_scalarIT2_EEPKiS6_PKS3_S8_S4_PS3_21rocsparse_index_base_b
	.p2align	8
	.type	_ZN9rocsparseL19gebsrmvn_2xn_kernelILj128ELj15ELj64EdEEvi20rocsparse_direction_NS_24const_host_device_scalarIT2_EEPKiS6_PKS3_S8_S4_PS3_21rocsparse_index_base_b,@function
_ZN9rocsparseL19gebsrmvn_2xn_kernelILj128ELj15ELj64EdEEvi20rocsparse_direction_NS_24const_host_device_scalarIT2_EEPKiS6_PKS3_S8_S4_PS3_21rocsparse_index_base_b: ; @_ZN9rocsparseL19gebsrmvn_2xn_kernelILj128ELj15ELj64EdEEvi20rocsparse_direction_NS_24const_host_device_scalarIT2_EEPKiS6_PKS3_S8_S4_PS3_21rocsparse_index_base_b
; %bb.0:
	s_clause 0x2
	s_load_dwordx2 s[2:3], s[4:5], 0x40
	s_load_dwordx2 s[8:9], s[4:5], 0x8
	;; [unrolled: 1-line block ×3, first 2 shown]
	s_waitcnt lgkmcnt(0)
	s_bitcmp1_b32 s3, 0
	v_mov_b32_e32 v1, s8
	v_mov_b32_e32 v2, s9
	s_cselect_b32 s3, -1, 0
	s_and_b32 vcc_lo, exec_lo, s3
	s_xor_b32 s3, s3, -1
	s_cbranch_vccnz .LBB145_2
; %bb.1:
	v_mov_b32_e32 v1, s8
	v_mov_b32_e32 v2, s9
	flat_load_dwordx2 v[1:2], v[1:2]
.LBB145_2:
	v_mov_b32_e32 v4, s1
	v_mov_b32_e32 v3, s0
	s_andn2_b32 vcc_lo, exec_lo, s3
	s_cbranch_vccnz .LBB145_4
; %bb.3:
	v_mov_b32_e32 v4, s1
	v_mov_b32_e32 v3, s0
	flat_load_dwordx2 v[3:4], v[3:4]
.LBB145_4:
	s_waitcnt vmcnt(0) lgkmcnt(0)
	v_cmp_neq_f64_e32 vcc_lo, 0, v[1:2]
	v_cmp_neq_f64_e64 s0, 1.0, v[3:4]
	s_or_b32 s0, vcc_lo, s0
	s_and_saveexec_b32 s1, s0
	s_cbranch_execz .LBB145_23
; %bb.5:
	s_load_dwordx2 s[0:1], s[4:5], 0x0
	v_lshrrev_b32_e32 v5, 6, v0
	v_lshl_or_b32 v5, s6, 1, v5
	s_waitcnt lgkmcnt(0)
	v_cmp_gt_i32_e32 vcc_lo, s0, v5
	s_and_b32 exec_lo, exec_lo, vcc_lo
	s_cbranch_execz .LBB145_23
; %bb.6:
	s_load_dwordx8 s[8:15], s[4:5], 0x10
	v_ashrrev_i32_e32 v6, 31, v5
	v_and_b32_e32 v0, 63, v0
	s_cmp_lg_u32 s1, 0
	v_lshlrev_b64 v[6:7], 2, v[5:6]
	s_waitcnt lgkmcnt(0)
	v_add_co_u32 v6, vcc_lo, s8, v6
	v_add_co_ci_u32_e64 v7, null, s9, v7, vcc_lo
	global_load_dwordx2 v[6:7], v[6:7], off
	s_waitcnt vmcnt(0)
	v_subrev_nc_u32_e32 v6, s2, v6
	v_subrev_nc_u32_e32 v18, s2, v7
	v_add_nc_u32_e32 v6, v6, v0
	v_cmp_lt_i32_e64 s0, v6, v18
	s_cbranch_scc0 .LBB145_12
; %bb.7:
	v_mov_b32_e32 v8, 0
	v_mov_b32_e32 v10, 0
	;; [unrolled: 1-line block ×4, first 2 shown]
	s_and_saveexec_b32 s1, s0
	s_cbranch_execz .LBB145_11
; %bb.8:
	v_mad_u64_u32 v[7:8], null, v6, 30, 28
	v_mov_b32_e32 v8, 0
	v_mov_b32_e32 v10, 0
	;; [unrolled: 1-line block ×6, first 2 shown]
	s_mov_b32 s3, 0
.LBB145_9:                              ; =>This Inner Loop Header: Depth=1
	v_ashrrev_i32_e32 v15, 31, v14
	v_subrev_nc_u32_e32 v12, 28, v7
	v_lshlrev_b64 v[15:16], 2, v[14:15]
	v_lshlrev_b64 v[19:20], 3, v[12:13]
	v_subrev_nc_u32_e32 v12, 26, v7
	v_add_nc_u32_e32 v14, 64, v14
	v_add_co_u32 v15, vcc_lo, s10, v15
	v_add_co_ci_u32_e64 v16, null, s11, v16, vcc_lo
	v_lshlrev_b64 v[21:22], 3, v[12:13]
	v_add_co_u32 v19, vcc_lo, s12, v19
	global_load_dword v15, v[15:16], off
	v_mov_b32_e32 v16, v13
	v_add_co_ci_u32_e64 v20, null, s13, v20, vcc_lo
	v_add_co_u32 v23, vcc_lo, s12, v21
	v_add_co_ci_u32_e64 v24, null, s13, v22, vcc_lo
	s_clause 0x1
	global_load_dwordx4 v[19:22], v[19:20], off
	global_load_dwordx4 v[23:26], v[23:24], off
	s_waitcnt vmcnt(2)
	v_subrev_nc_u32_e32 v12, s2, v15
	v_mul_lo_u32 v15, v12, 15
	v_lshlrev_b64 v[16:17], 3, v[15:16]
	v_add_nc_u32_e32 v12, 1, v15
	v_lshlrev_b64 v[27:28], 3, v[12:13]
	v_add_co_u32 v16, vcc_lo, s14, v16
	v_add_co_ci_u32_e64 v17, null, s15, v17, vcc_lo
	v_subrev_nc_u32_e32 v12, 24, v7
	v_add_co_u32 v27, vcc_lo, s14, v27
	global_load_dwordx2 v[16:17], v[16:17], off
	v_add_co_ci_u32_e64 v28, null, s15, v28, vcc_lo
	v_lshlrev_b64 v[29:30], 3, v[12:13]
	v_add_nc_u32_e32 v12, 2, v15
	global_load_dwordx2 v[47:48], v[27:28], off
	v_lshlrev_b64 v[31:32], 3, v[12:13]
	v_add_co_u32 v27, vcc_lo, s12, v29
	v_add_co_ci_u32_e64 v28, null, s13, v30, vcc_lo
	v_subrev_nc_u32_e32 v12, 22, v7
	v_add_co_u32 v31, vcc_lo, s14, v31
	v_add_co_ci_u32_e64 v32, null, s15, v32, vcc_lo
	global_load_dwordx4 v[27:30], v[27:28], off
	v_lshlrev_b64 v[33:34], 3, v[12:13]
	v_add_nc_u32_e32 v12, 3, v15
	global_load_dwordx2 v[49:50], v[31:32], off
	v_lshlrev_b64 v[35:36], 3, v[12:13]
	v_add_co_u32 v31, vcc_lo, s12, v33
	v_add_co_ci_u32_e64 v32, null, s13, v34, vcc_lo
	v_subrev_nc_u32_e32 v12, 20, v7
	v_add_co_u32 v35, vcc_lo, s14, v35
	v_add_co_ci_u32_e64 v36, null, s15, v36, vcc_lo
	global_load_dwordx4 v[31:34], v[31:32], off
	;; [unrolled: 10-line block ×3, first 2 shown]
	v_lshlrev_b64 v[41:42], 3, v[12:13]
	v_add_nc_u32_e32 v12, 5, v15
	global_load_dwordx2 v[53:54], v[39:40], off
	v_lshlrev_b64 v[43:44], 3, v[12:13]
	v_add_co_u32 v39, vcc_lo, s12, v41
	v_add_co_ci_u32_e64 v40, null, s13, v42, vcc_lo
	v_add_nc_u32_e32 v12, -16, v7
	v_add_co_u32 v43, vcc_lo, s14, v43
	v_add_co_ci_u32_e64 v44, null, s15, v44, vcc_lo
	global_load_dwordx4 v[39:42], v[39:40], off
	v_lshlrev_b64 v[45:46], 3, v[12:13]
	v_add_nc_u32_e32 v12, 6, v15
	global_load_dwordx2 v[57:58], v[43:44], off
	v_lshlrev_b64 v[55:56], 3, v[12:13]
	v_add_co_u32 v43, vcc_lo, s12, v45
	v_add_co_ci_u32_e64 v44, null, s13, v46, vcc_lo
	v_add_nc_u32_e32 v12, -14, v7
	v_add_co_u32 v55, vcc_lo, s14, v55
	v_add_co_ci_u32_e64 v56, null, s15, v56, vcc_lo
	global_load_dwordx4 v[43:46], v[43:44], off
	global_load_dwordx2 v[55:56], v[55:56], off
	v_lshlrev_b64 v[59:60], 3, v[12:13]
	v_add_nc_u32_e32 v12, 7, v15
	v_lshlrev_b64 v[61:62], 3, v[12:13]
	v_add_co_u32 v59, vcc_lo, s12, v59
	v_add_co_ci_u32_e64 v60, null, s13, v60, vcc_lo
	v_add_nc_u32_e32 v12, -12, v7
	v_add_co_u32 v61, vcc_lo, s14, v61
	v_add_co_ci_u32_e64 v62, null, s15, v62, vcc_lo
	s_waitcnt vmcnt(11)
	v_fma_f64 v[8:9], v[19:20], v[16:17], v[8:9]
	v_fma_f64 v[10:11], v[21:22], v[16:17], v[10:11]
	global_load_dwordx4 v[19:22], v[59:60], off
	global_load_dwordx2 v[59:60], v[61:62], off
	v_lshlrev_b64 v[16:17], 3, v[12:13]
	v_add_nc_u32_e32 v12, 8, v15
	v_lshlrev_b64 v[61:62], 3, v[12:13]
	v_add_co_u32 v16, vcc_lo, s12, v16
	v_add_co_ci_u32_e64 v17, null, s13, v17, vcc_lo
	v_add_nc_u32_e32 v12, -10, v7
	v_add_co_u32 v61, vcc_lo, s14, v61
	v_add_co_ci_u32_e64 v62, null, s15, v62, vcc_lo
	s_waitcnt vmcnt(12)
	v_fma_f64 v[8:9], v[23:24], v[47:48], v[8:9]
	v_fma_f64 v[10:11], v[25:26], v[47:48], v[10:11]
	;; [unrolled: 13-line block ×4, first 2 shown]
	global_load_dwordx4 v[31:34], v[49:50], off
	global_load_dwordx2 v[49:50], v[61:62], off
	v_lshlrev_b64 v[51:52], 3, v[12:13]
	v_add_nc_u32_e32 v12, 11, v15
	v_add_co_u32 v51, vcc_lo, s12, v51
	v_lshlrev_b64 v[61:62], 3, v[12:13]
	v_add_co_ci_u32_e64 v52, null, s13, v52, vcc_lo
	v_add_nc_u32_e32 v12, -4, v7
	s_waitcnt vmcnt(12)
	v_fma_f64 v[8:9], v[35:36], v[53:54], v[8:9]
	v_fma_f64 v[10:11], v[37:38], v[53:54], v[10:11]
	global_load_dwordx4 v[35:38], v[51:52], off
	v_add_co_u32 v51, vcc_lo, s14, v61
	v_add_co_ci_u32_e64 v52, null, s15, v62, vcc_lo
	v_lshlrev_b64 v[53:54], 3, v[12:13]
	v_add_nc_u32_e32 v12, 12, v15
	global_load_dwordx2 v[51:52], v[51:52], off
	v_lshlrev_b64 v[61:62], 3, v[12:13]
	v_add_nc_u32_e32 v12, -2, v7
	v_add_co_u32 v53, vcc_lo, s12, v53
	v_add_co_ci_u32_e64 v54, null, s13, v54, vcc_lo
	s_waitcnt vmcnt(12)
	v_fma_f64 v[63:64], v[39:40], v[57:58], v[8:9]
	v_lshlrev_b64 v[39:40], 3, v[12:13]
	v_fma_f64 v[9:10], v[41:42], v[57:58], v[10:11]
	v_add_co_u32 v57, vcc_lo, s14, v61
	v_add_co_ci_u32_e64 v58, null, s15, v62, vcc_lo
	v_add_co_u32 v61, vcc_lo, s12, v39
	v_add_co_ci_u32_e64 v62, null, s13, v40, vcc_lo
	global_load_dwordx4 v[39:42], v[53:54], off
	global_load_dwordx2 v[53:54], v[57:58], off
	v_add_nc_u32_e32 v12, 13, v15
	v_mov_b32_e32 v8, v13
	v_lshlrev_b64 v[11:12], 3, v[12:13]
	s_waitcnt vmcnt(12)
	v_fma_f64 v[57:58], v[43:44], v[55:56], v[63:64]
	v_add_co_u32 v11, vcc_lo, s14, v11
	v_add_co_ci_u32_e64 v12, null, s15, v12, vcc_lo
	v_fma_f64 v[55:56], v[45:46], v[55:56], v[9:10]
	global_load_dwordx4 v[43:46], v[61:62], off
	global_load_dwordx2 v[61:62], v[11:12], off
	v_add_nc_u32_e32 v12, 14, v15
	v_lshlrev_b64 v[8:9], 3, v[7:8]
	v_add_nc_u32_e32 v7, 0x780, v7
	v_lshlrev_b64 v[10:11], 3, v[12:13]
	v_add_co_u32 v8, vcc_lo, s12, v8
	v_add_co_ci_u32_e64 v9, null, s13, v9, vcc_lo
	v_add_co_u32 v63, vcc_lo, s14, v10
	v_add_co_ci_u32_e64 v64, null, s15, v11, vcc_lo
	global_load_dwordx4 v[8:11], v[8:9], off
	global_load_dwordx2 v[63:64], v[63:64], off
	v_cmp_ge_i32_e32 vcc_lo, v14, v18
	s_or_b32 s3, vcc_lo, s3
	s_waitcnt vmcnt(14)
	v_fma_f64 v[19:20], v[19:20], v[59:60], v[57:58]
	v_fma_f64 v[21:22], v[21:22], v[59:60], v[55:56]
	s_waitcnt vmcnt(12)
	v_fma_f64 v[19:20], v[23:24], v[16:17], v[19:20]
	v_fma_f64 v[15:16], v[25:26], v[16:17], v[21:22]
	;; [unrolled: 3-line block ×8, first 2 shown]
	s_andn2_b32 exec_lo, exec_lo, s3
	s_cbranch_execnz .LBB145_9
; %bb.10:
	s_or_b32 exec_lo, exec_lo, s3
.LBB145_11:
	s_or_b32 exec_lo, exec_lo, s1
	s_cbranch_execz .LBB145_13
	s_branch .LBB145_18
.LBB145_12:
                                        ; implicit-def: $vgpr8_vgpr9
                                        ; implicit-def: $vgpr10_vgpr11
.LBB145_13:
	v_mov_b32_e32 v8, 0
	v_mov_b32_e32 v10, 0
	;; [unrolled: 1-line block ×4, first 2 shown]
	s_and_saveexec_b32 s1, s0
	s_cbranch_execz .LBB145_17
; %bb.14:
	v_mad_u64_u32 v[12:13], null, v6, 30, 29
	v_mov_b32_e32 v8, 0
	v_mov_b32_e32 v10, 0
	;; [unrolled: 1-line block ×5, first 2 shown]
	s_mov_b32 s0, 0
.LBB145_15:                             ; =>This Inner Loop Header: Depth=1
	v_ashrrev_i32_e32 v7, 31, v6
	v_subrev_nc_u32_e32 v14, 29, v12
	v_add_nc_u32_e32 v19, -14, v12
	v_mov_b32_e32 v20, v15
	v_mov_b32_e32 v13, v15
	v_lshlrev_b64 v[21:22], 2, v[6:7]
	v_lshlrev_b64 v[23:24], 3, v[14:15]
	v_mov_b32_e32 v17, v15
	v_lshlrev_b64 v[19:20], 3, v[19:20]
	v_lshlrev_b64 v[13:14], 3, v[12:13]
	v_add_nc_u32_e32 v6, 64, v6
	v_add_co_u32 v21, vcc_lo, s10, v21
	v_add_co_ci_u32_e64 v22, null, s11, v22, vcc_lo
	v_add_co_u32 v23, vcc_lo, s12, v23
	v_add_co_ci_u32_e64 v24, null, s13, v24, vcc_lo
	global_load_dword v7, v[21:22], off
	v_add_co_u32 v19, vcc_lo, s12, v19
	v_add_co_ci_u32_e64 v20, null, s13, v20, vcc_lo
	v_add_co_u32 v25, vcc_lo, s12, v13
	v_add_co_ci_u32_e64 v26, null, s13, v14, vcc_lo
	s_waitcnt vmcnt(0)
	v_subrev_nc_u32_e32 v7, s2, v7
	v_mul_lo_u32 v16, v7, 15
	v_add_nc_u32_e32 v14, 1, v16
	v_lshlrev_b64 v[21:22], 3, v[16:17]
	v_lshlrev_b64 v[27:28], 3, v[14:15]
	v_add_nc_u32_e32 v14, -13, v12
	v_add_co_u32 v21, vcc_lo, s14, v21
	v_add_co_ci_u32_e64 v22, null, s15, v22, vcc_lo
	v_lshlrev_b64 v[29:30], 3, v[14:15]
	v_subrev_nc_u32_e32 v14, 27, v12
	v_add_co_u32 v27, vcc_lo, s14, v27
	v_add_co_ci_u32_e64 v28, null, s15, v28, vcc_lo
	v_lshlrev_b64 v[31:32], 3, v[14:15]
	v_add_nc_u32_e32 v14, 2, v16
	v_add_co_u32 v29, vcc_lo, s12, v29
	v_add_co_ci_u32_e64 v30, null, s13, v30, vcc_lo
	v_lshlrev_b64 v[33:34], 3, v[14:15]
	v_add_nc_u32_e32 v14, -12, v12
	v_add_co_u32 v31, vcc_lo, s12, v31
	v_add_co_ci_u32_e64 v32, null, s13, v32, vcc_lo
	v_lshlrev_b64 v[35:36], 3, v[14:15]
	v_subrev_nc_u32_e32 v14, 26, v12
	v_add_co_u32 v33, vcc_lo, s14, v33
	v_add_co_ci_u32_e64 v34, null, s15, v34, vcc_lo
	v_lshlrev_b64 v[37:38], 3, v[14:15]
	v_add_nc_u32_e32 v14, 3, v16
	v_add_co_u32 v35, vcc_lo, s12, v35
	v_add_co_ci_u32_e64 v36, null, s13, v36, vcc_lo
	;; [unrolled: 12-line block ×6, first 2 shown]
	v_lshlrev_b64 v[13:14], 3, v[14:15]
	v_add_co_u32 v61, vcc_lo, s12, v61
	v_add_co_ci_u32_e64 v62, null, s13, v62, vcc_lo
	v_add_co_u32 v63, vcc_lo, s14, v13
	v_add_co_ci_u32_e64 v64, null, s15, v14, vcc_lo
	global_load_dwordx2 v[13:14], v[19:20], off
	global_load_dwordx2 v[65:66], v[21:22], off
	global_load_dwordx4 v[19:22], v[23:24], off
	global_load_dwordx2 v[23:24], v[27:28], off
	s_clause 0x1
	global_load_dwordx2 v[27:28], v[29:30], off
	global_load_dwordx2 v[29:30], v[31:32], off
	global_load_dwordx2 v[33:34], v[33:34], off
	s_clause 0x1
	global_load_dwordx2 v[35:36], v[35:36], off
	global_load_dwordx2 v[37:38], v[37:38], off
	;; [unrolled: 4-line block ×6, first 2 shown]
	s_waitcnt vmcnt(18)
	v_fma_f64 v[7:8], v[19:20], v[65:66], v[8:9]
	v_fma_f64 v[10:11], v[13:14], v[65:66], v[10:11]
	v_add_nc_u32_e32 v14, -7, v12
	v_lshlrev_b64 v[19:20], 3, v[14:15]
	v_subrev_nc_u32_e32 v14, 21, v12
	v_add_co_u32 v19, vcc_lo, s12, v19
	v_add_co_ci_u32_e64 v20, null, s13, v20, vcc_lo
	s_waitcnt vmcnt(17)
	v_fma_f64 v[7:8], v[21:22], v[23:24], v[7:8]
	v_lshlrev_b64 v[21:22], 3, v[14:15]
	v_add_nc_u32_e32 v14, 8, v16
	s_waitcnt vmcnt(16)
	v_fma_f64 v[9:10], v[27:28], v[23:24], v[10:11]
	v_lshlrev_b64 v[31:32], 3, v[14:15]
	v_add_nc_u32_e32 v14, -6, v12
	v_add_co_u32 v21, vcc_lo, s12, v21
	v_add_co_ci_u32_e64 v22, null, s13, v22, vcc_lo
	v_lshlrev_b64 v[23:24], 3, v[14:15]
	v_subrev_nc_u32_e32 v14, 20, v12
	v_add_co_u32 v27, vcc_lo, s14, v31
	v_add_co_ci_u32_e64 v28, null, s15, v32, vcc_lo
	v_lshlrev_b64 v[13:14], 3, v[14:15]
	v_add_co_u32 v23, vcc_lo, s12, v23
	v_add_co_ci_u32_e64 v24, null, s13, v24, vcc_lo
	s_waitcnt vmcnt(14)
	v_fma_f64 v[7:8], v[29:30], v[33:34], v[7:8]
	v_add_co_u32 v31, vcc_lo, s12, v13
	v_add_co_ci_u32_e64 v32, null, s13, v14, vcc_lo
	v_add_nc_u32_e32 v14, 9, v16
	s_waitcnt vmcnt(13)
	v_fma_f64 v[9:10], v[35:36], v[33:34], v[9:10]
	v_lshlrev_b64 v[29:30], 3, v[14:15]
	v_add_nc_u32_e32 v14, -5, v12
	v_lshlrev_b64 v[33:34], 3, v[14:15]
	v_subrev_nc_u32_e32 v14, 19, v12
	v_add_co_u32 v29, vcc_lo, s14, v29
	v_add_co_ci_u32_e64 v30, null, s15, v30, vcc_lo
	v_lshlrev_b64 v[13:14], 3, v[14:15]
	v_add_co_u32 v33, vcc_lo, s12, v33
	v_add_co_ci_u32_e64 v34, null, s13, v34, vcc_lo
	s_waitcnt vmcnt(11)
	v_fma_f64 v[7:8], v[37:38], v[39:40], v[7:8]
	v_add_co_u32 v35, vcc_lo, s12, v13
	v_add_co_ci_u32_e64 v36, null, s13, v14, vcc_lo
	v_add_nc_u32_e32 v14, 10, v16
	s_waitcnt vmcnt(10)
	v_fma_f64 v[9:10], v[41:42], v[39:40], v[9:10]
	v_lshlrev_b64 v[37:38], 3, v[14:15]
	v_add_nc_u32_e32 v14, -4, v12
	;; [unrolled: 16-line block ×4, first 2 shown]
	v_lshlrev_b64 v[51:52], 3, v[14:15]
	v_add_nc_u32_e32 v14, -16, v12
	v_add_co_u32 v49, vcc_lo, s14, v49
	v_add_co_ci_u32_e64 v50, null, s15, v50, vcc_lo
	v_lshlrev_b64 v[13:14], 3, v[14:15]
	v_add_co_u32 v51, vcc_lo, s12, v51
	v_add_co_ci_u32_e64 v52, null, s13, v52, vcc_lo
	s_waitcnt vmcnt(2)
	v_fma_f64 v[7:8], v[55:56], v[57:58], v[7:8]
	v_add_co_u32 v53, vcc_lo, s12, v13
	v_add_co_ci_u32_e64 v54, null, s13, v14, vcc_lo
	v_add_nc_u32_e32 v14, 13, v16
	s_waitcnt vmcnt(1)
	v_fma_f64 v[9:10], v[59:60], v[57:58], v[9:10]
	v_lshlrev_b64 v[55:56], 3, v[14:15]
	v_add_nc_u32_e32 v14, -1, v12
	v_lshlrev_b64 v[57:58], 3, v[14:15]
	v_add_nc_u32_e32 v14, -15, v12
	v_add_co_u32 v55, vcc_lo, s14, v55
	v_add_co_ci_u32_e64 v56, null, s15, v56, vcc_lo
	v_lshlrev_b64 v[59:60], 3, v[14:15]
	v_add_nc_u32_e32 v14, 14, v16
	v_add_co_u32 v16, vcc_lo, s12, v57
	v_add_co_ci_u32_e64 v17, null, s13, v58, vcc_lo
	v_lshlrev_b64 v[13:14], 3, v[14:15]
	v_add_co_u32 v57, vcc_lo, s12, v59
	v_add_co_ci_u32_e64 v58, null, s13, v60, vcc_lo
	v_add_nc_u32_e32 v12, 0x780, v12
	v_add_co_u32 v13, vcc_lo, s14, v13
	v_add_co_ci_u32_e64 v14, null, s15, v14, vcc_lo
	global_load_dwordx2 v[59:60], v[63:64], off
	s_clause 0x1
	global_load_dwordx2 v[19:20], v[19:20], off
	global_load_dwordx2 v[21:22], v[21:22], off
	global_load_dwordx2 v[27:28], v[27:28], off
	s_clause 0x1
	global_load_dwordx2 v[23:24], v[23:24], off
	global_load_dwordx2 v[31:32], v[31:32], off
	;; [unrolled: 4-line block ×7, first 2 shown]
	global_load_dwordx2 v[57:58], v[57:58], off
	global_load_dwordx2 v[13:14], v[13:14], off
	v_cmp_ge_i32_e32 vcc_lo, v6, v18
	s_or_b32 s0, vcc_lo, s0
	s_waitcnt vmcnt(22)
	v_fma_f64 v[7:8], v[61:62], v[59:60], v[7:8]
	s_waitcnt vmcnt(21)
	v_fma_f64 v[9:10], v[19:20], v[59:60], v[9:10]
	;; [unrolled: 2-line block ×15, first 2 shown]
	v_fma_f64 v[10:11], v[25:26], v[13:14], v[10:11]
	s_andn2_b32 exec_lo, exec_lo, s0
	s_cbranch_execnz .LBB145_15
; %bb.16:
	s_or_b32 exec_lo, exec_lo, s0
.LBB145_17:
	s_or_b32 exec_lo, exec_lo, s1
.LBB145_18:
	v_mbcnt_lo_u32_b32 v14, -1, 0
	v_or_b32_e32 v6, 32, v14
	v_cmp_gt_i32_e32 vcc_lo, 32, v6
	v_cndmask_b32_e32 v6, v14, v6, vcc_lo
	v_lshlrev_b32_e32 v13, 2, v6
	ds_bpermute_b32 v6, v13, v8
	ds_bpermute_b32 v7, v13, v9
	;; [unrolled: 1-line block ×4, first 2 shown]
	s_waitcnt lgkmcnt(2)
	v_add_f64 v[6:7], v[8:9], v[6:7]
	s_waitcnt lgkmcnt(0)
	v_add_f64 v[8:9], v[10:11], v[12:13]
	v_xor_b32_e32 v10, 16, v14
	v_cmp_gt_i32_e32 vcc_lo, 32, v10
	v_cndmask_b32_e32 v10, v14, v10, vcc_lo
	v_lshlrev_b32_e32 v13, 2, v10
	ds_bpermute_b32 v10, v13, v6
	ds_bpermute_b32 v11, v13, v7
	ds_bpermute_b32 v12, v13, v8
	ds_bpermute_b32 v13, v13, v9
	s_waitcnt lgkmcnt(2)
	v_add_f64 v[6:7], v[6:7], v[10:11]
	v_xor_b32_e32 v10, 8, v14
	s_waitcnt lgkmcnt(0)
	v_add_f64 v[8:9], v[8:9], v[12:13]
	v_cmp_gt_i32_e32 vcc_lo, 32, v10
	v_cndmask_b32_e32 v10, v14, v10, vcc_lo
	v_lshlrev_b32_e32 v13, 2, v10
	ds_bpermute_b32 v10, v13, v6
	ds_bpermute_b32 v11, v13, v7
	ds_bpermute_b32 v12, v13, v8
	ds_bpermute_b32 v13, v13, v9
	s_waitcnt lgkmcnt(2)
	v_add_f64 v[6:7], v[6:7], v[10:11]
	v_xor_b32_e32 v10, 4, v14
	s_waitcnt lgkmcnt(0)
	v_add_f64 v[8:9], v[8:9], v[12:13]
	;; [unrolled: 12-line block ×3, first 2 shown]
	v_cmp_gt_i32_e32 vcc_lo, 32, v10
	v_cndmask_b32_e32 v10, v14, v10, vcc_lo
	v_lshlrev_b32_e32 v13, 2, v10
	ds_bpermute_b32 v10, v13, v6
	ds_bpermute_b32 v11, v13, v7
	;; [unrolled: 1-line block ×4, first 2 shown]
	s_waitcnt lgkmcnt(2)
	v_add_f64 v[6:7], v[6:7], v[10:11]
	s_waitcnt lgkmcnt(0)
	v_add_f64 v[10:11], v[8:9], v[12:13]
	v_xor_b32_e32 v8, 1, v14
	v_cmp_gt_i32_e32 vcc_lo, 32, v8
	v_cndmask_b32_e32 v8, v14, v8, vcc_lo
	v_cmp_eq_u32_e32 vcc_lo, 63, v0
	v_lshlrev_b32_e32 v13, 2, v8
	ds_bpermute_b32 v8, v13, v6
	ds_bpermute_b32 v9, v13, v7
	;; [unrolled: 1-line block ×4, first 2 shown]
	s_and_b32 exec_lo, exec_lo, vcc_lo
	s_cbranch_execz .LBB145_23
; %bb.19:
	s_waitcnt lgkmcnt(2)
	v_add_f64 v[8:9], v[6:7], v[8:9]
	s_waitcnt lgkmcnt(0)
	v_add_f64 v[6:7], v[10:11], v[12:13]
	s_load_dwordx2 s[0:1], s[4:5], 0x38
	s_mov_b32 s2, exec_lo
	v_cmpx_eq_f64_e32 0, v[3:4]
	s_xor_b32 s2, exec_lo, s2
	s_cbranch_execz .LBB145_21
; %bb.20:
	v_lshlrev_b32_e32 v0, 1, v5
	v_mul_f64 v[3:4], v[1:2], v[8:9]
	v_mul_f64 v[5:6], v[1:2], v[6:7]
                                        ; implicit-def: $vgpr8_vgpr9
	v_ashrrev_i32_e32 v1, 31, v0
	v_lshlrev_b64 v[0:1], 3, v[0:1]
	s_waitcnt lgkmcnt(0)
	v_add_co_u32 v0, vcc_lo, s0, v0
	v_add_co_ci_u32_e64 v1, null, s1, v1, vcc_lo
	global_store_dwordx4 v[0:1], v[3:6], off
                                        ; implicit-def: $vgpr5
                                        ; implicit-def: $vgpr1_vgpr2
                                        ; implicit-def: $vgpr3_vgpr4
                                        ; implicit-def: $vgpr6_vgpr7
.LBB145_21:
	s_andn2_saveexec_b32 s2, s2
	s_cbranch_execz .LBB145_23
; %bb.22:
	v_lshlrev_b32_e32 v10, 1, v5
	v_mul_f64 v[8:9], v[1:2], v[8:9]
	v_mul_f64 v[5:6], v[1:2], v[6:7]
	v_ashrrev_i32_e32 v11, 31, v10
	v_lshlrev_b64 v[10:11], 3, v[10:11]
	s_waitcnt lgkmcnt(0)
	v_add_co_u32 v14, vcc_lo, s0, v10
	v_add_co_ci_u32_e64 v15, null, s1, v11, vcc_lo
	global_load_dwordx4 v[10:13], v[14:15], off
	s_waitcnt vmcnt(0)
	v_fma_f64 v[0:1], v[3:4], v[10:11], v[8:9]
	v_fma_f64 v[2:3], v[3:4], v[12:13], v[5:6]
	global_store_dwordx4 v[14:15], v[0:3], off
.LBB145_23:
	s_endpgm
	.section	.rodata,"a",@progbits
	.p2align	6, 0x0
	.amdhsa_kernel _ZN9rocsparseL19gebsrmvn_2xn_kernelILj128ELj15ELj64EdEEvi20rocsparse_direction_NS_24const_host_device_scalarIT2_EEPKiS6_PKS3_S8_S4_PS3_21rocsparse_index_base_b
		.amdhsa_group_segment_fixed_size 0
		.amdhsa_private_segment_fixed_size 0
		.amdhsa_kernarg_size 72
		.amdhsa_user_sgpr_count 6
		.amdhsa_user_sgpr_private_segment_buffer 1
		.amdhsa_user_sgpr_dispatch_ptr 0
		.amdhsa_user_sgpr_queue_ptr 0
		.amdhsa_user_sgpr_kernarg_segment_ptr 1
		.amdhsa_user_sgpr_dispatch_id 0
		.amdhsa_user_sgpr_flat_scratch_init 0
		.amdhsa_user_sgpr_private_segment_size 0
		.amdhsa_wavefront_size32 1
		.amdhsa_uses_dynamic_stack 0
		.amdhsa_system_sgpr_private_segment_wavefront_offset 0
		.amdhsa_system_sgpr_workgroup_id_x 1
		.amdhsa_system_sgpr_workgroup_id_y 0
		.amdhsa_system_sgpr_workgroup_id_z 0
		.amdhsa_system_sgpr_workgroup_info 0
		.amdhsa_system_vgpr_workitem_id 0
		.amdhsa_next_free_vgpr 67
		.amdhsa_next_free_sgpr 16
		.amdhsa_reserve_vcc 1
		.amdhsa_reserve_flat_scratch 0
		.amdhsa_float_round_mode_32 0
		.amdhsa_float_round_mode_16_64 0
		.amdhsa_float_denorm_mode_32 3
		.amdhsa_float_denorm_mode_16_64 3
		.amdhsa_dx10_clamp 1
		.amdhsa_ieee_mode 1
		.amdhsa_fp16_overflow 0
		.amdhsa_workgroup_processor_mode 1
		.amdhsa_memory_ordered 1
		.amdhsa_forward_progress 1
		.amdhsa_shared_vgpr_count 0
		.amdhsa_exception_fp_ieee_invalid_op 0
		.amdhsa_exception_fp_denorm_src 0
		.amdhsa_exception_fp_ieee_div_zero 0
		.amdhsa_exception_fp_ieee_overflow 0
		.amdhsa_exception_fp_ieee_underflow 0
		.amdhsa_exception_fp_ieee_inexact 0
		.amdhsa_exception_int_div_zero 0
	.end_amdhsa_kernel
	.section	.text._ZN9rocsparseL19gebsrmvn_2xn_kernelILj128ELj15ELj64EdEEvi20rocsparse_direction_NS_24const_host_device_scalarIT2_EEPKiS6_PKS3_S8_S4_PS3_21rocsparse_index_base_b,"axG",@progbits,_ZN9rocsparseL19gebsrmvn_2xn_kernelILj128ELj15ELj64EdEEvi20rocsparse_direction_NS_24const_host_device_scalarIT2_EEPKiS6_PKS3_S8_S4_PS3_21rocsparse_index_base_b,comdat
.Lfunc_end145:
	.size	_ZN9rocsparseL19gebsrmvn_2xn_kernelILj128ELj15ELj64EdEEvi20rocsparse_direction_NS_24const_host_device_scalarIT2_EEPKiS6_PKS3_S8_S4_PS3_21rocsparse_index_base_b, .Lfunc_end145-_ZN9rocsparseL19gebsrmvn_2xn_kernelILj128ELj15ELj64EdEEvi20rocsparse_direction_NS_24const_host_device_scalarIT2_EEPKiS6_PKS3_S8_S4_PS3_21rocsparse_index_base_b
                                        ; -- End function
	.set _ZN9rocsparseL19gebsrmvn_2xn_kernelILj128ELj15ELj64EdEEvi20rocsparse_direction_NS_24const_host_device_scalarIT2_EEPKiS6_PKS3_S8_S4_PS3_21rocsparse_index_base_b.num_vgpr, 67
	.set _ZN9rocsparseL19gebsrmvn_2xn_kernelILj128ELj15ELj64EdEEvi20rocsparse_direction_NS_24const_host_device_scalarIT2_EEPKiS6_PKS3_S8_S4_PS3_21rocsparse_index_base_b.num_agpr, 0
	.set _ZN9rocsparseL19gebsrmvn_2xn_kernelILj128ELj15ELj64EdEEvi20rocsparse_direction_NS_24const_host_device_scalarIT2_EEPKiS6_PKS3_S8_S4_PS3_21rocsparse_index_base_b.numbered_sgpr, 16
	.set _ZN9rocsparseL19gebsrmvn_2xn_kernelILj128ELj15ELj64EdEEvi20rocsparse_direction_NS_24const_host_device_scalarIT2_EEPKiS6_PKS3_S8_S4_PS3_21rocsparse_index_base_b.num_named_barrier, 0
	.set _ZN9rocsparseL19gebsrmvn_2xn_kernelILj128ELj15ELj64EdEEvi20rocsparse_direction_NS_24const_host_device_scalarIT2_EEPKiS6_PKS3_S8_S4_PS3_21rocsparse_index_base_b.private_seg_size, 0
	.set _ZN9rocsparseL19gebsrmvn_2xn_kernelILj128ELj15ELj64EdEEvi20rocsparse_direction_NS_24const_host_device_scalarIT2_EEPKiS6_PKS3_S8_S4_PS3_21rocsparse_index_base_b.uses_vcc, 1
	.set _ZN9rocsparseL19gebsrmvn_2xn_kernelILj128ELj15ELj64EdEEvi20rocsparse_direction_NS_24const_host_device_scalarIT2_EEPKiS6_PKS3_S8_S4_PS3_21rocsparse_index_base_b.uses_flat_scratch, 0
	.set _ZN9rocsparseL19gebsrmvn_2xn_kernelILj128ELj15ELj64EdEEvi20rocsparse_direction_NS_24const_host_device_scalarIT2_EEPKiS6_PKS3_S8_S4_PS3_21rocsparse_index_base_b.has_dyn_sized_stack, 0
	.set _ZN9rocsparseL19gebsrmvn_2xn_kernelILj128ELj15ELj64EdEEvi20rocsparse_direction_NS_24const_host_device_scalarIT2_EEPKiS6_PKS3_S8_S4_PS3_21rocsparse_index_base_b.has_recursion, 0
	.set _ZN9rocsparseL19gebsrmvn_2xn_kernelILj128ELj15ELj64EdEEvi20rocsparse_direction_NS_24const_host_device_scalarIT2_EEPKiS6_PKS3_S8_S4_PS3_21rocsparse_index_base_b.has_indirect_call, 0
	.section	.AMDGPU.csdata,"",@progbits
; Kernel info:
; codeLenInByte = 4568
; TotalNumSgprs: 18
; NumVgprs: 67
; ScratchSize: 0
; MemoryBound: 0
; FloatMode: 240
; IeeeMode: 1
; LDSByteSize: 0 bytes/workgroup (compile time only)
; SGPRBlocks: 0
; VGPRBlocks: 8
; NumSGPRsForWavesPerEU: 18
; NumVGPRsForWavesPerEU: 67
; Occupancy: 12
; WaveLimiterHint : 1
; COMPUTE_PGM_RSRC2:SCRATCH_EN: 0
; COMPUTE_PGM_RSRC2:USER_SGPR: 6
; COMPUTE_PGM_RSRC2:TRAP_HANDLER: 0
; COMPUTE_PGM_RSRC2:TGID_X_EN: 1
; COMPUTE_PGM_RSRC2:TGID_Y_EN: 0
; COMPUTE_PGM_RSRC2:TGID_Z_EN: 0
; COMPUTE_PGM_RSRC2:TIDIG_COMP_CNT: 0
	.section	.text._ZN9rocsparseL19gebsrmvn_2xn_kernelILj128ELj16ELj4EdEEvi20rocsparse_direction_NS_24const_host_device_scalarIT2_EEPKiS6_PKS3_S8_S4_PS3_21rocsparse_index_base_b,"axG",@progbits,_ZN9rocsparseL19gebsrmvn_2xn_kernelILj128ELj16ELj4EdEEvi20rocsparse_direction_NS_24const_host_device_scalarIT2_EEPKiS6_PKS3_S8_S4_PS3_21rocsparse_index_base_b,comdat
	.globl	_ZN9rocsparseL19gebsrmvn_2xn_kernelILj128ELj16ELj4EdEEvi20rocsparse_direction_NS_24const_host_device_scalarIT2_EEPKiS6_PKS3_S8_S4_PS3_21rocsparse_index_base_b ; -- Begin function _ZN9rocsparseL19gebsrmvn_2xn_kernelILj128ELj16ELj4EdEEvi20rocsparse_direction_NS_24const_host_device_scalarIT2_EEPKiS6_PKS3_S8_S4_PS3_21rocsparse_index_base_b
	.p2align	8
	.type	_ZN9rocsparseL19gebsrmvn_2xn_kernelILj128ELj16ELj4EdEEvi20rocsparse_direction_NS_24const_host_device_scalarIT2_EEPKiS6_PKS3_S8_S4_PS3_21rocsparse_index_base_b,@function
_ZN9rocsparseL19gebsrmvn_2xn_kernelILj128ELj16ELj4EdEEvi20rocsparse_direction_NS_24const_host_device_scalarIT2_EEPKiS6_PKS3_S8_S4_PS3_21rocsparse_index_base_b: ; @_ZN9rocsparseL19gebsrmvn_2xn_kernelILj128ELj16ELj4EdEEvi20rocsparse_direction_NS_24const_host_device_scalarIT2_EEPKiS6_PKS3_S8_S4_PS3_21rocsparse_index_base_b
; %bb.0:
	s_clause 0x2
	s_load_dwordx2 s[2:3], s[4:5], 0x40
	s_load_dwordx2 s[8:9], s[4:5], 0x8
	;; [unrolled: 1-line block ×3, first 2 shown]
	s_waitcnt lgkmcnt(0)
	s_bitcmp1_b32 s3, 0
	v_mov_b32_e32 v1, s8
	v_mov_b32_e32 v2, s9
	s_cselect_b32 s3, -1, 0
	s_and_b32 vcc_lo, exec_lo, s3
	s_xor_b32 s3, s3, -1
	s_cbranch_vccnz .LBB146_2
; %bb.1:
	v_mov_b32_e32 v1, s8
	v_mov_b32_e32 v2, s9
	flat_load_dwordx2 v[1:2], v[1:2]
.LBB146_2:
	v_mov_b32_e32 v4, s1
	v_mov_b32_e32 v3, s0
	s_andn2_b32 vcc_lo, exec_lo, s3
	s_cbranch_vccnz .LBB146_4
; %bb.3:
	v_mov_b32_e32 v4, s1
	v_mov_b32_e32 v3, s0
	flat_load_dwordx2 v[3:4], v[3:4]
.LBB146_4:
	s_waitcnt vmcnt(0) lgkmcnt(0)
	v_cmp_neq_f64_e32 vcc_lo, 0, v[1:2]
	v_cmp_neq_f64_e64 s0, 1.0, v[3:4]
	s_or_b32 s0, vcc_lo, s0
	s_and_saveexec_b32 s1, s0
	s_cbranch_execz .LBB146_23
; %bb.5:
	s_load_dwordx2 s[0:1], s[4:5], 0x0
	v_lshrrev_b32_e32 v5, 2, v0
	v_lshl_or_b32 v5, s6, 5, v5
	s_waitcnt lgkmcnt(0)
	v_cmp_gt_i32_e32 vcc_lo, s0, v5
	s_and_b32 exec_lo, exec_lo, vcc_lo
	s_cbranch_execz .LBB146_23
; %bb.6:
	s_load_dwordx8 s[8:15], s[4:5], 0x10
	v_ashrrev_i32_e32 v6, 31, v5
	v_and_b32_e32 v0, 3, v0
	s_cmp_lg_u32 s1, 0
	v_lshlrev_b64 v[6:7], 2, v[5:6]
	s_waitcnt lgkmcnt(0)
	v_add_co_u32 v6, vcc_lo, s8, v6
	v_add_co_ci_u32_e64 v7, null, s9, v7, vcc_lo
	global_load_dwordx2 v[6:7], v[6:7], off
	s_waitcnt vmcnt(0)
	v_subrev_nc_u32_e32 v6, s2, v6
	v_subrev_nc_u32_e32 v16, s2, v7
	v_add_nc_u32_e32 v6, v6, v0
	v_cmp_lt_i32_e64 s0, v6, v16
	s_cbranch_scc0 .LBB146_12
; %bb.7:
	v_mov_b32_e32 v8, 0
	v_mov_b32_e32 v10, 0
	v_mov_b32_e32 v9, 0
	v_mov_b32_e32 v11, 0
	s_and_saveexec_b32 s1, s0
	s_cbranch_execz .LBB146_11
; %bb.8:
	v_mov_b32_e32 v8, 0
	v_mov_b32_e32 v10, 0
	v_lshlrev_b32_e32 v12, 5, v6
	v_mov_b32_e32 v9, 0
	v_mov_b32_e32 v13, 0
	;; [unrolled: 1-line block ×4, first 2 shown]
	s_mov_b32 s3, 0
.LBB146_9:                              ; =>This Inner Loop Header: Depth=1
	v_ashrrev_i32_e32 v15, 31, v14
	v_mov_b32_e32 v26, v13
	v_lshlrev_b64 v[17:18], 2, v[14:15]
	v_add_nc_u32_e32 v14, 4, v14
	v_add_co_u32 v17, vcc_lo, s10, v17
	v_add_co_ci_u32_e64 v18, null, s11, v18, vcc_lo
	global_load_dword v7, v[17:18], off
	v_lshlrev_b64 v[17:18], 3, v[12:13]
	v_add_nc_u32_e32 v12, 0x80, v12
	v_add_co_u32 v93, vcc_lo, s12, v17
	v_add_co_ci_u32_e64 v94, null, s13, v18, vcc_lo
	s_clause 0x1
	global_load_dwordx4 v[17:20], v[93:94], off offset:16
	global_load_dwordx4 v[21:24], v[93:94], off
	s_waitcnt vmcnt(2)
	v_subrev_nc_u32_e32 v7, s2, v7
	v_lshlrev_b32_e32 v25, 4, v7
	v_lshlrev_b64 v[25:26], 3, v[25:26]
	v_add_co_u32 v95, vcc_lo, s14, v25
	v_add_co_ci_u32_e64 v96, null, s15, v26, vcc_lo
	v_cmp_ge_i32_e32 vcc_lo, v14, v16
	global_load_dwordx4 v[25:28], v[95:96], off
	s_clause 0x1
	global_load_dwordx4 v[29:32], v[93:94], off offset:48
	global_load_dwordx4 v[33:36], v[93:94], off offset:32
	;; [unrolled: 1-line block ×5, first 2 shown]
	s_clause 0x1
	global_load_dwordx4 v[49:52], v[93:94], off offset:80
	global_load_dwordx4 v[53:56], v[93:94], off offset:96
	global_load_dwordx4 v[57:60], v[95:96], off offset:48
	s_clause 0x1
	global_load_dwordx4 v[61:64], v[93:94], off offset:112
	global_load_dwordx4 v[65:68], v[93:94], off offset:128
	global_load_dwordx4 v[69:72], v[95:96], off offset:64
	;; [unrolled: 4-line block ×3, first 2 shown]
	s_clause 0x1
	global_load_dwordx4 v[85:88], v[93:94], off offset:176
	global_load_dwordx4 v[89:92], v[93:94], off offset:192
	s_or_b32 s3, vcc_lo, s3
	s_waitcnt vmcnt(16)
	v_fma_f64 v[21:22], v[21:22], v[25:26], v[8:9]
	v_fma_f64 v[23:24], v[23:24], v[25:26], v[10:11]
	global_load_dwordx4 v[7:10], v[95:96], off offset:96
	v_fma_f64 v[97:98], v[17:18], v[27:28], v[21:22]
	v_fma_f64 v[99:100], v[19:20], v[27:28], v[23:24]
	s_clause 0x1
	global_load_dwordx4 v[17:20], v[93:94], off offset:208
	global_load_dwordx4 v[21:24], v[93:94], off offset:224
	;; [unrolled: 1-line block ×3, first 2 shown]
	s_waitcnt vmcnt(17)
	v_fma_f64 v[95:96], v[33:34], v[37:38], v[97:98]
	v_fma_f64 v[37:38], v[35:36], v[37:38], v[99:100]
	global_load_dwordx4 v[33:36], v[93:94], off offset:240
	v_fma_f64 v[29:30], v[29:30], v[39:40], v[95:96]
	v_fma_f64 v[31:32], v[31:32], v[39:40], v[37:38]
	s_waitcnt vmcnt(16)
	v_fma_f64 v[29:30], v[41:42], v[45:46], v[29:30]
	v_fma_f64 v[31:32], v[43:44], v[45:46], v[31:32]
	s_waitcnt vmcnt(15)
	;; [unrolled: 3-line block ×12, first 2 shown]
	v_fma_f64 v[8:9], v[33:34], v[27:28], v[9:10]
	v_fma_f64 v[10:11], v[35:36], v[27:28], v[17:18]
	s_andn2_b32 exec_lo, exec_lo, s3
	s_cbranch_execnz .LBB146_9
; %bb.10:
	s_or_b32 exec_lo, exec_lo, s3
.LBB146_11:
	s_or_b32 exec_lo, exec_lo, s1
	s_cbranch_execz .LBB146_13
	s_branch .LBB146_18
.LBB146_12:
                                        ; implicit-def: $vgpr8_vgpr9
                                        ; implicit-def: $vgpr10_vgpr11
.LBB146_13:
	v_mov_b32_e32 v8, 0
	v_mov_b32_e32 v10, 0
	;; [unrolled: 1-line block ×4, first 2 shown]
	s_and_saveexec_b32 s1, s0
	s_cbranch_execz .LBB146_17
; %bb.14:
	v_mov_b32_e32 v8, 0
	v_mov_b32_e32 v10, 0
	v_lshlrev_b32_e32 v12, 5, v6
	v_mov_b32_e32 v9, 0
	v_mov_b32_e32 v11, 0
	;; [unrolled: 1-line block ×3, first 2 shown]
	s_mov_b32 s0, 0
.LBB146_15:                             ; =>This Inner Loop Header: Depth=1
	v_ashrrev_i32_e32 v7, 31, v6
	v_mov_b32_e32 v50, v13
	v_lshlrev_b64 v[14:15], 2, v[6:7]
	v_add_nc_u32_e32 v6, 4, v6
	v_add_co_u32 v14, vcc_lo, s10, v14
	v_add_co_ci_u32_e64 v15, null, s11, v15, vcc_lo
	global_load_dword v7, v[14:15], off
	v_lshlrev_b64 v[14:15], 3, v[12:13]
	v_add_nc_u32_e32 v12, 0x80, v12
	v_add_co_u32 v14, vcc_lo, s12, v14
	v_add_co_ci_u32_e64 v15, null, s13, v15, vcc_lo
	s_clause 0x7
	global_load_dwordx4 v[17:20], v[14:15], off offset:48
	global_load_dwordx4 v[21:24], v[14:15], off offset:32
	;; [unrolled: 1-line block ×3, first 2 shown]
	global_load_dwordx4 v[29:32], v[14:15], off
	global_load_dwordx4 v[33:36], v[14:15], off offset:176
	global_load_dwordx4 v[37:40], v[14:15], off offset:160
	global_load_dwordx4 v[41:44], v[14:15], off offset:144
	global_load_dwordx4 v[45:48], v[14:15], off offset:128
	s_waitcnt vmcnt(8)
	v_subrev_nc_u32_e32 v7, s2, v7
	v_lshlrev_b32_e32 v49, 4, v7
	v_lshlrev_b64 v[49:50], 3, v[49:50]
	v_add_co_u32 v77, vcc_lo, s14, v49
	v_add_co_ci_u32_e64 v78, null, s15, v50, vcc_lo
	v_cmp_ge_i32_e32 vcc_lo, v6, v16
	s_clause 0x2
	global_load_dwordx4 v[49:52], v[77:78], off
	global_load_dwordx4 v[53:56], v[77:78], off offset:16
	global_load_dwordx4 v[57:60], v[77:78], off offset:32
	s_clause 0x2
	global_load_dwordx4 v[61:64], v[14:15], off offset:80
	global_load_dwordx4 v[65:68], v[14:15], off offset:64
	global_load_dwordx4 v[69:72], v[14:15], off offset:208
	global_load_dwordx4 v[73:76], v[77:78], off offset:48
	s_or_b32 s0, vcc_lo, s0
	s_waitcnt vmcnt(6)
	v_fma_f64 v[7:8], v[29:30], v[49:50], v[8:9]
	v_fma_f64 v[79:80], v[31:32], v[51:52], v[7:8]
	;; [unrolled: 1-line block ×3, first 2 shown]
	global_load_dwordx4 v[29:32], v[14:15], off offset:192
	s_waitcnt vmcnt(6)
	v_fma_f64 v[25:26], v[25:26], v[53:54], v[79:80]
	v_fma_f64 v[49:50], v[47:48], v[51:52], v[7:8]
	global_load_dwordx4 v[7:10], v[77:78], off offset:64
	global_load_dwordx4 v[45:48], v[14:15], off offset:112
	v_fma_f64 v[79:80], v[27:28], v[55:56], v[25:26]
	global_load_dwordx4 v[25:28], v[77:78], off offset:80
	v_fma_f64 v[41:42], v[41:42], v[53:54], v[49:50]
	v_fma_f64 v[81:82], v[43:44], v[55:56], v[41:42]
	s_clause 0x2
	global_load_dwordx4 v[41:44], v[14:15], off offset:96
	global_load_dwordx4 v[49:52], v[14:15], off offset:240
	;; [unrolled: 1-line block ×3, first 2 shown]
	s_waitcnt vmcnt(11)
	v_fma_f64 v[14:15], v[21:22], v[57:58], v[79:80]
	v_fma_f64 v[37:38], v[37:38], v[57:58], v[81:82]
	;; [unrolled: 1-line block ×3, first 2 shown]
	global_load_dwordx4 v[21:24], v[77:78], off offset:96
	v_fma_f64 v[57:58], v[39:40], v[59:60], v[37:38]
	global_load_dwordx4 v[37:40], v[77:78], off offset:112
	s_waitcnt vmcnt(9)
	v_fma_f64 v[14:15], v[17:18], v[73:74], v[14:15]
	v_fma_f64 v[17:18], v[33:34], v[73:74], v[57:58]
	v_fma_f64 v[14:15], v[19:20], v[75:76], v[14:15]
	v_fma_f64 v[17:18], v[35:36], v[75:76], v[17:18]
	s_waitcnt vmcnt(7)
	v_fma_f64 v[14:15], v[65:66], v[7:8], v[14:15]
	v_fma_f64 v[7:8], v[29:30], v[7:8], v[17:18]
	v_fma_f64 v[14:15], v[67:68], v[9:10], v[14:15]
	v_fma_f64 v[7:8], v[31:32], v[9:10], v[7:8]
	;; [unrolled: 5-line block ×5, first 2 shown]
	s_andn2_b32 exec_lo, exec_lo, s0
	s_cbranch_execnz .LBB146_15
; %bb.16:
	s_or_b32 exec_lo, exec_lo, s0
.LBB146_17:
	s_or_b32 exec_lo, exec_lo, s1
.LBB146_18:
	v_mbcnt_lo_u32_b32 v14, -1, 0
	v_xor_b32_e32 v6, 2, v14
	v_cmp_gt_i32_e32 vcc_lo, 32, v6
	v_cndmask_b32_e32 v6, v14, v6, vcc_lo
	v_lshlrev_b32_e32 v13, 2, v6
	ds_bpermute_b32 v6, v13, v8
	ds_bpermute_b32 v7, v13, v9
	ds_bpermute_b32 v12, v13, v10
	ds_bpermute_b32 v13, v13, v11
	s_waitcnt lgkmcnt(2)
	v_add_f64 v[6:7], v[8:9], v[6:7]
	v_xor_b32_e32 v8, 1, v14
	s_waitcnt lgkmcnt(0)
	v_add_f64 v[10:11], v[10:11], v[12:13]
	v_cmp_gt_i32_e32 vcc_lo, 32, v8
	v_cndmask_b32_e32 v8, v14, v8, vcc_lo
	v_cmp_eq_u32_e32 vcc_lo, 3, v0
	v_lshlrev_b32_e32 v13, 2, v8
	ds_bpermute_b32 v8, v13, v6
	ds_bpermute_b32 v9, v13, v7
	;; [unrolled: 1-line block ×4, first 2 shown]
	s_and_b32 exec_lo, exec_lo, vcc_lo
	s_cbranch_execz .LBB146_23
; %bb.19:
	s_waitcnt lgkmcnt(2)
	v_add_f64 v[8:9], v[6:7], v[8:9]
	s_waitcnt lgkmcnt(0)
	v_add_f64 v[6:7], v[10:11], v[12:13]
	s_load_dwordx2 s[0:1], s[4:5], 0x38
	s_mov_b32 s2, exec_lo
	v_cmpx_eq_f64_e32 0, v[3:4]
	s_xor_b32 s2, exec_lo, s2
	s_cbranch_execz .LBB146_21
; %bb.20:
	v_lshlrev_b32_e32 v0, 1, v5
	v_mul_f64 v[3:4], v[1:2], v[8:9]
	v_mul_f64 v[5:6], v[1:2], v[6:7]
                                        ; implicit-def: $vgpr8_vgpr9
	v_ashrrev_i32_e32 v1, 31, v0
	v_lshlrev_b64 v[0:1], 3, v[0:1]
	s_waitcnt lgkmcnt(0)
	v_add_co_u32 v0, vcc_lo, s0, v0
	v_add_co_ci_u32_e64 v1, null, s1, v1, vcc_lo
	global_store_dwordx4 v[0:1], v[3:6], off
                                        ; implicit-def: $vgpr5
                                        ; implicit-def: $vgpr1_vgpr2
                                        ; implicit-def: $vgpr3_vgpr4
                                        ; implicit-def: $vgpr6_vgpr7
.LBB146_21:
	s_andn2_saveexec_b32 s2, s2
	s_cbranch_execz .LBB146_23
; %bb.22:
	v_lshlrev_b32_e32 v10, 1, v5
	v_mul_f64 v[8:9], v[1:2], v[8:9]
	v_mul_f64 v[5:6], v[1:2], v[6:7]
	v_ashrrev_i32_e32 v11, 31, v10
	v_lshlrev_b64 v[10:11], 3, v[10:11]
	s_waitcnt lgkmcnt(0)
	v_add_co_u32 v14, vcc_lo, s0, v10
	v_add_co_ci_u32_e64 v15, null, s1, v11, vcc_lo
	global_load_dwordx4 v[10:13], v[14:15], off
	s_waitcnt vmcnt(0)
	v_fma_f64 v[0:1], v[3:4], v[10:11], v[8:9]
	v_fma_f64 v[2:3], v[3:4], v[12:13], v[5:6]
	global_store_dwordx4 v[14:15], v[0:3], off
.LBB146_23:
	s_endpgm
	.section	.rodata,"a",@progbits
	.p2align	6, 0x0
	.amdhsa_kernel _ZN9rocsparseL19gebsrmvn_2xn_kernelILj128ELj16ELj4EdEEvi20rocsparse_direction_NS_24const_host_device_scalarIT2_EEPKiS6_PKS3_S8_S4_PS3_21rocsparse_index_base_b
		.amdhsa_group_segment_fixed_size 0
		.amdhsa_private_segment_fixed_size 0
		.amdhsa_kernarg_size 72
		.amdhsa_user_sgpr_count 6
		.amdhsa_user_sgpr_private_segment_buffer 1
		.amdhsa_user_sgpr_dispatch_ptr 0
		.amdhsa_user_sgpr_queue_ptr 0
		.amdhsa_user_sgpr_kernarg_segment_ptr 1
		.amdhsa_user_sgpr_dispatch_id 0
		.amdhsa_user_sgpr_flat_scratch_init 0
		.amdhsa_user_sgpr_private_segment_size 0
		.amdhsa_wavefront_size32 1
		.amdhsa_uses_dynamic_stack 0
		.amdhsa_system_sgpr_private_segment_wavefront_offset 0
		.amdhsa_system_sgpr_workgroup_id_x 1
		.amdhsa_system_sgpr_workgroup_id_y 0
		.amdhsa_system_sgpr_workgroup_id_z 0
		.amdhsa_system_sgpr_workgroup_info 0
		.amdhsa_system_vgpr_workitem_id 0
		.amdhsa_next_free_vgpr 101
		.amdhsa_next_free_sgpr 16
		.amdhsa_reserve_vcc 1
		.amdhsa_reserve_flat_scratch 0
		.amdhsa_float_round_mode_32 0
		.amdhsa_float_round_mode_16_64 0
		.amdhsa_float_denorm_mode_32 3
		.amdhsa_float_denorm_mode_16_64 3
		.amdhsa_dx10_clamp 1
		.amdhsa_ieee_mode 1
		.amdhsa_fp16_overflow 0
		.amdhsa_workgroup_processor_mode 1
		.amdhsa_memory_ordered 1
		.amdhsa_forward_progress 1
		.amdhsa_shared_vgpr_count 0
		.amdhsa_exception_fp_ieee_invalid_op 0
		.amdhsa_exception_fp_denorm_src 0
		.amdhsa_exception_fp_ieee_div_zero 0
		.amdhsa_exception_fp_ieee_overflow 0
		.amdhsa_exception_fp_ieee_underflow 0
		.amdhsa_exception_fp_ieee_inexact 0
		.amdhsa_exception_int_div_zero 0
	.end_amdhsa_kernel
	.section	.text._ZN9rocsparseL19gebsrmvn_2xn_kernelILj128ELj16ELj4EdEEvi20rocsparse_direction_NS_24const_host_device_scalarIT2_EEPKiS6_PKS3_S8_S4_PS3_21rocsparse_index_base_b,"axG",@progbits,_ZN9rocsparseL19gebsrmvn_2xn_kernelILj128ELj16ELj4EdEEvi20rocsparse_direction_NS_24const_host_device_scalarIT2_EEPKiS6_PKS3_S8_S4_PS3_21rocsparse_index_base_b,comdat
.Lfunc_end146:
	.size	_ZN9rocsparseL19gebsrmvn_2xn_kernelILj128ELj16ELj4EdEEvi20rocsparse_direction_NS_24const_host_device_scalarIT2_EEPKiS6_PKS3_S8_S4_PS3_21rocsparse_index_base_b, .Lfunc_end146-_ZN9rocsparseL19gebsrmvn_2xn_kernelILj128ELj16ELj4EdEEvi20rocsparse_direction_NS_24const_host_device_scalarIT2_EEPKiS6_PKS3_S8_S4_PS3_21rocsparse_index_base_b
                                        ; -- End function
	.set _ZN9rocsparseL19gebsrmvn_2xn_kernelILj128ELj16ELj4EdEEvi20rocsparse_direction_NS_24const_host_device_scalarIT2_EEPKiS6_PKS3_S8_S4_PS3_21rocsparse_index_base_b.num_vgpr, 101
	.set _ZN9rocsparseL19gebsrmvn_2xn_kernelILj128ELj16ELj4EdEEvi20rocsparse_direction_NS_24const_host_device_scalarIT2_EEPKiS6_PKS3_S8_S4_PS3_21rocsparse_index_base_b.num_agpr, 0
	.set _ZN9rocsparseL19gebsrmvn_2xn_kernelILj128ELj16ELj4EdEEvi20rocsparse_direction_NS_24const_host_device_scalarIT2_EEPKiS6_PKS3_S8_S4_PS3_21rocsparse_index_base_b.numbered_sgpr, 16
	.set _ZN9rocsparseL19gebsrmvn_2xn_kernelILj128ELj16ELj4EdEEvi20rocsparse_direction_NS_24const_host_device_scalarIT2_EEPKiS6_PKS3_S8_S4_PS3_21rocsparse_index_base_b.num_named_barrier, 0
	.set _ZN9rocsparseL19gebsrmvn_2xn_kernelILj128ELj16ELj4EdEEvi20rocsparse_direction_NS_24const_host_device_scalarIT2_EEPKiS6_PKS3_S8_S4_PS3_21rocsparse_index_base_b.private_seg_size, 0
	.set _ZN9rocsparseL19gebsrmvn_2xn_kernelILj128ELj16ELj4EdEEvi20rocsparse_direction_NS_24const_host_device_scalarIT2_EEPKiS6_PKS3_S8_S4_PS3_21rocsparse_index_base_b.uses_vcc, 1
	.set _ZN9rocsparseL19gebsrmvn_2xn_kernelILj128ELj16ELj4EdEEvi20rocsparse_direction_NS_24const_host_device_scalarIT2_EEPKiS6_PKS3_S8_S4_PS3_21rocsparse_index_base_b.uses_flat_scratch, 0
	.set _ZN9rocsparseL19gebsrmvn_2xn_kernelILj128ELj16ELj4EdEEvi20rocsparse_direction_NS_24const_host_device_scalarIT2_EEPKiS6_PKS3_S8_S4_PS3_21rocsparse_index_base_b.has_dyn_sized_stack, 0
	.set _ZN9rocsparseL19gebsrmvn_2xn_kernelILj128ELj16ELj4EdEEvi20rocsparse_direction_NS_24const_host_device_scalarIT2_EEPKiS6_PKS3_S8_S4_PS3_21rocsparse_index_base_b.has_recursion, 0
	.set _ZN9rocsparseL19gebsrmvn_2xn_kernelILj128ELj16ELj4EdEEvi20rocsparse_direction_NS_24const_host_device_scalarIT2_EEPKiS6_PKS3_S8_S4_PS3_21rocsparse_index_base_b.has_indirect_call, 0
	.section	.AMDGPU.csdata,"",@progbits
; Kernel info:
; codeLenInByte = 2020
; TotalNumSgprs: 18
; NumVgprs: 101
; ScratchSize: 0
; MemoryBound: 1
; FloatMode: 240
; IeeeMode: 1
; LDSByteSize: 0 bytes/workgroup (compile time only)
; SGPRBlocks: 0
; VGPRBlocks: 12
; NumSGPRsForWavesPerEU: 18
; NumVGPRsForWavesPerEU: 101
; Occupancy: 9
; WaveLimiterHint : 1
; COMPUTE_PGM_RSRC2:SCRATCH_EN: 0
; COMPUTE_PGM_RSRC2:USER_SGPR: 6
; COMPUTE_PGM_RSRC2:TRAP_HANDLER: 0
; COMPUTE_PGM_RSRC2:TGID_X_EN: 1
; COMPUTE_PGM_RSRC2:TGID_Y_EN: 0
; COMPUTE_PGM_RSRC2:TGID_Z_EN: 0
; COMPUTE_PGM_RSRC2:TIDIG_COMP_CNT: 0
	.section	.text._ZN9rocsparseL19gebsrmvn_2xn_kernelILj128ELj16ELj8EdEEvi20rocsparse_direction_NS_24const_host_device_scalarIT2_EEPKiS6_PKS3_S8_S4_PS3_21rocsparse_index_base_b,"axG",@progbits,_ZN9rocsparseL19gebsrmvn_2xn_kernelILj128ELj16ELj8EdEEvi20rocsparse_direction_NS_24const_host_device_scalarIT2_EEPKiS6_PKS3_S8_S4_PS3_21rocsparse_index_base_b,comdat
	.globl	_ZN9rocsparseL19gebsrmvn_2xn_kernelILj128ELj16ELj8EdEEvi20rocsparse_direction_NS_24const_host_device_scalarIT2_EEPKiS6_PKS3_S8_S4_PS3_21rocsparse_index_base_b ; -- Begin function _ZN9rocsparseL19gebsrmvn_2xn_kernelILj128ELj16ELj8EdEEvi20rocsparse_direction_NS_24const_host_device_scalarIT2_EEPKiS6_PKS3_S8_S4_PS3_21rocsparse_index_base_b
	.p2align	8
	.type	_ZN9rocsparseL19gebsrmvn_2xn_kernelILj128ELj16ELj8EdEEvi20rocsparse_direction_NS_24const_host_device_scalarIT2_EEPKiS6_PKS3_S8_S4_PS3_21rocsparse_index_base_b,@function
_ZN9rocsparseL19gebsrmvn_2xn_kernelILj128ELj16ELj8EdEEvi20rocsparse_direction_NS_24const_host_device_scalarIT2_EEPKiS6_PKS3_S8_S4_PS3_21rocsparse_index_base_b: ; @_ZN9rocsparseL19gebsrmvn_2xn_kernelILj128ELj16ELj8EdEEvi20rocsparse_direction_NS_24const_host_device_scalarIT2_EEPKiS6_PKS3_S8_S4_PS3_21rocsparse_index_base_b
; %bb.0:
	s_clause 0x2
	s_load_dwordx2 s[2:3], s[4:5], 0x40
	s_load_dwordx2 s[8:9], s[4:5], 0x8
	;; [unrolled: 1-line block ×3, first 2 shown]
	s_waitcnt lgkmcnt(0)
	s_bitcmp1_b32 s3, 0
	v_mov_b32_e32 v1, s8
	v_mov_b32_e32 v2, s9
	s_cselect_b32 s3, -1, 0
	s_and_b32 vcc_lo, exec_lo, s3
	s_xor_b32 s3, s3, -1
	s_cbranch_vccnz .LBB147_2
; %bb.1:
	v_mov_b32_e32 v1, s8
	v_mov_b32_e32 v2, s9
	flat_load_dwordx2 v[1:2], v[1:2]
.LBB147_2:
	v_mov_b32_e32 v4, s1
	v_mov_b32_e32 v3, s0
	s_andn2_b32 vcc_lo, exec_lo, s3
	s_cbranch_vccnz .LBB147_4
; %bb.3:
	v_mov_b32_e32 v4, s1
	v_mov_b32_e32 v3, s0
	flat_load_dwordx2 v[3:4], v[3:4]
.LBB147_4:
	s_waitcnt vmcnt(0) lgkmcnt(0)
	v_cmp_neq_f64_e32 vcc_lo, 0, v[1:2]
	v_cmp_neq_f64_e64 s0, 1.0, v[3:4]
	s_or_b32 s0, vcc_lo, s0
	s_and_saveexec_b32 s1, s0
	s_cbranch_execz .LBB147_23
; %bb.5:
	s_load_dwordx2 s[0:1], s[4:5], 0x0
	v_lshrrev_b32_e32 v5, 3, v0
	v_lshl_or_b32 v5, s6, 4, v5
	s_waitcnt lgkmcnt(0)
	v_cmp_gt_i32_e32 vcc_lo, s0, v5
	s_and_b32 exec_lo, exec_lo, vcc_lo
	s_cbranch_execz .LBB147_23
; %bb.6:
	s_load_dwordx8 s[8:15], s[4:5], 0x10
	v_ashrrev_i32_e32 v6, 31, v5
	v_and_b32_e32 v0, 7, v0
	s_cmp_lg_u32 s1, 0
	v_lshlrev_b64 v[6:7], 2, v[5:6]
	s_waitcnt lgkmcnt(0)
	v_add_co_u32 v6, vcc_lo, s8, v6
	v_add_co_ci_u32_e64 v7, null, s9, v7, vcc_lo
	global_load_dwordx2 v[6:7], v[6:7], off
	s_waitcnt vmcnt(0)
	v_subrev_nc_u32_e32 v6, s2, v6
	v_subrev_nc_u32_e32 v16, s2, v7
	v_add_nc_u32_e32 v6, v6, v0
	v_cmp_lt_i32_e64 s0, v6, v16
	s_cbranch_scc0 .LBB147_12
; %bb.7:
	v_mov_b32_e32 v8, 0
	v_mov_b32_e32 v10, 0
	v_mov_b32_e32 v9, 0
	v_mov_b32_e32 v11, 0
	s_and_saveexec_b32 s1, s0
	s_cbranch_execz .LBB147_11
; %bb.8:
	v_mov_b32_e32 v8, 0
	v_mov_b32_e32 v10, 0
	v_lshlrev_b32_e32 v12, 5, v6
	v_mov_b32_e32 v9, 0
	v_mov_b32_e32 v13, 0
	v_mov_b32_e32 v11, 0
	v_mov_b32_e32 v14, v6
	s_mov_b32 s3, 0
.LBB147_9:                              ; =>This Inner Loop Header: Depth=1
	v_ashrrev_i32_e32 v15, 31, v14
	v_mov_b32_e32 v26, v13
	v_lshlrev_b64 v[17:18], 2, v[14:15]
	v_add_nc_u32_e32 v14, 8, v14
	v_add_co_u32 v17, vcc_lo, s10, v17
	v_add_co_ci_u32_e64 v18, null, s11, v18, vcc_lo
	global_load_dword v7, v[17:18], off
	v_lshlrev_b64 v[17:18], 3, v[12:13]
	v_add_nc_u32_e32 v12, 0x100, v12
	v_add_co_u32 v93, vcc_lo, s12, v17
	v_add_co_ci_u32_e64 v94, null, s13, v18, vcc_lo
	s_clause 0x1
	global_load_dwordx4 v[17:20], v[93:94], off offset:16
	global_load_dwordx4 v[21:24], v[93:94], off
	s_waitcnt vmcnt(2)
	v_subrev_nc_u32_e32 v7, s2, v7
	v_lshlrev_b32_e32 v25, 4, v7
	v_lshlrev_b64 v[25:26], 3, v[25:26]
	v_add_co_u32 v95, vcc_lo, s14, v25
	v_add_co_ci_u32_e64 v96, null, s15, v26, vcc_lo
	v_cmp_ge_i32_e32 vcc_lo, v14, v16
	global_load_dwordx4 v[25:28], v[95:96], off
	s_clause 0x1
	global_load_dwordx4 v[29:32], v[93:94], off offset:48
	global_load_dwordx4 v[33:36], v[93:94], off offset:32
	;; [unrolled: 1-line block ×5, first 2 shown]
	s_clause 0x1
	global_load_dwordx4 v[49:52], v[93:94], off offset:80
	global_load_dwordx4 v[53:56], v[93:94], off offset:96
	global_load_dwordx4 v[57:60], v[95:96], off offset:48
	s_clause 0x1
	global_load_dwordx4 v[61:64], v[93:94], off offset:112
	global_load_dwordx4 v[65:68], v[93:94], off offset:128
	global_load_dwordx4 v[69:72], v[95:96], off offset:64
	s_clause 0x1
	global_load_dwordx4 v[73:76], v[93:94], off offset:144
	global_load_dwordx4 v[77:80], v[93:94], off offset:160
	global_load_dwordx4 v[81:84], v[95:96], off offset:80
	s_clause 0x1
	global_load_dwordx4 v[85:88], v[93:94], off offset:176
	global_load_dwordx4 v[89:92], v[93:94], off offset:192
	s_or_b32 s3, vcc_lo, s3
	s_waitcnt vmcnt(16)
	v_fma_f64 v[21:22], v[21:22], v[25:26], v[8:9]
	v_fma_f64 v[23:24], v[23:24], v[25:26], v[10:11]
	global_load_dwordx4 v[7:10], v[95:96], off offset:96
	v_fma_f64 v[97:98], v[17:18], v[27:28], v[21:22]
	v_fma_f64 v[99:100], v[19:20], v[27:28], v[23:24]
	s_clause 0x1
	global_load_dwordx4 v[17:20], v[93:94], off offset:208
	global_load_dwordx4 v[21:24], v[93:94], off offset:224
	;; [unrolled: 1-line block ×3, first 2 shown]
	s_waitcnt vmcnt(17)
	v_fma_f64 v[95:96], v[33:34], v[37:38], v[97:98]
	v_fma_f64 v[37:38], v[35:36], v[37:38], v[99:100]
	global_load_dwordx4 v[33:36], v[93:94], off offset:240
	v_fma_f64 v[29:30], v[29:30], v[39:40], v[95:96]
	v_fma_f64 v[31:32], v[31:32], v[39:40], v[37:38]
	s_waitcnt vmcnt(16)
	v_fma_f64 v[29:30], v[41:42], v[45:46], v[29:30]
	v_fma_f64 v[31:32], v[43:44], v[45:46], v[31:32]
	s_waitcnt vmcnt(15)
	;; [unrolled: 3-line block ×12, first 2 shown]
	v_fma_f64 v[8:9], v[33:34], v[27:28], v[9:10]
	v_fma_f64 v[10:11], v[35:36], v[27:28], v[17:18]
	s_andn2_b32 exec_lo, exec_lo, s3
	s_cbranch_execnz .LBB147_9
; %bb.10:
	s_or_b32 exec_lo, exec_lo, s3
.LBB147_11:
	s_or_b32 exec_lo, exec_lo, s1
	s_cbranch_execz .LBB147_13
	s_branch .LBB147_18
.LBB147_12:
                                        ; implicit-def: $vgpr8_vgpr9
                                        ; implicit-def: $vgpr10_vgpr11
.LBB147_13:
	v_mov_b32_e32 v8, 0
	v_mov_b32_e32 v10, 0
	;; [unrolled: 1-line block ×4, first 2 shown]
	s_and_saveexec_b32 s1, s0
	s_cbranch_execz .LBB147_17
; %bb.14:
	v_mov_b32_e32 v8, 0
	v_mov_b32_e32 v10, 0
	v_lshlrev_b32_e32 v12, 5, v6
	v_mov_b32_e32 v9, 0
	v_mov_b32_e32 v11, 0
	;; [unrolled: 1-line block ×3, first 2 shown]
	s_mov_b32 s0, 0
.LBB147_15:                             ; =>This Inner Loop Header: Depth=1
	v_ashrrev_i32_e32 v7, 31, v6
	v_mov_b32_e32 v50, v13
	v_lshlrev_b64 v[14:15], 2, v[6:7]
	v_add_nc_u32_e32 v6, 8, v6
	v_add_co_u32 v14, vcc_lo, s10, v14
	v_add_co_ci_u32_e64 v15, null, s11, v15, vcc_lo
	global_load_dword v7, v[14:15], off
	v_lshlrev_b64 v[14:15], 3, v[12:13]
	v_add_nc_u32_e32 v12, 0x100, v12
	v_add_co_u32 v14, vcc_lo, s12, v14
	v_add_co_ci_u32_e64 v15, null, s13, v15, vcc_lo
	s_clause 0x7
	global_load_dwordx4 v[17:20], v[14:15], off offset:48
	global_load_dwordx4 v[21:24], v[14:15], off offset:32
	;; [unrolled: 1-line block ×3, first 2 shown]
	global_load_dwordx4 v[29:32], v[14:15], off
	global_load_dwordx4 v[33:36], v[14:15], off offset:176
	global_load_dwordx4 v[37:40], v[14:15], off offset:160
	;; [unrolled: 1-line block ×4, first 2 shown]
	s_waitcnt vmcnt(8)
	v_subrev_nc_u32_e32 v7, s2, v7
	v_lshlrev_b32_e32 v49, 4, v7
	v_lshlrev_b64 v[49:50], 3, v[49:50]
	v_add_co_u32 v77, vcc_lo, s14, v49
	v_add_co_ci_u32_e64 v78, null, s15, v50, vcc_lo
	v_cmp_ge_i32_e32 vcc_lo, v6, v16
	s_clause 0x2
	global_load_dwordx4 v[49:52], v[77:78], off
	global_load_dwordx4 v[53:56], v[77:78], off offset:16
	global_load_dwordx4 v[57:60], v[77:78], off offset:32
	s_clause 0x2
	global_load_dwordx4 v[61:64], v[14:15], off offset:80
	global_load_dwordx4 v[65:68], v[14:15], off offset:64
	;; [unrolled: 1-line block ×4, first 2 shown]
	s_or_b32 s0, vcc_lo, s0
	s_waitcnt vmcnt(6)
	v_fma_f64 v[7:8], v[29:30], v[49:50], v[8:9]
	v_fma_f64 v[79:80], v[31:32], v[51:52], v[7:8]
	;; [unrolled: 1-line block ×3, first 2 shown]
	global_load_dwordx4 v[29:32], v[14:15], off offset:192
	s_waitcnt vmcnt(6)
	v_fma_f64 v[25:26], v[25:26], v[53:54], v[79:80]
	v_fma_f64 v[49:50], v[47:48], v[51:52], v[7:8]
	global_load_dwordx4 v[7:10], v[77:78], off offset:64
	global_load_dwordx4 v[45:48], v[14:15], off offset:112
	v_fma_f64 v[79:80], v[27:28], v[55:56], v[25:26]
	global_load_dwordx4 v[25:28], v[77:78], off offset:80
	v_fma_f64 v[41:42], v[41:42], v[53:54], v[49:50]
	v_fma_f64 v[81:82], v[43:44], v[55:56], v[41:42]
	s_clause 0x2
	global_load_dwordx4 v[41:44], v[14:15], off offset:96
	global_load_dwordx4 v[49:52], v[14:15], off offset:240
	;; [unrolled: 1-line block ×3, first 2 shown]
	s_waitcnt vmcnt(11)
	v_fma_f64 v[14:15], v[21:22], v[57:58], v[79:80]
	v_fma_f64 v[37:38], v[37:38], v[57:58], v[81:82]
	;; [unrolled: 1-line block ×3, first 2 shown]
	global_load_dwordx4 v[21:24], v[77:78], off offset:96
	v_fma_f64 v[57:58], v[39:40], v[59:60], v[37:38]
	global_load_dwordx4 v[37:40], v[77:78], off offset:112
	s_waitcnt vmcnt(9)
	v_fma_f64 v[14:15], v[17:18], v[73:74], v[14:15]
	v_fma_f64 v[17:18], v[33:34], v[73:74], v[57:58]
	v_fma_f64 v[14:15], v[19:20], v[75:76], v[14:15]
	v_fma_f64 v[17:18], v[35:36], v[75:76], v[17:18]
	s_waitcnt vmcnt(7)
	v_fma_f64 v[14:15], v[65:66], v[7:8], v[14:15]
	v_fma_f64 v[7:8], v[29:30], v[7:8], v[17:18]
	v_fma_f64 v[14:15], v[67:68], v[9:10], v[14:15]
	v_fma_f64 v[7:8], v[31:32], v[9:10], v[7:8]
	;; [unrolled: 5-line block ×5, first 2 shown]
	s_andn2_b32 exec_lo, exec_lo, s0
	s_cbranch_execnz .LBB147_15
; %bb.16:
	s_or_b32 exec_lo, exec_lo, s0
.LBB147_17:
	s_or_b32 exec_lo, exec_lo, s1
.LBB147_18:
	v_mbcnt_lo_u32_b32 v14, -1, 0
	v_xor_b32_e32 v6, 4, v14
	v_cmp_gt_i32_e32 vcc_lo, 32, v6
	v_cndmask_b32_e32 v6, v14, v6, vcc_lo
	v_lshlrev_b32_e32 v13, 2, v6
	ds_bpermute_b32 v6, v13, v8
	ds_bpermute_b32 v7, v13, v9
	;; [unrolled: 1-line block ×4, first 2 shown]
	s_waitcnt lgkmcnt(2)
	v_add_f64 v[6:7], v[8:9], v[6:7]
	s_waitcnt lgkmcnt(0)
	v_add_f64 v[8:9], v[10:11], v[12:13]
	v_xor_b32_e32 v10, 2, v14
	v_cmp_gt_i32_e32 vcc_lo, 32, v10
	v_cndmask_b32_e32 v10, v14, v10, vcc_lo
	v_lshlrev_b32_e32 v13, 2, v10
	ds_bpermute_b32 v10, v13, v6
	ds_bpermute_b32 v11, v13, v7
	;; [unrolled: 1-line block ×4, first 2 shown]
	s_waitcnt lgkmcnt(2)
	v_add_f64 v[6:7], v[6:7], v[10:11]
	s_waitcnt lgkmcnt(0)
	v_add_f64 v[10:11], v[8:9], v[12:13]
	v_xor_b32_e32 v8, 1, v14
	v_cmp_gt_i32_e32 vcc_lo, 32, v8
	v_cndmask_b32_e32 v8, v14, v8, vcc_lo
	v_cmp_eq_u32_e32 vcc_lo, 7, v0
	v_lshlrev_b32_e32 v13, 2, v8
	ds_bpermute_b32 v8, v13, v6
	ds_bpermute_b32 v9, v13, v7
	;; [unrolled: 1-line block ×4, first 2 shown]
	s_and_b32 exec_lo, exec_lo, vcc_lo
	s_cbranch_execz .LBB147_23
; %bb.19:
	s_waitcnt lgkmcnt(2)
	v_add_f64 v[8:9], v[6:7], v[8:9]
	s_waitcnt lgkmcnt(0)
	v_add_f64 v[6:7], v[10:11], v[12:13]
	s_load_dwordx2 s[0:1], s[4:5], 0x38
	s_mov_b32 s2, exec_lo
	v_cmpx_eq_f64_e32 0, v[3:4]
	s_xor_b32 s2, exec_lo, s2
	s_cbranch_execz .LBB147_21
; %bb.20:
	v_lshlrev_b32_e32 v0, 1, v5
	v_mul_f64 v[3:4], v[1:2], v[8:9]
	v_mul_f64 v[5:6], v[1:2], v[6:7]
                                        ; implicit-def: $vgpr8_vgpr9
	v_ashrrev_i32_e32 v1, 31, v0
	v_lshlrev_b64 v[0:1], 3, v[0:1]
	s_waitcnt lgkmcnt(0)
	v_add_co_u32 v0, vcc_lo, s0, v0
	v_add_co_ci_u32_e64 v1, null, s1, v1, vcc_lo
	global_store_dwordx4 v[0:1], v[3:6], off
                                        ; implicit-def: $vgpr5
                                        ; implicit-def: $vgpr1_vgpr2
                                        ; implicit-def: $vgpr3_vgpr4
                                        ; implicit-def: $vgpr6_vgpr7
.LBB147_21:
	s_andn2_saveexec_b32 s2, s2
	s_cbranch_execz .LBB147_23
; %bb.22:
	v_lshlrev_b32_e32 v10, 1, v5
	v_mul_f64 v[8:9], v[1:2], v[8:9]
	v_mul_f64 v[5:6], v[1:2], v[6:7]
	v_ashrrev_i32_e32 v11, 31, v10
	v_lshlrev_b64 v[10:11], 3, v[10:11]
	s_waitcnt lgkmcnt(0)
	v_add_co_u32 v14, vcc_lo, s0, v10
	v_add_co_ci_u32_e64 v15, null, s1, v11, vcc_lo
	global_load_dwordx4 v[10:13], v[14:15], off
	s_waitcnt vmcnt(0)
	v_fma_f64 v[0:1], v[3:4], v[10:11], v[8:9]
	v_fma_f64 v[2:3], v[3:4], v[12:13], v[5:6]
	global_store_dwordx4 v[14:15], v[0:3], off
.LBB147_23:
	s_endpgm
	.section	.rodata,"a",@progbits
	.p2align	6, 0x0
	.amdhsa_kernel _ZN9rocsparseL19gebsrmvn_2xn_kernelILj128ELj16ELj8EdEEvi20rocsparse_direction_NS_24const_host_device_scalarIT2_EEPKiS6_PKS3_S8_S4_PS3_21rocsparse_index_base_b
		.amdhsa_group_segment_fixed_size 0
		.amdhsa_private_segment_fixed_size 0
		.amdhsa_kernarg_size 72
		.amdhsa_user_sgpr_count 6
		.amdhsa_user_sgpr_private_segment_buffer 1
		.amdhsa_user_sgpr_dispatch_ptr 0
		.amdhsa_user_sgpr_queue_ptr 0
		.amdhsa_user_sgpr_kernarg_segment_ptr 1
		.amdhsa_user_sgpr_dispatch_id 0
		.amdhsa_user_sgpr_flat_scratch_init 0
		.amdhsa_user_sgpr_private_segment_size 0
		.amdhsa_wavefront_size32 1
		.amdhsa_uses_dynamic_stack 0
		.amdhsa_system_sgpr_private_segment_wavefront_offset 0
		.amdhsa_system_sgpr_workgroup_id_x 1
		.amdhsa_system_sgpr_workgroup_id_y 0
		.amdhsa_system_sgpr_workgroup_id_z 0
		.amdhsa_system_sgpr_workgroup_info 0
		.amdhsa_system_vgpr_workitem_id 0
		.amdhsa_next_free_vgpr 101
		.amdhsa_next_free_sgpr 16
		.amdhsa_reserve_vcc 1
		.amdhsa_reserve_flat_scratch 0
		.amdhsa_float_round_mode_32 0
		.amdhsa_float_round_mode_16_64 0
		.amdhsa_float_denorm_mode_32 3
		.amdhsa_float_denorm_mode_16_64 3
		.amdhsa_dx10_clamp 1
		.amdhsa_ieee_mode 1
		.amdhsa_fp16_overflow 0
		.amdhsa_workgroup_processor_mode 1
		.amdhsa_memory_ordered 1
		.amdhsa_forward_progress 1
		.amdhsa_shared_vgpr_count 0
		.amdhsa_exception_fp_ieee_invalid_op 0
		.amdhsa_exception_fp_denorm_src 0
		.amdhsa_exception_fp_ieee_div_zero 0
		.amdhsa_exception_fp_ieee_overflow 0
		.amdhsa_exception_fp_ieee_underflow 0
		.amdhsa_exception_fp_ieee_inexact 0
		.amdhsa_exception_int_div_zero 0
	.end_amdhsa_kernel
	.section	.text._ZN9rocsparseL19gebsrmvn_2xn_kernelILj128ELj16ELj8EdEEvi20rocsparse_direction_NS_24const_host_device_scalarIT2_EEPKiS6_PKS3_S8_S4_PS3_21rocsparse_index_base_b,"axG",@progbits,_ZN9rocsparseL19gebsrmvn_2xn_kernelILj128ELj16ELj8EdEEvi20rocsparse_direction_NS_24const_host_device_scalarIT2_EEPKiS6_PKS3_S8_S4_PS3_21rocsparse_index_base_b,comdat
.Lfunc_end147:
	.size	_ZN9rocsparseL19gebsrmvn_2xn_kernelILj128ELj16ELj8EdEEvi20rocsparse_direction_NS_24const_host_device_scalarIT2_EEPKiS6_PKS3_S8_S4_PS3_21rocsparse_index_base_b, .Lfunc_end147-_ZN9rocsparseL19gebsrmvn_2xn_kernelILj128ELj16ELj8EdEEvi20rocsparse_direction_NS_24const_host_device_scalarIT2_EEPKiS6_PKS3_S8_S4_PS3_21rocsparse_index_base_b
                                        ; -- End function
	.set _ZN9rocsparseL19gebsrmvn_2xn_kernelILj128ELj16ELj8EdEEvi20rocsparse_direction_NS_24const_host_device_scalarIT2_EEPKiS6_PKS3_S8_S4_PS3_21rocsparse_index_base_b.num_vgpr, 101
	.set _ZN9rocsparseL19gebsrmvn_2xn_kernelILj128ELj16ELj8EdEEvi20rocsparse_direction_NS_24const_host_device_scalarIT2_EEPKiS6_PKS3_S8_S4_PS3_21rocsparse_index_base_b.num_agpr, 0
	.set _ZN9rocsparseL19gebsrmvn_2xn_kernelILj128ELj16ELj8EdEEvi20rocsparse_direction_NS_24const_host_device_scalarIT2_EEPKiS6_PKS3_S8_S4_PS3_21rocsparse_index_base_b.numbered_sgpr, 16
	.set _ZN9rocsparseL19gebsrmvn_2xn_kernelILj128ELj16ELj8EdEEvi20rocsparse_direction_NS_24const_host_device_scalarIT2_EEPKiS6_PKS3_S8_S4_PS3_21rocsparse_index_base_b.num_named_barrier, 0
	.set _ZN9rocsparseL19gebsrmvn_2xn_kernelILj128ELj16ELj8EdEEvi20rocsparse_direction_NS_24const_host_device_scalarIT2_EEPKiS6_PKS3_S8_S4_PS3_21rocsparse_index_base_b.private_seg_size, 0
	.set _ZN9rocsparseL19gebsrmvn_2xn_kernelILj128ELj16ELj8EdEEvi20rocsparse_direction_NS_24const_host_device_scalarIT2_EEPKiS6_PKS3_S8_S4_PS3_21rocsparse_index_base_b.uses_vcc, 1
	.set _ZN9rocsparseL19gebsrmvn_2xn_kernelILj128ELj16ELj8EdEEvi20rocsparse_direction_NS_24const_host_device_scalarIT2_EEPKiS6_PKS3_S8_S4_PS3_21rocsparse_index_base_b.uses_flat_scratch, 0
	.set _ZN9rocsparseL19gebsrmvn_2xn_kernelILj128ELj16ELj8EdEEvi20rocsparse_direction_NS_24const_host_device_scalarIT2_EEPKiS6_PKS3_S8_S4_PS3_21rocsparse_index_base_b.has_dyn_sized_stack, 0
	.set _ZN9rocsparseL19gebsrmvn_2xn_kernelILj128ELj16ELj8EdEEvi20rocsparse_direction_NS_24const_host_device_scalarIT2_EEPKiS6_PKS3_S8_S4_PS3_21rocsparse_index_base_b.has_recursion, 0
	.set _ZN9rocsparseL19gebsrmvn_2xn_kernelILj128ELj16ELj8EdEEvi20rocsparse_direction_NS_24const_host_device_scalarIT2_EEPKiS6_PKS3_S8_S4_PS3_21rocsparse_index_base_b.has_indirect_call, 0
	.section	.AMDGPU.csdata,"",@progbits
; Kernel info:
; codeLenInByte = 2092
; TotalNumSgprs: 18
; NumVgprs: 101
; ScratchSize: 0
; MemoryBound: 1
; FloatMode: 240
; IeeeMode: 1
; LDSByteSize: 0 bytes/workgroup (compile time only)
; SGPRBlocks: 0
; VGPRBlocks: 12
; NumSGPRsForWavesPerEU: 18
; NumVGPRsForWavesPerEU: 101
; Occupancy: 9
; WaveLimiterHint : 1
; COMPUTE_PGM_RSRC2:SCRATCH_EN: 0
; COMPUTE_PGM_RSRC2:USER_SGPR: 6
; COMPUTE_PGM_RSRC2:TRAP_HANDLER: 0
; COMPUTE_PGM_RSRC2:TGID_X_EN: 1
; COMPUTE_PGM_RSRC2:TGID_Y_EN: 0
; COMPUTE_PGM_RSRC2:TGID_Z_EN: 0
; COMPUTE_PGM_RSRC2:TIDIG_COMP_CNT: 0
	.section	.text._ZN9rocsparseL19gebsrmvn_2xn_kernelILj128ELj16ELj16EdEEvi20rocsparse_direction_NS_24const_host_device_scalarIT2_EEPKiS6_PKS3_S8_S4_PS3_21rocsparse_index_base_b,"axG",@progbits,_ZN9rocsparseL19gebsrmvn_2xn_kernelILj128ELj16ELj16EdEEvi20rocsparse_direction_NS_24const_host_device_scalarIT2_EEPKiS6_PKS3_S8_S4_PS3_21rocsparse_index_base_b,comdat
	.globl	_ZN9rocsparseL19gebsrmvn_2xn_kernelILj128ELj16ELj16EdEEvi20rocsparse_direction_NS_24const_host_device_scalarIT2_EEPKiS6_PKS3_S8_S4_PS3_21rocsparse_index_base_b ; -- Begin function _ZN9rocsparseL19gebsrmvn_2xn_kernelILj128ELj16ELj16EdEEvi20rocsparse_direction_NS_24const_host_device_scalarIT2_EEPKiS6_PKS3_S8_S4_PS3_21rocsparse_index_base_b
	.p2align	8
	.type	_ZN9rocsparseL19gebsrmvn_2xn_kernelILj128ELj16ELj16EdEEvi20rocsparse_direction_NS_24const_host_device_scalarIT2_EEPKiS6_PKS3_S8_S4_PS3_21rocsparse_index_base_b,@function
_ZN9rocsparseL19gebsrmvn_2xn_kernelILj128ELj16ELj16EdEEvi20rocsparse_direction_NS_24const_host_device_scalarIT2_EEPKiS6_PKS3_S8_S4_PS3_21rocsparse_index_base_b: ; @_ZN9rocsparseL19gebsrmvn_2xn_kernelILj128ELj16ELj16EdEEvi20rocsparse_direction_NS_24const_host_device_scalarIT2_EEPKiS6_PKS3_S8_S4_PS3_21rocsparse_index_base_b
; %bb.0:
	s_clause 0x2
	s_load_dwordx2 s[2:3], s[4:5], 0x40
	s_load_dwordx2 s[8:9], s[4:5], 0x8
	;; [unrolled: 1-line block ×3, first 2 shown]
	s_waitcnt lgkmcnt(0)
	s_bitcmp1_b32 s3, 0
	v_mov_b32_e32 v1, s8
	v_mov_b32_e32 v2, s9
	s_cselect_b32 s3, -1, 0
	s_and_b32 vcc_lo, exec_lo, s3
	s_xor_b32 s3, s3, -1
	s_cbranch_vccnz .LBB148_2
; %bb.1:
	v_mov_b32_e32 v1, s8
	v_mov_b32_e32 v2, s9
	flat_load_dwordx2 v[1:2], v[1:2]
.LBB148_2:
	v_mov_b32_e32 v4, s1
	v_mov_b32_e32 v3, s0
	s_andn2_b32 vcc_lo, exec_lo, s3
	s_cbranch_vccnz .LBB148_4
; %bb.3:
	v_mov_b32_e32 v4, s1
	v_mov_b32_e32 v3, s0
	flat_load_dwordx2 v[3:4], v[3:4]
.LBB148_4:
	s_waitcnt vmcnt(0) lgkmcnt(0)
	v_cmp_neq_f64_e32 vcc_lo, 0, v[1:2]
	v_cmp_neq_f64_e64 s0, 1.0, v[3:4]
	s_or_b32 s0, vcc_lo, s0
	s_and_saveexec_b32 s1, s0
	s_cbranch_execz .LBB148_23
; %bb.5:
	s_load_dwordx2 s[0:1], s[4:5], 0x0
	v_lshrrev_b32_e32 v5, 4, v0
	v_lshl_or_b32 v5, s6, 3, v5
	s_waitcnt lgkmcnt(0)
	v_cmp_gt_i32_e32 vcc_lo, s0, v5
	s_and_b32 exec_lo, exec_lo, vcc_lo
	s_cbranch_execz .LBB148_23
; %bb.6:
	s_load_dwordx8 s[8:15], s[4:5], 0x10
	v_ashrrev_i32_e32 v6, 31, v5
	v_and_b32_e32 v0, 15, v0
	s_cmp_lg_u32 s1, 0
	v_lshlrev_b64 v[6:7], 2, v[5:6]
	s_waitcnt lgkmcnt(0)
	v_add_co_u32 v6, vcc_lo, s8, v6
	v_add_co_ci_u32_e64 v7, null, s9, v7, vcc_lo
	global_load_dwordx2 v[6:7], v[6:7], off
	s_waitcnt vmcnt(0)
	v_subrev_nc_u32_e32 v6, s2, v6
	v_subrev_nc_u32_e32 v16, s2, v7
	v_add_nc_u32_e32 v6, v6, v0
	v_cmp_lt_i32_e64 s0, v6, v16
	s_cbranch_scc0 .LBB148_12
; %bb.7:
	v_mov_b32_e32 v8, 0
	v_mov_b32_e32 v10, 0
	;; [unrolled: 1-line block ×4, first 2 shown]
	s_and_saveexec_b32 s1, s0
	s_cbranch_execz .LBB148_11
; %bb.8:
	v_mov_b32_e32 v8, 0
	v_mov_b32_e32 v10, 0
	v_lshlrev_b32_e32 v12, 5, v6
	v_mov_b32_e32 v9, 0
	v_mov_b32_e32 v13, 0
	v_mov_b32_e32 v11, 0
	v_mov_b32_e32 v14, v6
	s_mov_b32 s3, 0
.LBB148_9:                              ; =>This Inner Loop Header: Depth=1
	v_ashrrev_i32_e32 v15, 31, v14
	v_mov_b32_e32 v26, v13
	v_lshlrev_b64 v[17:18], 2, v[14:15]
	v_add_nc_u32_e32 v14, 16, v14
	v_add_co_u32 v17, vcc_lo, s10, v17
	v_add_co_ci_u32_e64 v18, null, s11, v18, vcc_lo
	global_load_dword v7, v[17:18], off
	v_lshlrev_b64 v[17:18], 3, v[12:13]
	v_add_nc_u32_e32 v12, 0x200, v12
	v_add_co_u32 v93, vcc_lo, s12, v17
	v_add_co_ci_u32_e64 v94, null, s13, v18, vcc_lo
	s_clause 0x1
	global_load_dwordx4 v[17:20], v[93:94], off offset:16
	global_load_dwordx4 v[21:24], v[93:94], off
	s_waitcnt vmcnt(2)
	v_subrev_nc_u32_e32 v7, s2, v7
	v_lshlrev_b32_e32 v25, 4, v7
	v_lshlrev_b64 v[25:26], 3, v[25:26]
	v_add_co_u32 v95, vcc_lo, s14, v25
	v_add_co_ci_u32_e64 v96, null, s15, v26, vcc_lo
	v_cmp_ge_i32_e32 vcc_lo, v14, v16
	global_load_dwordx4 v[25:28], v[95:96], off
	s_clause 0x1
	global_load_dwordx4 v[29:32], v[93:94], off offset:48
	global_load_dwordx4 v[33:36], v[93:94], off offset:32
	;; [unrolled: 1-line block ×5, first 2 shown]
	s_clause 0x1
	global_load_dwordx4 v[49:52], v[93:94], off offset:80
	global_load_dwordx4 v[53:56], v[93:94], off offset:96
	global_load_dwordx4 v[57:60], v[95:96], off offset:48
	s_clause 0x1
	global_load_dwordx4 v[61:64], v[93:94], off offset:112
	global_load_dwordx4 v[65:68], v[93:94], off offset:128
	global_load_dwordx4 v[69:72], v[95:96], off offset:64
	;; [unrolled: 4-line block ×3, first 2 shown]
	s_clause 0x1
	global_load_dwordx4 v[85:88], v[93:94], off offset:176
	global_load_dwordx4 v[89:92], v[93:94], off offset:192
	s_or_b32 s3, vcc_lo, s3
	s_waitcnt vmcnt(16)
	v_fma_f64 v[21:22], v[21:22], v[25:26], v[8:9]
	v_fma_f64 v[23:24], v[23:24], v[25:26], v[10:11]
	global_load_dwordx4 v[7:10], v[95:96], off offset:96
	v_fma_f64 v[97:98], v[17:18], v[27:28], v[21:22]
	v_fma_f64 v[99:100], v[19:20], v[27:28], v[23:24]
	s_clause 0x1
	global_load_dwordx4 v[17:20], v[93:94], off offset:208
	global_load_dwordx4 v[21:24], v[93:94], off offset:224
	;; [unrolled: 1-line block ×3, first 2 shown]
	s_waitcnt vmcnt(17)
	v_fma_f64 v[95:96], v[33:34], v[37:38], v[97:98]
	v_fma_f64 v[37:38], v[35:36], v[37:38], v[99:100]
	global_load_dwordx4 v[33:36], v[93:94], off offset:240
	v_fma_f64 v[29:30], v[29:30], v[39:40], v[95:96]
	v_fma_f64 v[31:32], v[31:32], v[39:40], v[37:38]
	s_waitcnt vmcnt(16)
	v_fma_f64 v[29:30], v[41:42], v[45:46], v[29:30]
	v_fma_f64 v[31:32], v[43:44], v[45:46], v[31:32]
	s_waitcnt vmcnt(15)
	;; [unrolled: 3-line block ×12, first 2 shown]
	v_fma_f64 v[8:9], v[33:34], v[27:28], v[9:10]
	v_fma_f64 v[10:11], v[35:36], v[27:28], v[17:18]
	s_andn2_b32 exec_lo, exec_lo, s3
	s_cbranch_execnz .LBB148_9
; %bb.10:
	s_or_b32 exec_lo, exec_lo, s3
.LBB148_11:
	s_or_b32 exec_lo, exec_lo, s1
	s_cbranch_execz .LBB148_13
	s_branch .LBB148_18
.LBB148_12:
                                        ; implicit-def: $vgpr8_vgpr9
                                        ; implicit-def: $vgpr10_vgpr11
.LBB148_13:
	v_mov_b32_e32 v8, 0
	v_mov_b32_e32 v10, 0
	;; [unrolled: 1-line block ×4, first 2 shown]
	s_and_saveexec_b32 s1, s0
	s_cbranch_execz .LBB148_17
; %bb.14:
	v_mov_b32_e32 v8, 0
	v_mov_b32_e32 v10, 0
	v_lshlrev_b32_e32 v12, 5, v6
	v_mov_b32_e32 v9, 0
	v_mov_b32_e32 v11, 0
	;; [unrolled: 1-line block ×3, first 2 shown]
	s_mov_b32 s0, 0
.LBB148_15:                             ; =>This Inner Loop Header: Depth=1
	v_ashrrev_i32_e32 v7, 31, v6
	v_mov_b32_e32 v50, v13
	v_lshlrev_b64 v[14:15], 2, v[6:7]
	v_add_nc_u32_e32 v6, 16, v6
	v_add_co_u32 v14, vcc_lo, s10, v14
	v_add_co_ci_u32_e64 v15, null, s11, v15, vcc_lo
	global_load_dword v7, v[14:15], off
	v_lshlrev_b64 v[14:15], 3, v[12:13]
	v_add_nc_u32_e32 v12, 0x200, v12
	v_add_co_u32 v14, vcc_lo, s12, v14
	v_add_co_ci_u32_e64 v15, null, s13, v15, vcc_lo
	s_clause 0x7
	global_load_dwordx4 v[17:20], v[14:15], off offset:48
	global_load_dwordx4 v[21:24], v[14:15], off offset:32
	;; [unrolled: 1-line block ×3, first 2 shown]
	global_load_dwordx4 v[29:32], v[14:15], off
	global_load_dwordx4 v[33:36], v[14:15], off offset:176
	global_load_dwordx4 v[37:40], v[14:15], off offset:160
	global_load_dwordx4 v[41:44], v[14:15], off offset:144
	global_load_dwordx4 v[45:48], v[14:15], off offset:128
	s_waitcnt vmcnt(8)
	v_subrev_nc_u32_e32 v7, s2, v7
	v_lshlrev_b32_e32 v49, 4, v7
	v_lshlrev_b64 v[49:50], 3, v[49:50]
	v_add_co_u32 v77, vcc_lo, s14, v49
	v_add_co_ci_u32_e64 v78, null, s15, v50, vcc_lo
	v_cmp_ge_i32_e32 vcc_lo, v6, v16
	s_clause 0x2
	global_load_dwordx4 v[49:52], v[77:78], off
	global_load_dwordx4 v[53:56], v[77:78], off offset:16
	global_load_dwordx4 v[57:60], v[77:78], off offset:32
	s_clause 0x2
	global_load_dwordx4 v[61:64], v[14:15], off offset:80
	global_load_dwordx4 v[65:68], v[14:15], off offset:64
	;; [unrolled: 1-line block ×4, first 2 shown]
	s_or_b32 s0, vcc_lo, s0
	s_waitcnt vmcnt(6)
	v_fma_f64 v[7:8], v[29:30], v[49:50], v[8:9]
	v_fma_f64 v[79:80], v[31:32], v[51:52], v[7:8]
	;; [unrolled: 1-line block ×3, first 2 shown]
	global_load_dwordx4 v[29:32], v[14:15], off offset:192
	s_waitcnt vmcnt(6)
	v_fma_f64 v[25:26], v[25:26], v[53:54], v[79:80]
	v_fma_f64 v[49:50], v[47:48], v[51:52], v[7:8]
	global_load_dwordx4 v[7:10], v[77:78], off offset:64
	global_load_dwordx4 v[45:48], v[14:15], off offset:112
	v_fma_f64 v[79:80], v[27:28], v[55:56], v[25:26]
	global_load_dwordx4 v[25:28], v[77:78], off offset:80
	v_fma_f64 v[41:42], v[41:42], v[53:54], v[49:50]
	v_fma_f64 v[81:82], v[43:44], v[55:56], v[41:42]
	s_clause 0x2
	global_load_dwordx4 v[41:44], v[14:15], off offset:96
	global_load_dwordx4 v[49:52], v[14:15], off offset:240
	;; [unrolled: 1-line block ×3, first 2 shown]
	s_waitcnt vmcnt(11)
	v_fma_f64 v[14:15], v[21:22], v[57:58], v[79:80]
	v_fma_f64 v[37:38], v[37:38], v[57:58], v[81:82]
	;; [unrolled: 1-line block ×3, first 2 shown]
	global_load_dwordx4 v[21:24], v[77:78], off offset:96
	v_fma_f64 v[57:58], v[39:40], v[59:60], v[37:38]
	global_load_dwordx4 v[37:40], v[77:78], off offset:112
	s_waitcnt vmcnt(9)
	v_fma_f64 v[14:15], v[17:18], v[73:74], v[14:15]
	v_fma_f64 v[17:18], v[33:34], v[73:74], v[57:58]
	v_fma_f64 v[14:15], v[19:20], v[75:76], v[14:15]
	v_fma_f64 v[17:18], v[35:36], v[75:76], v[17:18]
	s_waitcnt vmcnt(7)
	v_fma_f64 v[14:15], v[65:66], v[7:8], v[14:15]
	v_fma_f64 v[7:8], v[29:30], v[7:8], v[17:18]
	v_fma_f64 v[14:15], v[67:68], v[9:10], v[14:15]
	v_fma_f64 v[7:8], v[31:32], v[9:10], v[7:8]
	;; [unrolled: 5-line block ×5, first 2 shown]
	s_andn2_b32 exec_lo, exec_lo, s0
	s_cbranch_execnz .LBB148_15
; %bb.16:
	s_or_b32 exec_lo, exec_lo, s0
.LBB148_17:
	s_or_b32 exec_lo, exec_lo, s1
.LBB148_18:
	v_mbcnt_lo_u32_b32 v14, -1, 0
	v_xor_b32_e32 v6, 8, v14
	v_cmp_gt_i32_e32 vcc_lo, 32, v6
	v_cndmask_b32_e32 v6, v14, v6, vcc_lo
	v_lshlrev_b32_e32 v13, 2, v6
	ds_bpermute_b32 v6, v13, v8
	ds_bpermute_b32 v7, v13, v9
	;; [unrolled: 1-line block ×4, first 2 shown]
	s_waitcnt lgkmcnt(2)
	v_add_f64 v[6:7], v[8:9], v[6:7]
	s_waitcnt lgkmcnt(0)
	v_add_f64 v[8:9], v[10:11], v[12:13]
	v_xor_b32_e32 v10, 4, v14
	v_cmp_gt_i32_e32 vcc_lo, 32, v10
	v_cndmask_b32_e32 v10, v14, v10, vcc_lo
	v_lshlrev_b32_e32 v13, 2, v10
	ds_bpermute_b32 v10, v13, v6
	ds_bpermute_b32 v11, v13, v7
	;; [unrolled: 1-line block ×4, first 2 shown]
	s_waitcnt lgkmcnt(2)
	v_add_f64 v[6:7], v[6:7], v[10:11]
	v_xor_b32_e32 v10, 2, v14
	s_waitcnt lgkmcnt(0)
	v_add_f64 v[8:9], v[8:9], v[12:13]
	v_cmp_gt_i32_e32 vcc_lo, 32, v10
	v_cndmask_b32_e32 v10, v14, v10, vcc_lo
	v_lshlrev_b32_e32 v13, 2, v10
	ds_bpermute_b32 v10, v13, v6
	ds_bpermute_b32 v11, v13, v7
	;; [unrolled: 1-line block ×4, first 2 shown]
	s_waitcnt lgkmcnt(2)
	v_add_f64 v[6:7], v[6:7], v[10:11]
	s_waitcnt lgkmcnt(0)
	v_add_f64 v[10:11], v[8:9], v[12:13]
	v_xor_b32_e32 v8, 1, v14
	v_cmp_gt_i32_e32 vcc_lo, 32, v8
	v_cndmask_b32_e32 v8, v14, v8, vcc_lo
	v_cmp_eq_u32_e32 vcc_lo, 15, v0
	v_lshlrev_b32_e32 v13, 2, v8
	ds_bpermute_b32 v8, v13, v6
	ds_bpermute_b32 v9, v13, v7
	;; [unrolled: 1-line block ×4, first 2 shown]
	s_and_b32 exec_lo, exec_lo, vcc_lo
	s_cbranch_execz .LBB148_23
; %bb.19:
	s_waitcnt lgkmcnt(2)
	v_add_f64 v[8:9], v[6:7], v[8:9]
	s_waitcnt lgkmcnt(0)
	v_add_f64 v[6:7], v[10:11], v[12:13]
	s_load_dwordx2 s[0:1], s[4:5], 0x38
	s_mov_b32 s2, exec_lo
	v_cmpx_eq_f64_e32 0, v[3:4]
	s_xor_b32 s2, exec_lo, s2
	s_cbranch_execz .LBB148_21
; %bb.20:
	v_lshlrev_b32_e32 v0, 1, v5
	v_mul_f64 v[3:4], v[1:2], v[8:9]
	v_mul_f64 v[5:6], v[1:2], v[6:7]
                                        ; implicit-def: $vgpr8_vgpr9
	v_ashrrev_i32_e32 v1, 31, v0
	v_lshlrev_b64 v[0:1], 3, v[0:1]
	s_waitcnt lgkmcnt(0)
	v_add_co_u32 v0, vcc_lo, s0, v0
	v_add_co_ci_u32_e64 v1, null, s1, v1, vcc_lo
	global_store_dwordx4 v[0:1], v[3:6], off
                                        ; implicit-def: $vgpr5
                                        ; implicit-def: $vgpr1_vgpr2
                                        ; implicit-def: $vgpr3_vgpr4
                                        ; implicit-def: $vgpr6_vgpr7
.LBB148_21:
	s_andn2_saveexec_b32 s2, s2
	s_cbranch_execz .LBB148_23
; %bb.22:
	v_lshlrev_b32_e32 v10, 1, v5
	v_mul_f64 v[8:9], v[1:2], v[8:9]
	v_mul_f64 v[5:6], v[1:2], v[6:7]
	v_ashrrev_i32_e32 v11, 31, v10
	v_lshlrev_b64 v[10:11], 3, v[10:11]
	s_waitcnt lgkmcnt(0)
	v_add_co_u32 v14, vcc_lo, s0, v10
	v_add_co_ci_u32_e64 v15, null, s1, v11, vcc_lo
	global_load_dwordx4 v[10:13], v[14:15], off
	s_waitcnt vmcnt(0)
	v_fma_f64 v[0:1], v[3:4], v[10:11], v[8:9]
	v_fma_f64 v[2:3], v[3:4], v[12:13], v[5:6]
	global_store_dwordx4 v[14:15], v[0:3], off
.LBB148_23:
	s_endpgm
	.section	.rodata,"a",@progbits
	.p2align	6, 0x0
	.amdhsa_kernel _ZN9rocsparseL19gebsrmvn_2xn_kernelILj128ELj16ELj16EdEEvi20rocsparse_direction_NS_24const_host_device_scalarIT2_EEPKiS6_PKS3_S8_S4_PS3_21rocsparse_index_base_b
		.amdhsa_group_segment_fixed_size 0
		.amdhsa_private_segment_fixed_size 0
		.amdhsa_kernarg_size 72
		.amdhsa_user_sgpr_count 6
		.amdhsa_user_sgpr_private_segment_buffer 1
		.amdhsa_user_sgpr_dispatch_ptr 0
		.amdhsa_user_sgpr_queue_ptr 0
		.amdhsa_user_sgpr_kernarg_segment_ptr 1
		.amdhsa_user_sgpr_dispatch_id 0
		.amdhsa_user_sgpr_flat_scratch_init 0
		.amdhsa_user_sgpr_private_segment_size 0
		.amdhsa_wavefront_size32 1
		.amdhsa_uses_dynamic_stack 0
		.amdhsa_system_sgpr_private_segment_wavefront_offset 0
		.amdhsa_system_sgpr_workgroup_id_x 1
		.amdhsa_system_sgpr_workgroup_id_y 0
		.amdhsa_system_sgpr_workgroup_id_z 0
		.amdhsa_system_sgpr_workgroup_info 0
		.amdhsa_system_vgpr_workitem_id 0
		.amdhsa_next_free_vgpr 101
		.amdhsa_next_free_sgpr 16
		.amdhsa_reserve_vcc 1
		.amdhsa_reserve_flat_scratch 0
		.amdhsa_float_round_mode_32 0
		.amdhsa_float_round_mode_16_64 0
		.amdhsa_float_denorm_mode_32 3
		.amdhsa_float_denorm_mode_16_64 3
		.amdhsa_dx10_clamp 1
		.amdhsa_ieee_mode 1
		.amdhsa_fp16_overflow 0
		.amdhsa_workgroup_processor_mode 1
		.amdhsa_memory_ordered 1
		.amdhsa_forward_progress 1
		.amdhsa_shared_vgpr_count 0
		.amdhsa_exception_fp_ieee_invalid_op 0
		.amdhsa_exception_fp_denorm_src 0
		.amdhsa_exception_fp_ieee_div_zero 0
		.amdhsa_exception_fp_ieee_overflow 0
		.amdhsa_exception_fp_ieee_underflow 0
		.amdhsa_exception_fp_ieee_inexact 0
		.amdhsa_exception_int_div_zero 0
	.end_amdhsa_kernel
	.section	.text._ZN9rocsparseL19gebsrmvn_2xn_kernelILj128ELj16ELj16EdEEvi20rocsparse_direction_NS_24const_host_device_scalarIT2_EEPKiS6_PKS3_S8_S4_PS3_21rocsparse_index_base_b,"axG",@progbits,_ZN9rocsparseL19gebsrmvn_2xn_kernelILj128ELj16ELj16EdEEvi20rocsparse_direction_NS_24const_host_device_scalarIT2_EEPKiS6_PKS3_S8_S4_PS3_21rocsparse_index_base_b,comdat
.Lfunc_end148:
	.size	_ZN9rocsparseL19gebsrmvn_2xn_kernelILj128ELj16ELj16EdEEvi20rocsparse_direction_NS_24const_host_device_scalarIT2_EEPKiS6_PKS3_S8_S4_PS3_21rocsparse_index_base_b, .Lfunc_end148-_ZN9rocsparseL19gebsrmvn_2xn_kernelILj128ELj16ELj16EdEEvi20rocsparse_direction_NS_24const_host_device_scalarIT2_EEPKiS6_PKS3_S8_S4_PS3_21rocsparse_index_base_b
                                        ; -- End function
	.set _ZN9rocsparseL19gebsrmvn_2xn_kernelILj128ELj16ELj16EdEEvi20rocsparse_direction_NS_24const_host_device_scalarIT2_EEPKiS6_PKS3_S8_S4_PS3_21rocsparse_index_base_b.num_vgpr, 101
	.set _ZN9rocsparseL19gebsrmvn_2xn_kernelILj128ELj16ELj16EdEEvi20rocsparse_direction_NS_24const_host_device_scalarIT2_EEPKiS6_PKS3_S8_S4_PS3_21rocsparse_index_base_b.num_agpr, 0
	.set _ZN9rocsparseL19gebsrmvn_2xn_kernelILj128ELj16ELj16EdEEvi20rocsparse_direction_NS_24const_host_device_scalarIT2_EEPKiS6_PKS3_S8_S4_PS3_21rocsparse_index_base_b.numbered_sgpr, 16
	.set _ZN9rocsparseL19gebsrmvn_2xn_kernelILj128ELj16ELj16EdEEvi20rocsparse_direction_NS_24const_host_device_scalarIT2_EEPKiS6_PKS3_S8_S4_PS3_21rocsparse_index_base_b.num_named_barrier, 0
	.set _ZN9rocsparseL19gebsrmvn_2xn_kernelILj128ELj16ELj16EdEEvi20rocsparse_direction_NS_24const_host_device_scalarIT2_EEPKiS6_PKS3_S8_S4_PS3_21rocsparse_index_base_b.private_seg_size, 0
	.set _ZN9rocsparseL19gebsrmvn_2xn_kernelILj128ELj16ELj16EdEEvi20rocsparse_direction_NS_24const_host_device_scalarIT2_EEPKiS6_PKS3_S8_S4_PS3_21rocsparse_index_base_b.uses_vcc, 1
	.set _ZN9rocsparseL19gebsrmvn_2xn_kernelILj128ELj16ELj16EdEEvi20rocsparse_direction_NS_24const_host_device_scalarIT2_EEPKiS6_PKS3_S8_S4_PS3_21rocsparse_index_base_b.uses_flat_scratch, 0
	.set _ZN9rocsparseL19gebsrmvn_2xn_kernelILj128ELj16ELj16EdEEvi20rocsparse_direction_NS_24const_host_device_scalarIT2_EEPKiS6_PKS3_S8_S4_PS3_21rocsparse_index_base_b.has_dyn_sized_stack, 0
	.set _ZN9rocsparseL19gebsrmvn_2xn_kernelILj128ELj16ELj16EdEEvi20rocsparse_direction_NS_24const_host_device_scalarIT2_EEPKiS6_PKS3_S8_S4_PS3_21rocsparse_index_base_b.has_recursion, 0
	.set _ZN9rocsparseL19gebsrmvn_2xn_kernelILj128ELj16ELj16EdEEvi20rocsparse_direction_NS_24const_host_device_scalarIT2_EEPKiS6_PKS3_S8_S4_PS3_21rocsparse_index_base_b.has_indirect_call, 0
	.section	.AMDGPU.csdata,"",@progbits
; Kernel info:
; codeLenInByte = 2164
; TotalNumSgprs: 18
; NumVgprs: 101
; ScratchSize: 0
; MemoryBound: 1
; FloatMode: 240
; IeeeMode: 1
; LDSByteSize: 0 bytes/workgroup (compile time only)
; SGPRBlocks: 0
; VGPRBlocks: 12
; NumSGPRsForWavesPerEU: 18
; NumVGPRsForWavesPerEU: 101
; Occupancy: 9
; WaveLimiterHint : 1
; COMPUTE_PGM_RSRC2:SCRATCH_EN: 0
; COMPUTE_PGM_RSRC2:USER_SGPR: 6
; COMPUTE_PGM_RSRC2:TRAP_HANDLER: 0
; COMPUTE_PGM_RSRC2:TGID_X_EN: 1
; COMPUTE_PGM_RSRC2:TGID_Y_EN: 0
; COMPUTE_PGM_RSRC2:TGID_Z_EN: 0
; COMPUTE_PGM_RSRC2:TIDIG_COMP_CNT: 0
	.section	.text._ZN9rocsparseL19gebsrmvn_2xn_kernelILj128ELj16ELj32EdEEvi20rocsparse_direction_NS_24const_host_device_scalarIT2_EEPKiS6_PKS3_S8_S4_PS3_21rocsparse_index_base_b,"axG",@progbits,_ZN9rocsparseL19gebsrmvn_2xn_kernelILj128ELj16ELj32EdEEvi20rocsparse_direction_NS_24const_host_device_scalarIT2_EEPKiS6_PKS3_S8_S4_PS3_21rocsparse_index_base_b,comdat
	.globl	_ZN9rocsparseL19gebsrmvn_2xn_kernelILj128ELj16ELj32EdEEvi20rocsparse_direction_NS_24const_host_device_scalarIT2_EEPKiS6_PKS3_S8_S4_PS3_21rocsparse_index_base_b ; -- Begin function _ZN9rocsparseL19gebsrmvn_2xn_kernelILj128ELj16ELj32EdEEvi20rocsparse_direction_NS_24const_host_device_scalarIT2_EEPKiS6_PKS3_S8_S4_PS3_21rocsparse_index_base_b
	.p2align	8
	.type	_ZN9rocsparseL19gebsrmvn_2xn_kernelILj128ELj16ELj32EdEEvi20rocsparse_direction_NS_24const_host_device_scalarIT2_EEPKiS6_PKS3_S8_S4_PS3_21rocsparse_index_base_b,@function
_ZN9rocsparseL19gebsrmvn_2xn_kernelILj128ELj16ELj32EdEEvi20rocsparse_direction_NS_24const_host_device_scalarIT2_EEPKiS6_PKS3_S8_S4_PS3_21rocsparse_index_base_b: ; @_ZN9rocsparseL19gebsrmvn_2xn_kernelILj128ELj16ELj32EdEEvi20rocsparse_direction_NS_24const_host_device_scalarIT2_EEPKiS6_PKS3_S8_S4_PS3_21rocsparse_index_base_b
; %bb.0:
	s_clause 0x2
	s_load_dwordx2 s[2:3], s[4:5], 0x40
	s_load_dwordx2 s[8:9], s[4:5], 0x8
	;; [unrolled: 1-line block ×3, first 2 shown]
	s_waitcnt lgkmcnt(0)
	s_bitcmp1_b32 s3, 0
	v_mov_b32_e32 v1, s8
	v_mov_b32_e32 v2, s9
	s_cselect_b32 s3, -1, 0
	s_and_b32 vcc_lo, exec_lo, s3
	s_xor_b32 s3, s3, -1
	s_cbranch_vccnz .LBB149_2
; %bb.1:
	v_mov_b32_e32 v1, s8
	v_mov_b32_e32 v2, s9
	flat_load_dwordx2 v[1:2], v[1:2]
.LBB149_2:
	v_mov_b32_e32 v4, s1
	v_mov_b32_e32 v3, s0
	s_andn2_b32 vcc_lo, exec_lo, s3
	s_cbranch_vccnz .LBB149_4
; %bb.3:
	v_mov_b32_e32 v4, s1
	v_mov_b32_e32 v3, s0
	flat_load_dwordx2 v[3:4], v[3:4]
.LBB149_4:
	s_waitcnt vmcnt(0) lgkmcnt(0)
	v_cmp_neq_f64_e32 vcc_lo, 0, v[1:2]
	v_cmp_neq_f64_e64 s0, 1.0, v[3:4]
	s_or_b32 s0, vcc_lo, s0
	s_and_saveexec_b32 s1, s0
	s_cbranch_execz .LBB149_23
; %bb.5:
	s_load_dwordx2 s[0:1], s[4:5], 0x0
	v_lshrrev_b32_e32 v5, 5, v0
	v_lshl_or_b32 v5, s6, 2, v5
	s_waitcnt lgkmcnt(0)
	v_cmp_gt_i32_e32 vcc_lo, s0, v5
	s_and_b32 exec_lo, exec_lo, vcc_lo
	s_cbranch_execz .LBB149_23
; %bb.6:
	s_load_dwordx8 s[8:15], s[4:5], 0x10
	v_ashrrev_i32_e32 v6, 31, v5
	v_and_b32_e32 v0, 31, v0
	s_cmp_lg_u32 s1, 0
	v_lshlrev_b64 v[6:7], 2, v[5:6]
	s_waitcnt lgkmcnt(0)
	v_add_co_u32 v6, vcc_lo, s8, v6
	v_add_co_ci_u32_e64 v7, null, s9, v7, vcc_lo
	global_load_dwordx2 v[6:7], v[6:7], off
	s_waitcnt vmcnt(0)
	v_subrev_nc_u32_e32 v6, s2, v6
	v_subrev_nc_u32_e32 v16, s2, v7
	v_add_nc_u32_e32 v6, v6, v0
	v_cmp_lt_i32_e64 s0, v6, v16
	s_cbranch_scc0 .LBB149_12
; %bb.7:
	v_mov_b32_e32 v8, 0
	v_mov_b32_e32 v10, 0
	;; [unrolled: 1-line block ×4, first 2 shown]
	s_and_saveexec_b32 s1, s0
	s_cbranch_execz .LBB149_11
; %bb.8:
	v_mov_b32_e32 v8, 0
	v_mov_b32_e32 v10, 0
	v_lshlrev_b32_e32 v12, 5, v6
	v_mov_b32_e32 v9, 0
	v_mov_b32_e32 v13, 0
	;; [unrolled: 1-line block ×4, first 2 shown]
	s_mov_b32 s3, 0
.LBB149_9:                              ; =>This Inner Loop Header: Depth=1
	v_ashrrev_i32_e32 v15, 31, v14
	v_mov_b32_e32 v26, v13
	v_lshlrev_b64 v[17:18], 2, v[14:15]
	v_add_nc_u32_e32 v14, 32, v14
	v_add_co_u32 v17, vcc_lo, s10, v17
	v_add_co_ci_u32_e64 v18, null, s11, v18, vcc_lo
	global_load_dword v7, v[17:18], off
	v_lshlrev_b64 v[17:18], 3, v[12:13]
	v_add_nc_u32_e32 v12, 0x400, v12
	v_add_co_u32 v93, vcc_lo, s12, v17
	v_add_co_ci_u32_e64 v94, null, s13, v18, vcc_lo
	s_clause 0x1
	global_load_dwordx4 v[17:20], v[93:94], off offset:16
	global_load_dwordx4 v[21:24], v[93:94], off
	s_waitcnt vmcnt(2)
	v_subrev_nc_u32_e32 v7, s2, v7
	v_lshlrev_b32_e32 v25, 4, v7
	v_lshlrev_b64 v[25:26], 3, v[25:26]
	v_add_co_u32 v95, vcc_lo, s14, v25
	v_add_co_ci_u32_e64 v96, null, s15, v26, vcc_lo
	v_cmp_ge_i32_e32 vcc_lo, v14, v16
	global_load_dwordx4 v[25:28], v[95:96], off
	s_clause 0x1
	global_load_dwordx4 v[29:32], v[93:94], off offset:48
	global_load_dwordx4 v[33:36], v[93:94], off offset:32
	;; [unrolled: 1-line block ×5, first 2 shown]
	s_clause 0x1
	global_load_dwordx4 v[49:52], v[93:94], off offset:80
	global_load_dwordx4 v[53:56], v[93:94], off offset:96
	global_load_dwordx4 v[57:60], v[95:96], off offset:48
	s_clause 0x1
	global_load_dwordx4 v[61:64], v[93:94], off offset:112
	global_load_dwordx4 v[65:68], v[93:94], off offset:128
	global_load_dwordx4 v[69:72], v[95:96], off offset:64
	;; [unrolled: 4-line block ×3, first 2 shown]
	s_clause 0x1
	global_load_dwordx4 v[85:88], v[93:94], off offset:176
	global_load_dwordx4 v[89:92], v[93:94], off offset:192
	s_or_b32 s3, vcc_lo, s3
	s_waitcnt vmcnt(16)
	v_fma_f64 v[21:22], v[21:22], v[25:26], v[8:9]
	v_fma_f64 v[23:24], v[23:24], v[25:26], v[10:11]
	global_load_dwordx4 v[7:10], v[95:96], off offset:96
	v_fma_f64 v[97:98], v[17:18], v[27:28], v[21:22]
	v_fma_f64 v[99:100], v[19:20], v[27:28], v[23:24]
	s_clause 0x1
	global_load_dwordx4 v[17:20], v[93:94], off offset:208
	global_load_dwordx4 v[21:24], v[93:94], off offset:224
	;; [unrolled: 1-line block ×3, first 2 shown]
	s_waitcnt vmcnt(17)
	v_fma_f64 v[95:96], v[33:34], v[37:38], v[97:98]
	v_fma_f64 v[37:38], v[35:36], v[37:38], v[99:100]
	global_load_dwordx4 v[33:36], v[93:94], off offset:240
	v_fma_f64 v[29:30], v[29:30], v[39:40], v[95:96]
	v_fma_f64 v[31:32], v[31:32], v[39:40], v[37:38]
	s_waitcnt vmcnt(16)
	v_fma_f64 v[29:30], v[41:42], v[45:46], v[29:30]
	v_fma_f64 v[31:32], v[43:44], v[45:46], v[31:32]
	s_waitcnt vmcnt(15)
	v_fma_f64 v[29:30], v[49:50], v[47:48], v[29:30]
	v_fma_f64 v[31:32], v[51:52], v[47:48], v[31:32]
	s_waitcnt vmcnt(13)
	v_fma_f64 v[29:30], v[53:54], v[57:58], v[29:30]
	v_fma_f64 v[31:32], v[55:56], v[57:58], v[31:32]
	s_waitcnt vmcnt(12)
	v_fma_f64 v[29:30], v[61:62], v[59:60], v[29:30]
	v_fma_f64 v[31:32], v[63:64], v[59:60], v[31:32]
	s_waitcnt vmcnt(10)
	v_fma_f64 v[29:30], v[65:66], v[69:70], v[29:30]
	v_fma_f64 v[31:32], v[67:68], v[69:70], v[31:32]
	s_waitcnt vmcnt(9)
	v_fma_f64 v[29:30], v[73:74], v[71:72], v[29:30]
	v_fma_f64 v[31:32], v[75:76], v[71:72], v[31:32]
	s_waitcnt vmcnt(7)
	v_fma_f64 v[29:30], v[77:78], v[81:82], v[29:30]
	v_fma_f64 v[31:32], v[79:80], v[81:82], v[31:32]
	s_waitcnt vmcnt(6)
	v_fma_f64 v[29:30], v[85:86], v[83:84], v[29:30]
	v_fma_f64 v[31:32], v[87:88], v[83:84], v[31:32]
	s_waitcnt vmcnt(4)
	v_fma_f64 v[29:30], v[89:90], v[7:8], v[29:30]
	v_fma_f64 v[7:8], v[91:92], v[7:8], v[31:32]
	s_waitcnt vmcnt(3)
	v_fma_f64 v[17:18], v[17:18], v[9:10], v[29:30]
	v_fma_f64 v[7:8], v[19:20], v[9:10], v[7:8]
	s_waitcnt vmcnt(1)
	v_fma_f64 v[9:10], v[21:22], v[25:26], v[17:18]
	v_fma_f64 v[17:18], v[23:24], v[25:26], v[7:8]
	s_waitcnt vmcnt(0)
	v_fma_f64 v[8:9], v[33:34], v[27:28], v[9:10]
	v_fma_f64 v[10:11], v[35:36], v[27:28], v[17:18]
	s_andn2_b32 exec_lo, exec_lo, s3
	s_cbranch_execnz .LBB149_9
; %bb.10:
	s_or_b32 exec_lo, exec_lo, s3
.LBB149_11:
	s_or_b32 exec_lo, exec_lo, s1
	s_cbranch_execz .LBB149_13
	s_branch .LBB149_18
.LBB149_12:
                                        ; implicit-def: $vgpr8_vgpr9
                                        ; implicit-def: $vgpr10_vgpr11
.LBB149_13:
	v_mov_b32_e32 v8, 0
	v_mov_b32_e32 v10, 0
	;; [unrolled: 1-line block ×4, first 2 shown]
	s_and_saveexec_b32 s1, s0
	s_cbranch_execz .LBB149_17
; %bb.14:
	v_mov_b32_e32 v8, 0
	v_mov_b32_e32 v10, 0
	v_lshlrev_b32_e32 v12, 5, v6
	v_mov_b32_e32 v9, 0
	v_mov_b32_e32 v11, 0
	;; [unrolled: 1-line block ×3, first 2 shown]
	s_mov_b32 s0, 0
.LBB149_15:                             ; =>This Inner Loop Header: Depth=1
	v_ashrrev_i32_e32 v7, 31, v6
	v_mov_b32_e32 v50, v13
	v_lshlrev_b64 v[14:15], 2, v[6:7]
	v_add_nc_u32_e32 v6, 32, v6
	v_add_co_u32 v14, vcc_lo, s10, v14
	v_add_co_ci_u32_e64 v15, null, s11, v15, vcc_lo
	global_load_dword v7, v[14:15], off
	v_lshlrev_b64 v[14:15], 3, v[12:13]
	v_add_nc_u32_e32 v12, 0x400, v12
	v_add_co_u32 v14, vcc_lo, s12, v14
	v_add_co_ci_u32_e64 v15, null, s13, v15, vcc_lo
	s_clause 0x7
	global_load_dwordx4 v[17:20], v[14:15], off offset:48
	global_load_dwordx4 v[21:24], v[14:15], off offset:32
	global_load_dwordx4 v[25:28], v[14:15], off offset:16
	global_load_dwordx4 v[29:32], v[14:15], off
	global_load_dwordx4 v[33:36], v[14:15], off offset:176
	global_load_dwordx4 v[37:40], v[14:15], off offset:160
	global_load_dwordx4 v[41:44], v[14:15], off offset:144
	global_load_dwordx4 v[45:48], v[14:15], off offset:128
	s_waitcnt vmcnt(8)
	v_subrev_nc_u32_e32 v7, s2, v7
	v_lshlrev_b32_e32 v49, 4, v7
	v_lshlrev_b64 v[49:50], 3, v[49:50]
	v_add_co_u32 v77, vcc_lo, s14, v49
	v_add_co_ci_u32_e64 v78, null, s15, v50, vcc_lo
	v_cmp_ge_i32_e32 vcc_lo, v6, v16
	s_clause 0x2
	global_load_dwordx4 v[49:52], v[77:78], off
	global_load_dwordx4 v[53:56], v[77:78], off offset:16
	global_load_dwordx4 v[57:60], v[77:78], off offset:32
	s_clause 0x2
	global_load_dwordx4 v[61:64], v[14:15], off offset:80
	global_load_dwordx4 v[65:68], v[14:15], off offset:64
	;; [unrolled: 1-line block ×4, first 2 shown]
	s_or_b32 s0, vcc_lo, s0
	s_waitcnt vmcnt(6)
	v_fma_f64 v[7:8], v[29:30], v[49:50], v[8:9]
	v_fma_f64 v[79:80], v[31:32], v[51:52], v[7:8]
	;; [unrolled: 1-line block ×3, first 2 shown]
	global_load_dwordx4 v[29:32], v[14:15], off offset:192
	s_waitcnt vmcnt(6)
	v_fma_f64 v[25:26], v[25:26], v[53:54], v[79:80]
	v_fma_f64 v[49:50], v[47:48], v[51:52], v[7:8]
	global_load_dwordx4 v[7:10], v[77:78], off offset:64
	global_load_dwordx4 v[45:48], v[14:15], off offset:112
	v_fma_f64 v[79:80], v[27:28], v[55:56], v[25:26]
	global_load_dwordx4 v[25:28], v[77:78], off offset:80
	v_fma_f64 v[41:42], v[41:42], v[53:54], v[49:50]
	v_fma_f64 v[81:82], v[43:44], v[55:56], v[41:42]
	s_clause 0x2
	global_load_dwordx4 v[41:44], v[14:15], off offset:96
	global_load_dwordx4 v[49:52], v[14:15], off offset:240
	;; [unrolled: 1-line block ×3, first 2 shown]
	s_waitcnt vmcnt(11)
	v_fma_f64 v[14:15], v[21:22], v[57:58], v[79:80]
	v_fma_f64 v[37:38], v[37:38], v[57:58], v[81:82]
	;; [unrolled: 1-line block ×3, first 2 shown]
	global_load_dwordx4 v[21:24], v[77:78], off offset:96
	v_fma_f64 v[57:58], v[39:40], v[59:60], v[37:38]
	global_load_dwordx4 v[37:40], v[77:78], off offset:112
	s_waitcnt vmcnt(9)
	v_fma_f64 v[14:15], v[17:18], v[73:74], v[14:15]
	v_fma_f64 v[17:18], v[33:34], v[73:74], v[57:58]
	v_fma_f64 v[14:15], v[19:20], v[75:76], v[14:15]
	v_fma_f64 v[17:18], v[35:36], v[75:76], v[17:18]
	s_waitcnt vmcnt(7)
	v_fma_f64 v[14:15], v[65:66], v[7:8], v[14:15]
	v_fma_f64 v[7:8], v[29:30], v[7:8], v[17:18]
	v_fma_f64 v[14:15], v[67:68], v[9:10], v[14:15]
	v_fma_f64 v[7:8], v[31:32], v[9:10], v[7:8]
	;; [unrolled: 5-line block ×5, first 2 shown]
	s_andn2_b32 exec_lo, exec_lo, s0
	s_cbranch_execnz .LBB149_15
; %bb.16:
	s_or_b32 exec_lo, exec_lo, s0
.LBB149_17:
	s_or_b32 exec_lo, exec_lo, s1
.LBB149_18:
	v_mbcnt_lo_u32_b32 v14, -1, 0
	v_xor_b32_e32 v6, 16, v14
	v_cmp_gt_i32_e32 vcc_lo, 32, v6
	v_cndmask_b32_e32 v6, v14, v6, vcc_lo
	v_lshlrev_b32_e32 v13, 2, v6
	ds_bpermute_b32 v6, v13, v8
	ds_bpermute_b32 v7, v13, v9
	ds_bpermute_b32 v12, v13, v10
	ds_bpermute_b32 v13, v13, v11
	s_waitcnt lgkmcnt(2)
	v_add_f64 v[6:7], v[8:9], v[6:7]
	s_waitcnt lgkmcnt(0)
	v_add_f64 v[8:9], v[10:11], v[12:13]
	v_xor_b32_e32 v10, 8, v14
	v_cmp_gt_i32_e32 vcc_lo, 32, v10
	v_cndmask_b32_e32 v10, v14, v10, vcc_lo
	v_lshlrev_b32_e32 v13, 2, v10
	ds_bpermute_b32 v10, v13, v6
	ds_bpermute_b32 v11, v13, v7
	;; [unrolled: 1-line block ×4, first 2 shown]
	s_waitcnt lgkmcnt(2)
	v_add_f64 v[6:7], v[6:7], v[10:11]
	v_xor_b32_e32 v10, 4, v14
	s_waitcnt lgkmcnt(0)
	v_add_f64 v[8:9], v[8:9], v[12:13]
	v_cmp_gt_i32_e32 vcc_lo, 32, v10
	v_cndmask_b32_e32 v10, v14, v10, vcc_lo
	v_lshlrev_b32_e32 v13, 2, v10
	ds_bpermute_b32 v10, v13, v6
	ds_bpermute_b32 v11, v13, v7
	;; [unrolled: 1-line block ×4, first 2 shown]
	s_waitcnt lgkmcnt(2)
	v_add_f64 v[6:7], v[6:7], v[10:11]
	v_xor_b32_e32 v10, 2, v14
	s_waitcnt lgkmcnt(0)
	v_add_f64 v[8:9], v[8:9], v[12:13]
	v_cmp_gt_i32_e32 vcc_lo, 32, v10
	v_cndmask_b32_e32 v10, v14, v10, vcc_lo
	v_lshlrev_b32_e32 v13, 2, v10
	ds_bpermute_b32 v10, v13, v6
	ds_bpermute_b32 v11, v13, v7
	;; [unrolled: 1-line block ×4, first 2 shown]
	s_waitcnt lgkmcnt(2)
	v_add_f64 v[6:7], v[6:7], v[10:11]
	s_waitcnt lgkmcnt(0)
	v_add_f64 v[10:11], v[8:9], v[12:13]
	v_xor_b32_e32 v8, 1, v14
	v_cmp_gt_i32_e32 vcc_lo, 32, v8
	v_cndmask_b32_e32 v8, v14, v8, vcc_lo
	v_cmp_eq_u32_e32 vcc_lo, 31, v0
	v_lshlrev_b32_e32 v13, 2, v8
	ds_bpermute_b32 v8, v13, v6
	ds_bpermute_b32 v9, v13, v7
	;; [unrolled: 1-line block ×4, first 2 shown]
	s_and_b32 exec_lo, exec_lo, vcc_lo
	s_cbranch_execz .LBB149_23
; %bb.19:
	s_waitcnt lgkmcnt(2)
	v_add_f64 v[8:9], v[6:7], v[8:9]
	s_waitcnt lgkmcnt(0)
	v_add_f64 v[6:7], v[10:11], v[12:13]
	s_load_dwordx2 s[0:1], s[4:5], 0x38
	s_mov_b32 s2, exec_lo
	v_cmpx_eq_f64_e32 0, v[3:4]
	s_xor_b32 s2, exec_lo, s2
	s_cbranch_execz .LBB149_21
; %bb.20:
	v_lshlrev_b32_e32 v0, 1, v5
	v_mul_f64 v[3:4], v[1:2], v[8:9]
	v_mul_f64 v[5:6], v[1:2], v[6:7]
                                        ; implicit-def: $vgpr8_vgpr9
	v_ashrrev_i32_e32 v1, 31, v0
	v_lshlrev_b64 v[0:1], 3, v[0:1]
	s_waitcnt lgkmcnt(0)
	v_add_co_u32 v0, vcc_lo, s0, v0
	v_add_co_ci_u32_e64 v1, null, s1, v1, vcc_lo
	global_store_dwordx4 v[0:1], v[3:6], off
                                        ; implicit-def: $vgpr5
                                        ; implicit-def: $vgpr1_vgpr2
                                        ; implicit-def: $vgpr3_vgpr4
                                        ; implicit-def: $vgpr6_vgpr7
.LBB149_21:
	s_andn2_saveexec_b32 s2, s2
	s_cbranch_execz .LBB149_23
; %bb.22:
	v_lshlrev_b32_e32 v10, 1, v5
	v_mul_f64 v[8:9], v[1:2], v[8:9]
	v_mul_f64 v[5:6], v[1:2], v[6:7]
	v_ashrrev_i32_e32 v11, 31, v10
	v_lshlrev_b64 v[10:11], 3, v[10:11]
	s_waitcnt lgkmcnt(0)
	v_add_co_u32 v14, vcc_lo, s0, v10
	v_add_co_ci_u32_e64 v15, null, s1, v11, vcc_lo
	global_load_dwordx4 v[10:13], v[14:15], off
	s_waitcnt vmcnt(0)
	v_fma_f64 v[0:1], v[3:4], v[10:11], v[8:9]
	v_fma_f64 v[2:3], v[3:4], v[12:13], v[5:6]
	global_store_dwordx4 v[14:15], v[0:3], off
.LBB149_23:
	s_endpgm
	.section	.rodata,"a",@progbits
	.p2align	6, 0x0
	.amdhsa_kernel _ZN9rocsparseL19gebsrmvn_2xn_kernelILj128ELj16ELj32EdEEvi20rocsparse_direction_NS_24const_host_device_scalarIT2_EEPKiS6_PKS3_S8_S4_PS3_21rocsparse_index_base_b
		.amdhsa_group_segment_fixed_size 0
		.amdhsa_private_segment_fixed_size 0
		.amdhsa_kernarg_size 72
		.amdhsa_user_sgpr_count 6
		.amdhsa_user_sgpr_private_segment_buffer 1
		.amdhsa_user_sgpr_dispatch_ptr 0
		.amdhsa_user_sgpr_queue_ptr 0
		.amdhsa_user_sgpr_kernarg_segment_ptr 1
		.amdhsa_user_sgpr_dispatch_id 0
		.amdhsa_user_sgpr_flat_scratch_init 0
		.amdhsa_user_sgpr_private_segment_size 0
		.amdhsa_wavefront_size32 1
		.amdhsa_uses_dynamic_stack 0
		.amdhsa_system_sgpr_private_segment_wavefront_offset 0
		.amdhsa_system_sgpr_workgroup_id_x 1
		.amdhsa_system_sgpr_workgroup_id_y 0
		.amdhsa_system_sgpr_workgroup_id_z 0
		.amdhsa_system_sgpr_workgroup_info 0
		.amdhsa_system_vgpr_workitem_id 0
		.amdhsa_next_free_vgpr 101
		.amdhsa_next_free_sgpr 16
		.amdhsa_reserve_vcc 1
		.amdhsa_reserve_flat_scratch 0
		.amdhsa_float_round_mode_32 0
		.amdhsa_float_round_mode_16_64 0
		.amdhsa_float_denorm_mode_32 3
		.amdhsa_float_denorm_mode_16_64 3
		.amdhsa_dx10_clamp 1
		.amdhsa_ieee_mode 1
		.amdhsa_fp16_overflow 0
		.amdhsa_workgroup_processor_mode 1
		.amdhsa_memory_ordered 1
		.amdhsa_forward_progress 1
		.amdhsa_shared_vgpr_count 0
		.amdhsa_exception_fp_ieee_invalid_op 0
		.amdhsa_exception_fp_denorm_src 0
		.amdhsa_exception_fp_ieee_div_zero 0
		.amdhsa_exception_fp_ieee_overflow 0
		.amdhsa_exception_fp_ieee_underflow 0
		.amdhsa_exception_fp_ieee_inexact 0
		.amdhsa_exception_int_div_zero 0
	.end_amdhsa_kernel
	.section	.text._ZN9rocsparseL19gebsrmvn_2xn_kernelILj128ELj16ELj32EdEEvi20rocsparse_direction_NS_24const_host_device_scalarIT2_EEPKiS6_PKS3_S8_S4_PS3_21rocsparse_index_base_b,"axG",@progbits,_ZN9rocsparseL19gebsrmvn_2xn_kernelILj128ELj16ELj32EdEEvi20rocsparse_direction_NS_24const_host_device_scalarIT2_EEPKiS6_PKS3_S8_S4_PS3_21rocsparse_index_base_b,comdat
.Lfunc_end149:
	.size	_ZN9rocsparseL19gebsrmvn_2xn_kernelILj128ELj16ELj32EdEEvi20rocsparse_direction_NS_24const_host_device_scalarIT2_EEPKiS6_PKS3_S8_S4_PS3_21rocsparse_index_base_b, .Lfunc_end149-_ZN9rocsparseL19gebsrmvn_2xn_kernelILj128ELj16ELj32EdEEvi20rocsparse_direction_NS_24const_host_device_scalarIT2_EEPKiS6_PKS3_S8_S4_PS3_21rocsparse_index_base_b
                                        ; -- End function
	.set _ZN9rocsparseL19gebsrmvn_2xn_kernelILj128ELj16ELj32EdEEvi20rocsparse_direction_NS_24const_host_device_scalarIT2_EEPKiS6_PKS3_S8_S4_PS3_21rocsparse_index_base_b.num_vgpr, 101
	.set _ZN9rocsparseL19gebsrmvn_2xn_kernelILj128ELj16ELj32EdEEvi20rocsparse_direction_NS_24const_host_device_scalarIT2_EEPKiS6_PKS3_S8_S4_PS3_21rocsparse_index_base_b.num_agpr, 0
	.set _ZN9rocsparseL19gebsrmvn_2xn_kernelILj128ELj16ELj32EdEEvi20rocsparse_direction_NS_24const_host_device_scalarIT2_EEPKiS6_PKS3_S8_S4_PS3_21rocsparse_index_base_b.numbered_sgpr, 16
	.set _ZN9rocsparseL19gebsrmvn_2xn_kernelILj128ELj16ELj32EdEEvi20rocsparse_direction_NS_24const_host_device_scalarIT2_EEPKiS6_PKS3_S8_S4_PS3_21rocsparse_index_base_b.num_named_barrier, 0
	.set _ZN9rocsparseL19gebsrmvn_2xn_kernelILj128ELj16ELj32EdEEvi20rocsparse_direction_NS_24const_host_device_scalarIT2_EEPKiS6_PKS3_S8_S4_PS3_21rocsparse_index_base_b.private_seg_size, 0
	.set _ZN9rocsparseL19gebsrmvn_2xn_kernelILj128ELj16ELj32EdEEvi20rocsparse_direction_NS_24const_host_device_scalarIT2_EEPKiS6_PKS3_S8_S4_PS3_21rocsparse_index_base_b.uses_vcc, 1
	.set _ZN9rocsparseL19gebsrmvn_2xn_kernelILj128ELj16ELj32EdEEvi20rocsparse_direction_NS_24const_host_device_scalarIT2_EEPKiS6_PKS3_S8_S4_PS3_21rocsparse_index_base_b.uses_flat_scratch, 0
	.set _ZN9rocsparseL19gebsrmvn_2xn_kernelILj128ELj16ELj32EdEEvi20rocsparse_direction_NS_24const_host_device_scalarIT2_EEPKiS6_PKS3_S8_S4_PS3_21rocsparse_index_base_b.has_dyn_sized_stack, 0
	.set _ZN9rocsparseL19gebsrmvn_2xn_kernelILj128ELj16ELj32EdEEvi20rocsparse_direction_NS_24const_host_device_scalarIT2_EEPKiS6_PKS3_S8_S4_PS3_21rocsparse_index_base_b.has_recursion, 0
	.set _ZN9rocsparseL19gebsrmvn_2xn_kernelILj128ELj16ELj32EdEEvi20rocsparse_direction_NS_24const_host_device_scalarIT2_EEPKiS6_PKS3_S8_S4_PS3_21rocsparse_index_base_b.has_indirect_call, 0
	.section	.AMDGPU.csdata,"",@progbits
; Kernel info:
; codeLenInByte = 2236
; TotalNumSgprs: 18
; NumVgprs: 101
; ScratchSize: 0
; MemoryBound: 1
; FloatMode: 240
; IeeeMode: 1
; LDSByteSize: 0 bytes/workgroup (compile time only)
; SGPRBlocks: 0
; VGPRBlocks: 12
; NumSGPRsForWavesPerEU: 18
; NumVGPRsForWavesPerEU: 101
; Occupancy: 9
; WaveLimiterHint : 1
; COMPUTE_PGM_RSRC2:SCRATCH_EN: 0
; COMPUTE_PGM_RSRC2:USER_SGPR: 6
; COMPUTE_PGM_RSRC2:TRAP_HANDLER: 0
; COMPUTE_PGM_RSRC2:TGID_X_EN: 1
; COMPUTE_PGM_RSRC2:TGID_Y_EN: 0
; COMPUTE_PGM_RSRC2:TGID_Z_EN: 0
; COMPUTE_PGM_RSRC2:TIDIG_COMP_CNT: 0
	.section	.text._ZN9rocsparseL19gebsrmvn_2xn_kernelILj128ELj16ELj64EdEEvi20rocsparse_direction_NS_24const_host_device_scalarIT2_EEPKiS6_PKS3_S8_S4_PS3_21rocsparse_index_base_b,"axG",@progbits,_ZN9rocsparseL19gebsrmvn_2xn_kernelILj128ELj16ELj64EdEEvi20rocsparse_direction_NS_24const_host_device_scalarIT2_EEPKiS6_PKS3_S8_S4_PS3_21rocsparse_index_base_b,comdat
	.globl	_ZN9rocsparseL19gebsrmvn_2xn_kernelILj128ELj16ELj64EdEEvi20rocsparse_direction_NS_24const_host_device_scalarIT2_EEPKiS6_PKS3_S8_S4_PS3_21rocsparse_index_base_b ; -- Begin function _ZN9rocsparseL19gebsrmvn_2xn_kernelILj128ELj16ELj64EdEEvi20rocsparse_direction_NS_24const_host_device_scalarIT2_EEPKiS6_PKS3_S8_S4_PS3_21rocsparse_index_base_b
	.p2align	8
	.type	_ZN9rocsparseL19gebsrmvn_2xn_kernelILj128ELj16ELj64EdEEvi20rocsparse_direction_NS_24const_host_device_scalarIT2_EEPKiS6_PKS3_S8_S4_PS3_21rocsparse_index_base_b,@function
_ZN9rocsparseL19gebsrmvn_2xn_kernelILj128ELj16ELj64EdEEvi20rocsparse_direction_NS_24const_host_device_scalarIT2_EEPKiS6_PKS3_S8_S4_PS3_21rocsparse_index_base_b: ; @_ZN9rocsparseL19gebsrmvn_2xn_kernelILj128ELj16ELj64EdEEvi20rocsparse_direction_NS_24const_host_device_scalarIT2_EEPKiS6_PKS3_S8_S4_PS3_21rocsparse_index_base_b
; %bb.0:
	s_clause 0x2
	s_load_dwordx2 s[2:3], s[4:5], 0x40
	s_load_dwordx2 s[8:9], s[4:5], 0x8
	;; [unrolled: 1-line block ×3, first 2 shown]
	s_waitcnt lgkmcnt(0)
	s_bitcmp1_b32 s3, 0
	v_mov_b32_e32 v1, s8
	v_mov_b32_e32 v2, s9
	s_cselect_b32 s3, -1, 0
	s_and_b32 vcc_lo, exec_lo, s3
	s_xor_b32 s3, s3, -1
	s_cbranch_vccnz .LBB150_2
; %bb.1:
	v_mov_b32_e32 v1, s8
	v_mov_b32_e32 v2, s9
	flat_load_dwordx2 v[1:2], v[1:2]
.LBB150_2:
	v_mov_b32_e32 v4, s1
	v_mov_b32_e32 v3, s0
	s_andn2_b32 vcc_lo, exec_lo, s3
	s_cbranch_vccnz .LBB150_4
; %bb.3:
	v_mov_b32_e32 v4, s1
	v_mov_b32_e32 v3, s0
	flat_load_dwordx2 v[3:4], v[3:4]
.LBB150_4:
	s_waitcnt vmcnt(0) lgkmcnt(0)
	v_cmp_neq_f64_e32 vcc_lo, 0, v[1:2]
	v_cmp_neq_f64_e64 s0, 1.0, v[3:4]
	s_or_b32 s0, vcc_lo, s0
	s_and_saveexec_b32 s1, s0
	s_cbranch_execz .LBB150_23
; %bb.5:
	s_load_dwordx2 s[0:1], s[4:5], 0x0
	v_lshrrev_b32_e32 v5, 6, v0
	v_lshl_or_b32 v5, s6, 1, v5
	s_waitcnt lgkmcnt(0)
	v_cmp_gt_i32_e32 vcc_lo, s0, v5
	s_and_b32 exec_lo, exec_lo, vcc_lo
	s_cbranch_execz .LBB150_23
; %bb.6:
	s_load_dwordx8 s[8:15], s[4:5], 0x10
	v_ashrrev_i32_e32 v6, 31, v5
	v_and_b32_e32 v0, 63, v0
	s_cmp_lg_u32 s1, 0
	v_lshlrev_b64 v[6:7], 2, v[5:6]
	s_waitcnt lgkmcnt(0)
	v_add_co_u32 v6, vcc_lo, s8, v6
	v_add_co_ci_u32_e64 v7, null, s9, v7, vcc_lo
	global_load_dwordx2 v[6:7], v[6:7], off
	s_waitcnt vmcnt(0)
	v_subrev_nc_u32_e32 v6, s2, v6
	v_subrev_nc_u32_e32 v16, s2, v7
	v_add_nc_u32_e32 v6, v6, v0
	v_cmp_lt_i32_e64 s0, v6, v16
	s_cbranch_scc0 .LBB150_12
; %bb.7:
	v_mov_b32_e32 v8, 0
	v_mov_b32_e32 v10, 0
	;; [unrolled: 1-line block ×4, first 2 shown]
	s_and_saveexec_b32 s1, s0
	s_cbranch_execz .LBB150_11
; %bb.8:
	v_mov_b32_e32 v8, 0
	v_mov_b32_e32 v10, 0
	v_lshlrev_b32_e32 v12, 5, v6
	v_mov_b32_e32 v9, 0
	v_mov_b32_e32 v13, 0
	;; [unrolled: 1-line block ×4, first 2 shown]
	s_mov_b32 s3, 0
.LBB150_9:                              ; =>This Inner Loop Header: Depth=1
	v_ashrrev_i32_e32 v15, 31, v14
	v_mov_b32_e32 v26, v13
	v_lshlrev_b64 v[17:18], 2, v[14:15]
	v_add_nc_u32_e32 v14, 64, v14
	v_add_co_u32 v17, vcc_lo, s10, v17
	v_add_co_ci_u32_e64 v18, null, s11, v18, vcc_lo
	global_load_dword v7, v[17:18], off
	v_lshlrev_b64 v[17:18], 3, v[12:13]
	v_add_nc_u32_e32 v12, 0x800, v12
	v_add_co_u32 v93, vcc_lo, s12, v17
	v_add_co_ci_u32_e64 v94, null, s13, v18, vcc_lo
	s_clause 0x1
	global_load_dwordx4 v[17:20], v[93:94], off offset:16
	global_load_dwordx4 v[21:24], v[93:94], off
	s_waitcnt vmcnt(2)
	v_subrev_nc_u32_e32 v7, s2, v7
	v_lshlrev_b32_e32 v25, 4, v7
	v_lshlrev_b64 v[25:26], 3, v[25:26]
	v_add_co_u32 v95, vcc_lo, s14, v25
	v_add_co_ci_u32_e64 v96, null, s15, v26, vcc_lo
	v_cmp_ge_i32_e32 vcc_lo, v14, v16
	global_load_dwordx4 v[25:28], v[95:96], off
	s_clause 0x1
	global_load_dwordx4 v[29:32], v[93:94], off offset:48
	global_load_dwordx4 v[33:36], v[93:94], off offset:32
	;; [unrolled: 1-line block ×5, first 2 shown]
	s_clause 0x1
	global_load_dwordx4 v[49:52], v[93:94], off offset:80
	global_load_dwordx4 v[53:56], v[93:94], off offset:96
	global_load_dwordx4 v[57:60], v[95:96], off offset:48
	s_clause 0x1
	global_load_dwordx4 v[61:64], v[93:94], off offset:112
	global_load_dwordx4 v[65:68], v[93:94], off offset:128
	global_load_dwordx4 v[69:72], v[95:96], off offset:64
	;; [unrolled: 4-line block ×3, first 2 shown]
	s_clause 0x1
	global_load_dwordx4 v[85:88], v[93:94], off offset:176
	global_load_dwordx4 v[89:92], v[93:94], off offset:192
	s_or_b32 s3, vcc_lo, s3
	s_waitcnt vmcnt(16)
	v_fma_f64 v[21:22], v[21:22], v[25:26], v[8:9]
	v_fma_f64 v[23:24], v[23:24], v[25:26], v[10:11]
	global_load_dwordx4 v[7:10], v[95:96], off offset:96
	v_fma_f64 v[97:98], v[17:18], v[27:28], v[21:22]
	v_fma_f64 v[99:100], v[19:20], v[27:28], v[23:24]
	s_clause 0x1
	global_load_dwordx4 v[17:20], v[93:94], off offset:208
	global_load_dwordx4 v[21:24], v[93:94], off offset:224
	;; [unrolled: 1-line block ×3, first 2 shown]
	s_waitcnt vmcnt(17)
	v_fma_f64 v[95:96], v[33:34], v[37:38], v[97:98]
	v_fma_f64 v[37:38], v[35:36], v[37:38], v[99:100]
	global_load_dwordx4 v[33:36], v[93:94], off offset:240
	v_fma_f64 v[29:30], v[29:30], v[39:40], v[95:96]
	v_fma_f64 v[31:32], v[31:32], v[39:40], v[37:38]
	s_waitcnt vmcnt(16)
	v_fma_f64 v[29:30], v[41:42], v[45:46], v[29:30]
	v_fma_f64 v[31:32], v[43:44], v[45:46], v[31:32]
	s_waitcnt vmcnt(15)
	v_fma_f64 v[29:30], v[49:50], v[47:48], v[29:30]
	v_fma_f64 v[31:32], v[51:52], v[47:48], v[31:32]
	s_waitcnt vmcnt(13)
	v_fma_f64 v[29:30], v[53:54], v[57:58], v[29:30]
	v_fma_f64 v[31:32], v[55:56], v[57:58], v[31:32]
	s_waitcnt vmcnt(12)
	v_fma_f64 v[29:30], v[61:62], v[59:60], v[29:30]
	v_fma_f64 v[31:32], v[63:64], v[59:60], v[31:32]
	s_waitcnt vmcnt(10)
	v_fma_f64 v[29:30], v[65:66], v[69:70], v[29:30]
	v_fma_f64 v[31:32], v[67:68], v[69:70], v[31:32]
	s_waitcnt vmcnt(9)
	v_fma_f64 v[29:30], v[73:74], v[71:72], v[29:30]
	v_fma_f64 v[31:32], v[75:76], v[71:72], v[31:32]
	s_waitcnt vmcnt(7)
	v_fma_f64 v[29:30], v[77:78], v[81:82], v[29:30]
	v_fma_f64 v[31:32], v[79:80], v[81:82], v[31:32]
	s_waitcnt vmcnt(6)
	v_fma_f64 v[29:30], v[85:86], v[83:84], v[29:30]
	v_fma_f64 v[31:32], v[87:88], v[83:84], v[31:32]
	s_waitcnt vmcnt(4)
	v_fma_f64 v[29:30], v[89:90], v[7:8], v[29:30]
	v_fma_f64 v[7:8], v[91:92], v[7:8], v[31:32]
	s_waitcnt vmcnt(3)
	v_fma_f64 v[17:18], v[17:18], v[9:10], v[29:30]
	v_fma_f64 v[7:8], v[19:20], v[9:10], v[7:8]
	s_waitcnt vmcnt(1)
	v_fma_f64 v[9:10], v[21:22], v[25:26], v[17:18]
	v_fma_f64 v[17:18], v[23:24], v[25:26], v[7:8]
	s_waitcnt vmcnt(0)
	v_fma_f64 v[8:9], v[33:34], v[27:28], v[9:10]
	v_fma_f64 v[10:11], v[35:36], v[27:28], v[17:18]
	s_andn2_b32 exec_lo, exec_lo, s3
	s_cbranch_execnz .LBB150_9
; %bb.10:
	s_or_b32 exec_lo, exec_lo, s3
.LBB150_11:
	s_or_b32 exec_lo, exec_lo, s1
	s_cbranch_execz .LBB150_13
	s_branch .LBB150_18
.LBB150_12:
                                        ; implicit-def: $vgpr8_vgpr9
                                        ; implicit-def: $vgpr10_vgpr11
.LBB150_13:
	v_mov_b32_e32 v8, 0
	v_mov_b32_e32 v10, 0
	;; [unrolled: 1-line block ×4, first 2 shown]
	s_and_saveexec_b32 s1, s0
	s_cbranch_execz .LBB150_17
; %bb.14:
	v_mov_b32_e32 v8, 0
	v_mov_b32_e32 v10, 0
	v_lshlrev_b32_e32 v12, 5, v6
	v_mov_b32_e32 v9, 0
	v_mov_b32_e32 v11, 0
	;; [unrolled: 1-line block ×3, first 2 shown]
	s_mov_b32 s0, 0
.LBB150_15:                             ; =>This Inner Loop Header: Depth=1
	v_ashrrev_i32_e32 v7, 31, v6
	v_mov_b32_e32 v50, v13
	v_lshlrev_b64 v[14:15], 2, v[6:7]
	v_add_nc_u32_e32 v6, 64, v6
	v_add_co_u32 v14, vcc_lo, s10, v14
	v_add_co_ci_u32_e64 v15, null, s11, v15, vcc_lo
	global_load_dword v7, v[14:15], off
	v_lshlrev_b64 v[14:15], 3, v[12:13]
	v_add_nc_u32_e32 v12, 0x800, v12
	v_add_co_u32 v14, vcc_lo, s12, v14
	v_add_co_ci_u32_e64 v15, null, s13, v15, vcc_lo
	s_clause 0x7
	global_load_dwordx4 v[17:20], v[14:15], off offset:48
	global_load_dwordx4 v[21:24], v[14:15], off offset:32
	;; [unrolled: 1-line block ×3, first 2 shown]
	global_load_dwordx4 v[29:32], v[14:15], off
	global_load_dwordx4 v[33:36], v[14:15], off offset:176
	global_load_dwordx4 v[37:40], v[14:15], off offset:160
	;; [unrolled: 1-line block ×4, first 2 shown]
	s_waitcnt vmcnt(8)
	v_subrev_nc_u32_e32 v7, s2, v7
	v_lshlrev_b32_e32 v49, 4, v7
	v_lshlrev_b64 v[49:50], 3, v[49:50]
	v_add_co_u32 v77, vcc_lo, s14, v49
	v_add_co_ci_u32_e64 v78, null, s15, v50, vcc_lo
	v_cmp_ge_i32_e32 vcc_lo, v6, v16
	s_clause 0x2
	global_load_dwordx4 v[49:52], v[77:78], off
	global_load_dwordx4 v[53:56], v[77:78], off offset:16
	global_load_dwordx4 v[57:60], v[77:78], off offset:32
	s_clause 0x2
	global_load_dwordx4 v[61:64], v[14:15], off offset:80
	global_load_dwordx4 v[65:68], v[14:15], off offset:64
	;; [unrolled: 1-line block ×4, first 2 shown]
	s_or_b32 s0, vcc_lo, s0
	s_waitcnt vmcnt(6)
	v_fma_f64 v[7:8], v[29:30], v[49:50], v[8:9]
	v_fma_f64 v[79:80], v[31:32], v[51:52], v[7:8]
	;; [unrolled: 1-line block ×3, first 2 shown]
	global_load_dwordx4 v[29:32], v[14:15], off offset:192
	s_waitcnt vmcnt(6)
	v_fma_f64 v[25:26], v[25:26], v[53:54], v[79:80]
	v_fma_f64 v[49:50], v[47:48], v[51:52], v[7:8]
	global_load_dwordx4 v[7:10], v[77:78], off offset:64
	global_load_dwordx4 v[45:48], v[14:15], off offset:112
	v_fma_f64 v[79:80], v[27:28], v[55:56], v[25:26]
	global_load_dwordx4 v[25:28], v[77:78], off offset:80
	v_fma_f64 v[41:42], v[41:42], v[53:54], v[49:50]
	v_fma_f64 v[81:82], v[43:44], v[55:56], v[41:42]
	s_clause 0x2
	global_load_dwordx4 v[41:44], v[14:15], off offset:96
	global_load_dwordx4 v[49:52], v[14:15], off offset:240
	;; [unrolled: 1-line block ×3, first 2 shown]
	s_waitcnt vmcnt(11)
	v_fma_f64 v[14:15], v[21:22], v[57:58], v[79:80]
	v_fma_f64 v[37:38], v[37:38], v[57:58], v[81:82]
	;; [unrolled: 1-line block ×3, first 2 shown]
	global_load_dwordx4 v[21:24], v[77:78], off offset:96
	v_fma_f64 v[57:58], v[39:40], v[59:60], v[37:38]
	global_load_dwordx4 v[37:40], v[77:78], off offset:112
	s_waitcnt vmcnt(9)
	v_fma_f64 v[14:15], v[17:18], v[73:74], v[14:15]
	v_fma_f64 v[17:18], v[33:34], v[73:74], v[57:58]
	v_fma_f64 v[14:15], v[19:20], v[75:76], v[14:15]
	v_fma_f64 v[17:18], v[35:36], v[75:76], v[17:18]
	s_waitcnt vmcnt(7)
	v_fma_f64 v[14:15], v[65:66], v[7:8], v[14:15]
	v_fma_f64 v[7:8], v[29:30], v[7:8], v[17:18]
	v_fma_f64 v[14:15], v[67:68], v[9:10], v[14:15]
	v_fma_f64 v[7:8], v[31:32], v[9:10], v[7:8]
	;; [unrolled: 5-line block ×5, first 2 shown]
	s_andn2_b32 exec_lo, exec_lo, s0
	s_cbranch_execnz .LBB150_15
; %bb.16:
	s_or_b32 exec_lo, exec_lo, s0
.LBB150_17:
	s_or_b32 exec_lo, exec_lo, s1
.LBB150_18:
	v_mbcnt_lo_u32_b32 v14, -1, 0
	v_or_b32_e32 v6, 32, v14
	v_cmp_gt_i32_e32 vcc_lo, 32, v6
	v_cndmask_b32_e32 v6, v14, v6, vcc_lo
	v_lshlrev_b32_e32 v13, 2, v6
	ds_bpermute_b32 v6, v13, v8
	ds_bpermute_b32 v7, v13, v9
	;; [unrolled: 1-line block ×4, first 2 shown]
	s_waitcnt lgkmcnt(2)
	v_add_f64 v[6:7], v[8:9], v[6:7]
	s_waitcnt lgkmcnt(0)
	v_add_f64 v[8:9], v[10:11], v[12:13]
	v_xor_b32_e32 v10, 16, v14
	v_cmp_gt_i32_e32 vcc_lo, 32, v10
	v_cndmask_b32_e32 v10, v14, v10, vcc_lo
	v_lshlrev_b32_e32 v13, 2, v10
	ds_bpermute_b32 v10, v13, v6
	ds_bpermute_b32 v11, v13, v7
	ds_bpermute_b32 v12, v13, v8
	ds_bpermute_b32 v13, v13, v9
	s_waitcnt lgkmcnt(2)
	v_add_f64 v[6:7], v[6:7], v[10:11]
	v_xor_b32_e32 v10, 8, v14
	s_waitcnt lgkmcnt(0)
	v_add_f64 v[8:9], v[8:9], v[12:13]
	v_cmp_gt_i32_e32 vcc_lo, 32, v10
	v_cndmask_b32_e32 v10, v14, v10, vcc_lo
	v_lshlrev_b32_e32 v13, 2, v10
	ds_bpermute_b32 v10, v13, v6
	ds_bpermute_b32 v11, v13, v7
	ds_bpermute_b32 v12, v13, v8
	ds_bpermute_b32 v13, v13, v9
	s_waitcnt lgkmcnt(2)
	v_add_f64 v[6:7], v[6:7], v[10:11]
	v_xor_b32_e32 v10, 4, v14
	s_waitcnt lgkmcnt(0)
	v_add_f64 v[8:9], v[8:9], v[12:13]
	;; [unrolled: 12-line block ×3, first 2 shown]
	v_cmp_gt_i32_e32 vcc_lo, 32, v10
	v_cndmask_b32_e32 v10, v14, v10, vcc_lo
	v_lshlrev_b32_e32 v13, 2, v10
	ds_bpermute_b32 v10, v13, v6
	ds_bpermute_b32 v11, v13, v7
	;; [unrolled: 1-line block ×4, first 2 shown]
	s_waitcnt lgkmcnt(2)
	v_add_f64 v[6:7], v[6:7], v[10:11]
	s_waitcnt lgkmcnt(0)
	v_add_f64 v[10:11], v[8:9], v[12:13]
	v_xor_b32_e32 v8, 1, v14
	v_cmp_gt_i32_e32 vcc_lo, 32, v8
	v_cndmask_b32_e32 v8, v14, v8, vcc_lo
	v_cmp_eq_u32_e32 vcc_lo, 63, v0
	v_lshlrev_b32_e32 v13, 2, v8
	ds_bpermute_b32 v8, v13, v6
	ds_bpermute_b32 v9, v13, v7
	;; [unrolled: 1-line block ×4, first 2 shown]
	s_and_b32 exec_lo, exec_lo, vcc_lo
	s_cbranch_execz .LBB150_23
; %bb.19:
	s_waitcnt lgkmcnt(2)
	v_add_f64 v[8:9], v[6:7], v[8:9]
	s_waitcnt lgkmcnt(0)
	v_add_f64 v[6:7], v[10:11], v[12:13]
	s_load_dwordx2 s[0:1], s[4:5], 0x38
	s_mov_b32 s2, exec_lo
	v_cmpx_eq_f64_e32 0, v[3:4]
	s_xor_b32 s2, exec_lo, s2
	s_cbranch_execz .LBB150_21
; %bb.20:
	v_lshlrev_b32_e32 v0, 1, v5
	v_mul_f64 v[3:4], v[1:2], v[8:9]
	v_mul_f64 v[5:6], v[1:2], v[6:7]
                                        ; implicit-def: $vgpr8_vgpr9
	v_ashrrev_i32_e32 v1, 31, v0
	v_lshlrev_b64 v[0:1], 3, v[0:1]
	s_waitcnt lgkmcnt(0)
	v_add_co_u32 v0, vcc_lo, s0, v0
	v_add_co_ci_u32_e64 v1, null, s1, v1, vcc_lo
	global_store_dwordx4 v[0:1], v[3:6], off
                                        ; implicit-def: $vgpr5
                                        ; implicit-def: $vgpr1_vgpr2
                                        ; implicit-def: $vgpr3_vgpr4
                                        ; implicit-def: $vgpr6_vgpr7
.LBB150_21:
	s_andn2_saveexec_b32 s2, s2
	s_cbranch_execz .LBB150_23
; %bb.22:
	v_lshlrev_b32_e32 v10, 1, v5
	v_mul_f64 v[8:9], v[1:2], v[8:9]
	v_mul_f64 v[5:6], v[1:2], v[6:7]
	v_ashrrev_i32_e32 v11, 31, v10
	v_lshlrev_b64 v[10:11], 3, v[10:11]
	s_waitcnt lgkmcnt(0)
	v_add_co_u32 v14, vcc_lo, s0, v10
	v_add_co_ci_u32_e64 v15, null, s1, v11, vcc_lo
	global_load_dwordx4 v[10:13], v[14:15], off
	s_waitcnt vmcnt(0)
	v_fma_f64 v[0:1], v[3:4], v[10:11], v[8:9]
	v_fma_f64 v[2:3], v[3:4], v[12:13], v[5:6]
	global_store_dwordx4 v[14:15], v[0:3], off
.LBB150_23:
	s_endpgm
	.section	.rodata,"a",@progbits
	.p2align	6, 0x0
	.amdhsa_kernel _ZN9rocsparseL19gebsrmvn_2xn_kernelILj128ELj16ELj64EdEEvi20rocsparse_direction_NS_24const_host_device_scalarIT2_EEPKiS6_PKS3_S8_S4_PS3_21rocsparse_index_base_b
		.amdhsa_group_segment_fixed_size 0
		.amdhsa_private_segment_fixed_size 0
		.amdhsa_kernarg_size 72
		.amdhsa_user_sgpr_count 6
		.amdhsa_user_sgpr_private_segment_buffer 1
		.amdhsa_user_sgpr_dispatch_ptr 0
		.amdhsa_user_sgpr_queue_ptr 0
		.amdhsa_user_sgpr_kernarg_segment_ptr 1
		.amdhsa_user_sgpr_dispatch_id 0
		.amdhsa_user_sgpr_flat_scratch_init 0
		.amdhsa_user_sgpr_private_segment_size 0
		.amdhsa_wavefront_size32 1
		.amdhsa_uses_dynamic_stack 0
		.amdhsa_system_sgpr_private_segment_wavefront_offset 0
		.amdhsa_system_sgpr_workgroup_id_x 1
		.amdhsa_system_sgpr_workgroup_id_y 0
		.amdhsa_system_sgpr_workgroup_id_z 0
		.amdhsa_system_sgpr_workgroup_info 0
		.amdhsa_system_vgpr_workitem_id 0
		.amdhsa_next_free_vgpr 101
		.amdhsa_next_free_sgpr 16
		.amdhsa_reserve_vcc 1
		.amdhsa_reserve_flat_scratch 0
		.amdhsa_float_round_mode_32 0
		.amdhsa_float_round_mode_16_64 0
		.amdhsa_float_denorm_mode_32 3
		.amdhsa_float_denorm_mode_16_64 3
		.amdhsa_dx10_clamp 1
		.amdhsa_ieee_mode 1
		.amdhsa_fp16_overflow 0
		.amdhsa_workgroup_processor_mode 1
		.amdhsa_memory_ordered 1
		.amdhsa_forward_progress 1
		.amdhsa_shared_vgpr_count 0
		.amdhsa_exception_fp_ieee_invalid_op 0
		.amdhsa_exception_fp_denorm_src 0
		.amdhsa_exception_fp_ieee_div_zero 0
		.amdhsa_exception_fp_ieee_overflow 0
		.amdhsa_exception_fp_ieee_underflow 0
		.amdhsa_exception_fp_ieee_inexact 0
		.amdhsa_exception_int_div_zero 0
	.end_amdhsa_kernel
	.section	.text._ZN9rocsparseL19gebsrmvn_2xn_kernelILj128ELj16ELj64EdEEvi20rocsparse_direction_NS_24const_host_device_scalarIT2_EEPKiS6_PKS3_S8_S4_PS3_21rocsparse_index_base_b,"axG",@progbits,_ZN9rocsparseL19gebsrmvn_2xn_kernelILj128ELj16ELj64EdEEvi20rocsparse_direction_NS_24const_host_device_scalarIT2_EEPKiS6_PKS3_S8_S4_PS3_21rocsparse_index_base_b,comdat
.Lfunc_end150:
	.size	_ZN9rocsparseL19gebsrmvn_2xn_kernelILj128ELj16ELj64EdEEvi20rocsparse_direction_NS_24const_host_device_scalarIT2_EEPKiS6_PKS3_S8_S4_PS3_21rocsparse_index_base_b, .Lfunc_end150-_ZN9rocsparseL19gebsrmvn_2xn_kernelILj128ELj16ELj64EdEEvi20rocsparse_direction_NS_24const_host_device_scalarIT2_EEPKiS6_PKS3_S8_S4_PS3_21rocsparse_index_base_b
                                        ; -- End function
	.set _ZN9rocsparseL19gebsrmvn_2xn_kernelILj128ELj16ELj64EdEEvi20rocsparse_direction_NS_24const_host_device_scalarIT2_EEPKiS6_PKS3_S8_S4_PS3_21rocsparse_index_base_b.num_vgpr, 101
	.set _ZN9rocsparseL19gebsrmvn_2xn_kernelILj128ELj16ELj64EdEEvi20rocsparse_direction_NS_24const_host_device_scalarIT2_EEPKiS6_PKS3_S8_S4_PS3_21rocsparse_index_base_b.num_agpr, 0
	.set _ZN9rocsparseL19gebsrmvn_2xn_kernelILj128ELj16ELj64EdEEvi20rocsparse_direction_NS_24const_host_device_scalarIT2_EEPKiS6_PKS3_S8_S4_PS3_21rocsparse_index_base_b.numbered_sgpr, 16
	.set _ZN9rocsparseL19gebsrmvn_2xn_kernelILj128ELj16ELj64EdEEvi20rocsparse_direction_NS_24const_host_device_scalarIT2_EEPKiS6_PKS3_S8_S4_PS3_21rocsparse_index_base_b.num_named_barrier, 0
	.set _ZN9rocsparseL19gebsrmvn_2xn_kernelILj128ELj16ELj64EdEEvi20rocsparse_direction_NS_24const_host_device_scalarIT2_EEPKiS6_PKS3_S8_S4_PS3_21rocsparse_index_base_b.private_seg_size, 0
	.set _ZN9rocsparseL19gebsrmvn_2xn_kernelILj128ELj16ELj64EdEEvi20rocsparse_direction_NS_24const_host_device_scalarIT2_EEPKiS6_PKS3_S8_S4_PS3_21rocsparse_index_base_b.uses_vcc, 1
	.set _ZN9rocsparseL19gebsrmvn_2xn_kernelILj128ELj16ELj64EdEEvi20rocsparse_direction_NS_24const_host_device_scalarIT2_EEPKiS6_PKS3_S8_S4_PS3_21rocsparse_index_base_b.uses_flat_scratch, 0
	.set _ZN9rocsparseL19gebsrmvn_2xn_kernelILj128ELj16ELj64EdEEvi20rocsparse_direction_NS_24const_host_device_scalarIT2_EEPKiS6_PKS3_S8_S4_PS3_21rocsparse_index_base_b.has_dyn_sized_stack, 0
	.set _ZN9rocsparseL19gebsrmvn_2xn_kernelILj128ELj16ELj64EdEEvi20rocsparse_direction_NS_24const_host_device_scalarIT2_EEPKiS6_PKS3_S8_S4_PS3_21rocsparse_index_base_b.has_recursion, 0
	.set _ZN9rocsparseL19gebsrmvn_2xn_kernelILj128ELj16ELj64EdEEvi20rocsparse_direction_NS_24const_host_device_scalarIT2_EEPKiS6_PKS3_S8_S4_PS3_21rocsparse_index_base_b.has_indirect_call, 0
	.section	.AMDGPU.csdata,"",@progbits
; Kernel info:
; codeLenInByte = 2308
; TotalNumSgprs: 18
; NumVgprs: 101
; ScratchSize: 0
; MemoryBound: 1
; FloatMode: 240
; IeeeMode: 1
; LDSByteSize: 0 bytes/workgroup (compile time only)
; SGPRBlocks: 0
; VGPRBlocks: 12
; NumSGPRsForWavesPerEU: 18
; NumVGPRsForWavesPerEU: 101
; Occupancy: 9
; WaveLimiterHint : 1
; COMPUTE_PGM_RSRC2:SCRATCH_EN: 0
; COMPUTE_PGM_RSRC2:USER_SGPR: 6
; COMPUTE_PGM_RSRC2:TRAP_HANDLER: 0
; COMPUTE_PGM_RSRC2:TGID_X_EN: 1
; COMPUTE_PGM_RSRC2:TGID_Y_EN: 0
; COMPUTE_PGM_RSRC2:TGID_Z_EN: 0
; COMPUTE_PGM_RSRC2:TIDIG_COMP_CNT: 0
	.section	.text._ZN9rocsparseL23gebsrmvn_general_kernelILj32ELj32EdEEvi20rocsparse_direction_NS_24const_host_device_scalarIT1_EEPKiS6_PKS3_iiS8_S4_PS3_21rocsparse_index_base_b,"axG",@progbits,_ZN9rocsparseL23gebsrmvn_general_kernelILj32ELj32EdEEvi20rocsparse_direction_NS_24const_host_device_scalarIT1_EEPKiS6_PKS3_iiS8_S4_PS3_21rocsparse_index_base_b,comdat
	.globl	_ZN9rocsparseL23gebsrmvn_general_kernelILj32ELj32EdEEvi20rocsparse_direction_NS_24const_host_device_scalarIT1_EEPKiS6_PKS3_iiS8_S4_PS3_21rocsparse_index_base_b ; -- Begin function _ZN9rocsparseL23gebsrmvn_general_kernelILj32ELj32EdEEvi20rocsparse_direction_NS_24const_host_device_scalarIT1_EEPKiS6_PKS3_iiS8_S4_PS3_21rocsparse_index_base_b
	.p2align	8
	.type	_ZN9rocsparseL23gebsrmvn_general_kernelILj32ELj32EdEEvi20rocsparse_direction_NS_24const_host_device_scalarIT1_EEPKiS6_PKS3_iiS8_S4_PS3_21rocsparse_index_base_b,@function
_ZN9rocsparseL23gebsrmvn_general_kernelILj32ELj32EdEEvi20rocsparse_direction_NS_24const_host_device_scalarIT1_EEPKiS6_PKS3_iiS8_S4_PS3_21rocsparse_index_base_b: ; @_ZN9rocsparseL23gebsrmvn_general_kernelILj32ELj32EdEEvi20rocsparse_direction_NS_24const_host_device_scalarIT1_EEPKiS6_PKS3_iiS8_S4_PS3_21rocsparse_index_base_b
; %bb.0:
	s_clause 0x2
	s_load_dwordx2 s[12:13], s[4:5], 0x48
	s_load_dwordx2 s[2:3], s[4:5], 0x8
	;; [unrolled: 1-line block ×3, first 2 shown]
	s_waitcnt lgkmcnt(0)
	s_bitcmp1_b32 s13, 0
	v_mov_b32_e32 v1, s2
	v_mov_b32_e32 v2, s3
	s_cselect_b32 s7, -1, 0
	s_and_b32 vcc_lo, exec_lo, s7
	s_xor_b32 s7, s7, -1
	s_cbranch_vccnz .LBB151_2
; %bb.1:
	v_mov_b32_e32 v1, s2
	v_mov_b32_e32 v2, s3
	flat_load_dwordx2 v[1:2], v[1:2]
.LBB151_2:
	v_mov_b32_e32 v4, s1
	v_mov_b32_e32 v3, s0
	s_andn2_b32 vcc_lo, exec_lo, s7
	s_cbranch_vccnz .LBB151_4
; %bb.3:
	v_mov_b32_e32 v4, s1
	v_mov_b32_e32 v3, s0
	flat_load_dwordx2 v[3:4], v[3:4]
.LBB151_4:
	s_waitcnt vmcnt(0) lgkmcnt(0)
	v_cmp_neq_f64_e32 vcc_lo, 0, v[1:2]
	v_cmp_neq_f64_e64 s0, 1.0, v[3:4]
	s_or_b32 s0, vcc_lo, s0
	s_and_saveexec_b32 s1, s0
	s_cbranch_execz .LBB151_24
; %bb.5:
	s_load_dwordx2 s[14:15], s[4:5], 0x28
	s_mov_b32 s3, 0
	s_waitcnt lgkmcnt(0)
	s_cmp_gt_i32 s14, 0
	s_cselect_b32 s0, -1, 0
	s_and_b32 exec_lo, exec_lo, s0
	s_cbranch_execz .LBB151_24
; %bb.6:
	s_clause 0x3
	s_load_dwordx4 s[8:11], s[4:5], 0x10
	s_load_dwordx2 s[16:17], s[4:5], 0x20
	s_load_dwordx2 s[18:19], s[4:5], 0x30
	;; [unrolled: 1-line block ×3, first 2 shown]
	v_mbcnt_lo_u32_b32 v6, -1, 0
	s_ashr_i32 s7, s6, 31
	s_load_dword s13, s[4:5], 0x4
	s_lshl_b64 s[4:5], s[6:7], 2
	v_cmp_eq_f64_e64 s2, 0, v[3:4]
	v_xor_b32_e32 v7, 16, v6
	v_xor_b32_e32 v8, 8, v6
	;; [unrolled: 1-line block ×5, first 2 shown]
	v_cmp_gt_i32_e32 vcc_lo, 32, v7
	v_mov_b32_e32 v5, 0
	v_cmp_gt_i32_e64 s0, s15, v0
	v_cmp_eq_u32_e64 s1, 31, v0
	s_mul_i32 s6, s14, s6
	v_cndmask_b32_e32 v7, v6, v7, vcc_lo
	s_waitcnt lgkmcnt(0)
	s_add_u32 s4, s8, s4
	s_addc_u32 s5, s9, s5
	v_cmp_gt_i32_e32 vcc_lo, 32, v8
	s_load_dwordx2 s[4:5], s[4:5], 0x0
	s_mul_i32 s22, s15, s14
	v_cndmask_b32_e32 v8, v6, v8, vcc_lo
	v_cmp_gt_i32_e32 vcc_lo, 32, v9
	v_cndmask_b32_e32 v9, v6, v9, vcc_lo
	v_cmp_gt_i32_e32 vcc_lo, 32, v10
	v_lshlrev_b32_e32 v12, 2, v9
	v_cndmask_b32_e32 v13, v6, v10, vcc_lo
	v_cmp_gt_i32_e32 vcc_lo, 32, v11
	v_lshlrev_b32_e32 v10, 2, v7
	s_waitcnt lgkmcnt(0)
	s_sub_i32 s7, s4, s12
	s_sub_i32 s8, s5, s12
	v_cndmask_b32_e32 v6, v6, v11, vcc_lo
	s_cmp_lt_i32 s4, s5
	s_mul_i32 s4, s14, s7
	v_lshlrev_b32_e32 v11, 2, v8
	s_mul_i32 s4, s15, s4
	v_lshlrev_b32_e32 v13, 2, v13
	v_lshlrev_b32_e32 v14, 2, v6
	v_mov_b32_e32 v15, s4
	s_cselect_b32 s9, -1, 0
	s_cmp_lg_u32 s13, 0
	s_cselect_b32 s13, -1, 0
	s_branch .LBB151_8
.LBB151_7:                              ;   in Loop: Header=BB151_8 Depth=1
	s_or_b32 exec_lo, exec_lo, s4
	v_add_nc_u32_e32 v5, 1, v5
	v_add_nc_u32_e32 v15, s15, v15
	v_cmp_le_i32_e32 vcc_lo, s14, v5
	s_or_b32 s3, vcc_lo, s3
	s_andn2_b32 exec_lo, exec_lo, s3
	s_cbranch_execz .LBB151_24
.LBB151_8:                              ; =>This Loop Header: Depth=1
                                        ;     Child Loop BB151_12 Depth 2
                                        ;       Child Loop BB151_15 Depth 3
	v_mov_b32_e32 v6, 0
	v_mov_b32_e32 v7, 0
	s_andn2_b32 vcc_lo, exec_lo, s9
	s_cbranch_vccnz .LBB151_19
; %bb.9:                                ;   in Loop: Header=BB151_8 Depth=1
	v_mov_b32_e32 v6, 0
	v_mov_b32_e32 v7, 0
	;; [unrolled: 1-line block ×3, first 2 shown]
	s_mov_b32 s4, s7
	s_branch .LBB151_12
.LBB151_10:                             ;   in Loop: Header=BB151_12 Depth=2
	s_inst_prefetch 0x2
	s_or_b32 exec_lo, exec_lo, s24
.LBB151_11:                             ;   in Loop: Header=BB151_12 Depth=2
	s_or_b32 exec_lo, exec_lo, s23
	v_add_nc_u32_e32 v16, s22, v16
	s_add_i32 s4, s4, 1
	s_cmp_ge_i32 s4, s8
	s_cbranch_scc1 .LBB151_19
.LBB151_12:                             ;   Parent Loop BB151_8 Depth=1
                                        ; =>  This Loop Header: Depth=2
                                        ;       Child Loop BB151_15 Depth 3
	s_and_saveexec_b32 s23, s0
	s_cbranch_execz .LBB151_11
; %bb.13:                               ;   in Loop: Header=BB151_12 Depth=2
	s_ashr_i32 s5, s4, 31
	v_mov_b32_e32 v17, v0
	s_lshl_b64 s[24:25], s[4:5], 2
	s_add_u32 s24, s10, s24
	s_addc_u32 s25, s11, s25
	s_load_dword s5, s[24:25], 0x0
	s_mov_b32 s24, 0
	s_waitcnt lgkmcnt(0)
	s_sub_i32 s25, s5, s12
	s_mul_i32 s5, s4, s15
	s_mul_i32 s25, s25, s15
	s_inst_prefetch 0x1
	s_branch .LBB151_15
	.p2align	6
.LBB151_14:                             ;   in Loop: Header=BB151_15 Depth=3
	v_add_nc_u32_e32 v18, s25, v17
	v_ashrrev_i32_e32 v9, 31, v8
	v_add_nc_u32_e32 v17, 32, v17
	v_ashrrev_i32_e32 v19, 31, v18
	v_lshlrev_b64 v[8:9], 3, v[8:9]
	v_lshlrev_b64 v[18:19], 3, v[18:19]
	v_add_co_u32 v8, vcc_lo, s16, v8
	v_add_co_ci_u32_e64 v9, null, s17, v9, vcc_lo
	v_add_co_u32 v18, vcc_lo, s18, v18
	v_add_co_ci_u32_e64 v19, null, s19, v19, vcc_lo
	v_cmp_le_i32_e32 vcc_lo, s15, v17
	global_load_dwordx2 v[8:9], v[8:9], off
	global_load_dwordx2 v[18:19], v[18:19], off
	s_or_b32 s24, vcc_lo, s24
	s_waitcnt vmcnt(0)
	v_fma_f64 v[6:7], v[8:9], v[18:19], v[6:7]
	s_andn2_b32 exec_lo, exec_lo, s24
	s_cbranch_execz .LBB151_10
.LBB151_15:                             ;   Parent Loop BB151_8 Depth=1
                                        ;     Parent Loop BB151_12 Depth=2
                                        ; =>    This Inner Loop Header: Depth=3
	s_and_b32 vcc_lo, exec_lo, s13
	s_cbranch_vccz .LBB151_17
; %bb.16:                               ;   in Loop: Header=BB151_15 Depth=3
	v_add_nc_u32_e32 v8, s5, v17
	v_mad_u64_u32 v[8:9], null, v8, s14, v[5:6]
	s_cbranch_execnz .LBB151_14
	s_branch .LBB151_18
	.p2align	6
.LBB151_17:                             ;   in Loop: Header=BB151_15 Depth=3
                                        ; implicit-def: $vgpr8
.LBB151_18:                             ;   in Loop: Header=BB151_15 Depth=3
	v_add_nc_u32_e32 v8, v16, v17
	s_branch .LBB151_14
.LBB151_19:                             ;   in Loop: Header=BB151_8 Depth=1
	s_waitcnt lgkmcnt(1)
	ds_bpermute_b32 v8, v10, v6
	s_waitcnt lgkmcnt(1)
	ds_bpermute_b32 v9, v10, v7
	s_waitcnt lgkmcnt(0)
	v_add_f64 v[6:7], v[6:7], v[8:9]
	ds_bpermute_b32 v8, v11, v6
	ds_bpermute_b32 v9, v11, v7
	s_waitcnt lgkmcnt(0)
	v_add_f64 v[6:7], v[6:7], v[8:9]
	ds_bpermute_b32 v8, v12, v6
	;; [unrolled: 4-line block ×4, first 2 shown]
	ds_bpermute_b32 v9, v14, v7
	s_and_saveexec_b32 s4, s1
	s_cbranch_execz .LBB151_7
; %bb.20:                               ;   in Loop: Header=BB151_8 Depth=1
	s_waitcnt lgkmcnt(0)
	v_add_f64 v[6:7], v[6:7], v[8:9]
	v_add_nc_u32_e32 v8, s6, v5
	v_ashrrev_i32_e32 v9, 31, v8
	v_mul_f64 v[6:7], v[1:2], v[6:7]
	s_and_saveexec_b32 s5, s2
	s_xor_b32 s5, exec_lo, s5
	s_cbranch_execz .LBB151_22
; %bb.21:                               ;   in Loop: Header=BB151_8 Depth=1
	v_lshlrev_b64 v[8:9], 3, v[8:9]
	v_add_co_u32 v8, vcc_lo, s20, v8
	v_add_co_ci_u32_e64 v9, null, s21, v9, vcc_lo
	global_store_dwordx2 v[8:9], v[6:7], off
                                        ; implicit-def: $vgpr8
                                        ; implicit-def: $vgpr6_vgpr7
.LBB151_22:                             ;   in Loop: Header=BB151_8 Depth=1
	s_andn2_saveexec_b32 s5, s5
	s_cbranch_execz .LBB151_7
; %bb.23:                               ;   in Loop: Header=BB151_8 Depth=1
	v_lshlrev_b64 v[8:9], 3, v[8:9]
	v_add_co_u32 v8, vcc_lo, s20, v8
	v_add_co_ci_u32_e64 v9, null, s21, v9, vcc_lo
	global_load_dwordx2 v[16:17], v[8:9], off
	s_waitcnt vmcnt(0)
	v_fma_f64 v[6:7], v[3:4], v[16:17], v[6:7]
	global_store_dwordx2 v[8:9], v[6:7], off
	s_branch .LBB151_7
.LBB151_24:
	s_endpgm
	.section	.rodata,"a",@progbits
	.p2align	6, 0x0
	.amdhsa_kernel _ZN9rocsparseL23gebsrmvn_general_kernelILj32ELj32EdEEvi20rocsparse_direction_NS_24const_host_device_scalarIT1_EEPKiS6_PKS3_iiS8_S4_PS3_21rocsparse_index_base_b
		.amdhsa_group_segment_fixed_size 0
		.amdhsa_private_segment_fixed_size 0
		.amdhsa_kernarg_size 80
		.amdhsa_user_sgpr_count 6
		.amdhsa_user_sgpr_private_segment_buffer 1
		.amdhsa_user_sgpr_dispatch_ptr 0
		.amdhsa_user_sgpr_queue_ptr 0
		.amdhsa_user_sgpr_kernarg_segment_ptr 1
		.amdhsa_user_sgpr_dispatch_id 0
		.amdhsa_user_sgpr_flat_scratch_init 0
		.amdhsa_user_sgpr_private_segment_size 0
		.amdhsa_wavefront_size32 1
		.amdhsa_uses_dynamic_stack 0
		.amdhsa_system_sgpr_private_segment_wavefront_offset 0
		.amdhsa_system_sgpr_workgroup_id_x 1
		.amdhsa_system_sgpr_workgroup_id_y 0
		.amdhsa_system_sgpr_workgroup_id_z 0
		.amdhsa_system_sgpr_workgroup_info 0
		.amdhsa_system_vgpr_workitem_id 0
		.amdhsa_next_free_vgpr 20
		.amdhsa_next_free_sgpr 26
		.amdhsa_reserve_vcc 1
		.amdhsa_reserve_flat_scratch 0
		.amdhsa_float_round_mode_32 0
		.amdhsa_float_round_mode_16_64 0
		.amdhsa_float_denorm_mode_32 3
		.amdhsa_float_denorm_mode_16_64 3
		.amdhsa_dx10_clamp 1
		.amdhsa_ieee_mode 1
		.amdhsa_fp16_overflow 0
		.amdhsa_workgroup_processor_mode 1
		.amdhsa_memory_ordered 1
		.amdhsa_forward_progress 1
		.amdhsa_shared_vgpr_count 0
		.amdhsa_exception_fp_ieee_invalid_op 0
		.amdhsa_exception_fp_denorm_src 0
		.amdhsa_exception_fp_ieee_div_zero 0
		.amdhsa_exception_fp_ieee_overflow 0
		.amdhsa_exception_fp_ieee_underflow 0
		.amdhsa_exception_fp_ieee_inexact 0
		.amdhsa_exception_int_div_zero 0
	.end_amdhsa_kernel
	.section	.text._ZN9rocsparseL23gebsrmvn_general_kernelILj32ELj32EdEEvi20rocsparse_direction_NS_24const_host_device_scalarIT1_EEPKiS6_PKS3_iiS8_S4_PS3_21rocsparse_index_base_b,"axG",@progbits,_ZN9rocsparseL23gebsrmvn_general_kernelILj32ELj32EdEEvi20rocsparse_direction_NS_24const_host_device_scalarIT1_EEPKiS6_PKS3_iiS8_S4_PS3_21rocsparse_index_base_b,comdat
.Lfunc_end151:
	.size	_ZN9rocsparseL23gebsrmvn_general_kernelILj32ELj32EdEEvi20rocsparse_direction_NS_24const_host_device_scalarIT1_EEPKiS6_PKS3_iiS8_S4_PS3_21rocsparse_index_base_b, .Lfunc_end151-_ZN9rocsparseL23gebsrmvn_general_kernelILj32ELj32EdEEvi20rocsparse_direction_NS_24const_host_device_scalarIT1_EEPKiS6_PKS3_iiS8_S4_PS3_21rocsparse_index_base_b
                                        ; -- End function
	.set _ZN9rocsparseL23gebsrmvn_general_kernelILj32ELj32EdEEvi20rocsparse_direction_NS_24const_host_device_scalarIT1_EEPKiS6_PKS3_iiS8_S4_PS3_21rocsparse_index_base_b.num_vgpr, 20
	.set _ZN9rocsparseL23gebsrmvn_general_kernelILj32ELj32EdEEvi20rocsparse_direction_NS_24const_host_device_scalarIT1_EEPKiS6_PKS3_iiS8_S4_PS3_21rocsparse_index_base_b.num_agpr, 0
	.set _ZN9rocsparseL23gebsrmvn_general_kernelILj32ELj32EdEEvi20rocsparse_direction_NS_24const_host_device_scalarIT1_EEPKiS6_PKS3_iiS8_S4_PS3_21rocsparse_index_base_b.numbered_sgpr, 26
	.set _ZN9rocsparseL23gebsrmvn_general_kernelILj32ELj32EdEEvi20rocsparse_direction_NS_24const_host_device_scalarIT1_EEPKiS6_PKS3_iiS8_S4_PS3_21rocsparse_index_base_b.num_named_barrier, 0
	.set _ZN9rocsparseL23gebsrmvn_general_kernelILj32ELj32EdEEvi20rocsparse_direction_NS_24const_host_device_scalarIT1_EEPKiS6_PKS3_iiS8_S4_PS3_21rocsparse_index_base_b.private_seg_size, 0
	.set _ZN9rocsparseL23gebsrmvn_general_kernelILj32ELj32EdEEvi20rocsparse_direction_NS_24const_host_device_scalarIT1_EEPKiS6_PKS3_iiS8_S4_PS3_21rocsparse_index_base_b.uses_vcc, 1
	.set _ZN9rocsparseL23gebsrmvn_general_kernelILj32ELj32EdEEvi20rocsparse_direction_NS_24const_host_device_scalarIT1_EEPKiS6_PKS3_iiS8_S4_PS3_21rocsparse_index_base_b.uses_flat_scratch, 0
	.set _ZN9rocsparseL23gebsrmvn_general_kernelILj32ELj32EdEEvi20rocsparse_direction_NS_24const_host_device_scalarIT1_EEPKiS6_PKS3_iiS8_S4_PS3_21rocsparse_index_base_b.has_dyn_sized_stack, 0
	.set _ZN9rocsparseL23gebsrmvn_general_kernelILj32ELj32EdEEvi20rocsparse_direction_NS_24const_host_device_scalarIT1_EEPKiS6_PKS3_iiS8_S4_PS3_21rocsparse_index_base_b.has_recursion, 0
	.set _ZN9rocsparseL23gebsrmvn_general_kernelILj32ELj32EdEEvi20rocsparse_direction_NS_24const_host_device_scalarIT1_EEPKiS6_PKS3_iiS8_S4_PS3_21rocsparse_index_base_b.has_indirect_call, 0
	.section	.AMDGPU.csdata,"",@progbits
; Kernel info:
; codeLenInByte = 1060
; TotalNumSgprs: 28
; NumVgprs: 20
; ScratchSize: 0
; MemoryBound: 0
; FloatMode: 240
; IeeeMode: 1
; LDSByteSize: 0 bytes/workgroup (compile time only)
; SGPRBlocks: 0
; VGPRBlocks: 2
; NumSGPRsForWavesPerEU: 28
; NumVGPRsForWavesPerEU: 20
; Occupancy: 16
; WaveLimiterHint : 1
; COMPUTE_PGM_RSRC2:SCRATCH_EN: 0
; COMPUTE_PGM_RSRC2:USER_SGPR: 6
; COMPUTE_PGM_RSRC2:TRAP_HANDLER: 0
; COMPUTE_PGM_RSRC2:TGID_X_EN: 1
; COMPUTE_PGM_RSRC2:TGID_Y_EN: 0
; COMPUTE_PGM_RSRC2:TGID_Z_EN: 0
; COMPUTE_PGM_RSRC2:TIDIG_COMP_CNT: 0
	.section	.text._ZN9rocsparseL19gebsrmvn_2xn_kernelILj128ELj1ELj4E21rocsparse_complex_numIfEEEvi20rocsparse_direction_NS_24const_host_device_scalarIT2_EEPKiS8_PKS5_SA_S6_PS5_21rocsparse_index_base_b,"axG",@progbits,_ZN9rocsparseL19gebsrmvn_2xn_kernelILj128ELj1ELj4E21rocsparse_complex_numIfEEEvi20rocsparse_direction_NS_24const_host_device_scalarIT2_EEPKiS8_PKS5_SA_S6_PS5_21rocsparse_index_base_b,comdat
	.globl	_ZN9rocsparseL19gebsrmvn_2xn_kernelILj128ELj1ELj4E21rocsparse_complex_numIfEEEvi20rocsparse_direction_NS_24const_host_device_scalarIT2_EEPKiS8_PKS5_SA_S6_PS5_21rocsparse_index_base_b ; -- Begin function _ZN9rocsparseL19gebsrmvn_2xn_kernelILj128ELj1ELj4E21rocsparse_complex_numIfEEEvi20rocsparse_direction_NS_24const_host_device_scalarIT2_EEPKiS8_PKS5_SA_S6_PS5_21rocsparse_index_base_b
	.p2align	8
	.type	_ZN9rocsparseL19gebsrmvn_2xn_kernelILj128ELj1ELj4E21rocsparse_complex_numIfEEEvi20rocsparse_direction_NS_24const_host_device_scalarIT2_EEPKiS8_PKS5_SA_S6_PS5_21rocsparse_index_base_b,@function
_ZN9rocsparseL19gebsrmvn_2xn_kernelILj128ELj1ELj4E21rocsparse_complex_numIfEEEvi20rocsparse_direction_NS_24const_host_device_scalarIT2_EEPKiS8_PKS5_SA_S6_PS5_21rocsparse_index_base_b: ; @_ZN9rocsparseL19gebsrmvn_2xn_kernelILj128ELj1ELj4E21rocsparse_complex_numIfEEEvi20rocsparse_direction_NS_24const_host_device_scalarIT2_EEPKiS8_PKS5_SA_S6_PS5_21rocsparse_index_base_b
; %bb.0:
	s_clause 0x2
	s_load_dwordx2 s[2:3], s[4:5], 0x40
	s_load_dwordx2 s[0:1], s[4:5], 0x8
	;; [unrolled: 1-line block ×3, first 2 shown]
	s_add_u32 s7, s4, 8
	s_addc_u32 s10, s5, 0
	s_add_u32 s11, s4, 48
	s_addc_u32 s12, s5, 0
	s_waitcnt lgkmcnt(0)
	s_bitcmp1_b32 s3, 0
	s_cselect_b32 s0, s7, s0
	s_cselect_b32 s1, s10, s1
	v_mov_b32_e32 v1, s0
	v_mov_b32_e32 v2, s1
	s_cselect_b32 s0, s11, s8
	s_cselect_b32 s1, s12, s9
	v_mov_b32_e32 v3, s0
	v_mov_b32_e32 v4, s1
	flat_load_dwordx2 v[1:2], v[1:2]
	flat_load_dwordx2 v[3:4], v[3:4]
	s_waitcnt vmcnt(1) lgkmcnt(1)
	v_cmp_eq_f32_e32 vcc_lo, 0, v1
	v_cmp_eq_f32_e64 s0, 0, v2
	s_and_b32 s3, vcc_lo, s0
	s_mov_b32 s0, -1
	s_and_saveexec_b32 s1, s3
	s_cbranch_execz .LBB152_2
; %bb.1:
	s_waitcnt vmcnt(0) lgkmcnt(0)
	v_cmp_neq_f32_e32 vcc_lo, 1.0, v3
	v_cmp_neq_f32_e64 s0, 0, v4
	s_or_b32 s0, vcc_lo, s0
	s_orn2_b32 s0, s0, exec_lo
.LBB152_2:
	s_or_b32 exec_lo, exec_lo, s1
	s_and_saveexec_b32 s1, s0
	s_cbranch_execz .LBB152_21
; %bb.3:
	s_load_dwordx2 s[0:1], s[4:5], 0x0
	v_lshrrev_b32_e32 v5, 2, v0
	v_lshl_or_b32 v5, s6, 5, v5
	s_waitcnt lgkmcnt(0)
	v_cmp_gt_i32_e32 vcc_lo, s0, v5
	s_and_b32 exec_lo, exec_lo, vcc_lo
	s_cbranch_execz .LBB152_21
; %bb.4:
	s_load_dwordx8 s[8:15], s[4:5], 0x10
	v_ashrrev_i32_e32 v6, 31, v5
	v_and_b32_e32 v0, 3, v0
	s_cmp_lg_u32 s1, 0
	v_lshlrev_b64 v[6:7], 2, v[5:6]
	s_waitcnt lgkmcnt(0)
	v_add_co_u32 v6, vcc_lo, s8, v6
	v_add_co_ci_u32_e64 v7, null, s9, v7, vcc_lo
	global_load_dwordx2 v[6:7], v[6:7], off
	s_waitcnt vmcnt(0)
	v_subrev_nc_u32_e32 v6, s2, v6
	v_subrev_nc_u32_e32 v15, s2, v7
	v_add_nc_u32_e32 v6, v6, v0
	v_cmp_lt_i32_e64 s0, v6, v15
	s_cbranch_scc0 .LBB152_10
; %bb.5:
	v_mov_b32_e32 v11, 0
	v_mov_b32_e32 v12, 0
	v_mov_b32_e32 v13, 0
	v_mov_b32_e32 v14, 0
	s_and_saveexec_b32 s1, s0
	s_cbranch_execz .LBB152_9
; %bb.6:
	v_mov_b32_e32 v8, 0
	v_lshlrev_b32_e32 v7, 1, v6
	v_mov_b32_e32 v9, v6
	s_mov_b32 s3, 0
	v_mov_b32_e32 v11, v8
	v_mov_b32_e32 v12, v8
	;; [unrolled: 1-line block ×4, first 2 shown]
	s_inst_prefetch 0x1
	.p2align	6
.LBB152_7:                              ; =>This Inner Loop Header: Depth=1
	v_ashrrev_i32_e32 v10, 31, v9
	v_mov_b32_e32 v18, v8
	v_lshlrev_b64 v[16:17], 2, v[9:10]
	v_add_nc_u32_e32 v9, 4, v9
	v_add_co_u32 v16, vcc_lo, s10, v16
	v_add_co_ci_u32_e64 v17, null, s11, v17, vcc_lo
	global_load_dword v10, v[16:17], off
	v_lshlrev_b64 v[16:17], 3, v[7:8]
	v_add_nc_u32_e32 v7, 8, v7
	v_add_co_u32 v19, vcc_lo, s12, v16
	v_add_co_ci_u32_e64 v20, null, s13, v17, vcc_lo
	s_waitcnt vmcnt(0)
	v_subrev_nc_u32_e32 v17, s2, v10
	v_lshlrev_b64 v[16:17], 3, v[17:18]
	v_add_co_u32 v21, vcc_lo, s14, v16
	v_add_co_ci_u32_e64 v22, null, s15, v17, vcc_lo
	v_cmp_ge_i32_e32 vcc_lo, v9, v15
	global_load_dwordx4 v[16:19], v[19:20], off
	global_load_dwordx2 v[20:21], v[21:22], off
	s_or_b32 s3, vcc_lo, s3
	s_waitcnt vmcnt(0)
	v_fmac_f32_e32 v12, v16, v20
	v_fmac_f32_e32 v11, v17, v20
	;; [unrolled: 1-line block ×4, first 2 shown]
	v_fma_f32 v12, -v17, v21, v12
	v_fmac_f32_e32 v11, v16, v21
	v_fma_f32 v13, -v19, v21, v13
	v_fmac_f32_e32 v14, v18, v21
	s_andn2_b32 exec_lo, exec_lo, s3
	s_cbranch_execnz .LBB152_7
; %bb.8:
	s_inst_prefetch 0x2
	s_or_b32 exec_lo, exec_lo, s3
.LBB152_9:
	s_or_b32 exec_lo, exec_lo, s1
	s_cbranch_execz .LBB152_11
	s_branch .LBB152_16
.LBB152_10:
                                        ; implicit-def: $vgpr11
                                        ; implicit-def: $vgpr12
                                        ; implicit-def: $vgpr13
                                        ; implicit-def: $vgpr14
.LBB152_11:
	v_mov_b32_e32 v11, 0
	v_mov_b32_e32 v12, 0
	;; [unrolled: 1-line block ×4, first 2 shown]
	s_and_saveexec_b32 s1, s0
	s_cbranch_execz .LBB152_15
; %bb.12:
	v_mov_b32_e32 v9, 0
	v_lshlrev_b32_e32 v8, 1, v6
	s_mov_b32 s0, 0
	v_mov_b32_e32 v11, v9
	v_mov_b32_e32 v12, v9
	;; [unrolled: 1-line block ×4, first 2 shown]
	s_inst_prefetch 0x1
	.p2align	6
.LBB152_13:                             ; =>This Inner Loop Header: Depth=1
	v_ashrrev_i32_e32 v7, 31, v6
	v_mov_b32_e32 v18, v9
	v_lshlrev_b64 v[16:17], 2, v[6:7]
	v_add_nc_u32_e32 v6, 4, v6
	v_add_co_u32 v16, vcc_lo, s10, v16
	v_add_co_ci_u32_e64 v17, null, s11, v17, vcc_lo
	global_load_dword v7, v[16:17], off
	v_lshlrev_b64 v[16:17], 3, v[8:9]
	v_add_nc_u32_e32 v8, 8, v8
	v_add_co_u32 v19, vcc_lo, s12, v16
	v_add_co_ci_u32_e64 v20, null, s13, v17, vcc_lo
	s_waitcnt vmcnt(0)
	v_subrev_nc_u32_e32 v17, s2, v7
	v_lshlrev_b64 v[16:17], 3, v[17:18]
	v_add_co_u32 v21, vcc_lo, s14, v16
	v_add_co_ci_u32_e64 v22, null, s15, v17, vcc_lo
	v_cmp_ge_i32_e32 vcc_lo, v6, v15
	global_load_dwordx4 v[16:19], v[19:20], off
	global_load_dwordx2 v[20:21], v[21:22], off
	s_or_b32 s0, vcc_lo, s0
	s_waitcnt vmcnt(0)
	v_fmac_f32_e32 v12, v16, v20
	v_fmac_f32_e32 v11, v17, v20
	;; [unrolled: 1-line block ×4, first 2 shown]
	v_fma_f32 v12, -v17, v21, v12
	v_fmac_f32_e32 v11, v16, v21
	v_fma_f32 v13, -v19, v21, v13
	v_fmac_f32_e32 v14, v18, v21
	s_andn2_b32 exec_lo, exec_lo, s0
	s_cbranch_execnz .LBB152_13
; %bb.14:
	s_inst_prefetch 0x2
	s_or_b32 exec_lo, exec_lo, s0
.LBB152_15:
	s_or_b32 exec_lo, exec_lo, s1
.LBB152_16:
	v_mbcnt_lo_u32_b32 v6, -1, 0
	v_xor_b32_e32 v7, 2, v6
	v_xor_b32_e32 v15, 1, v6
	v_cmp_gt_i32_e32 vcc_lo, 32, v7
	v_cndmask_b32_e32 v7, v6, v7, vcc_lo
	v_cmp_gt_i32_e32 vcc_lo, 32, v15
	v_lshlrev_b32_e32 v7, 2, v7
	v_cndmask_b32_e32 v6, v6, v15, vcc_lo
	v_cmp_eq_u32_e32 vcc_lo, 3, v0
	ds_bpermute_b32 v8, v7, v12
	ds_bpermute_b32 v9, v7, v11
	ds_bpermute_b32 v10, v7, v13
	ds_bpermute_b32 v7, v7, v14
	v_lshlrev_b32_e32 v15, 2, v6
	s_waitcnt lgkmcnt(3)
	v_add_f32_e32 v8, v12, v8
	s_waitcnt lgkmcnt(2)
	v_add_f32_e32 v9, v11, v9
	;; [unrolled: 2-line block ×4, first 2 shown]
	ds_bpermute_b32 v12, v15, v8
	ds_bpermute_b32 v13, v15, v9
	;; [unrolled: 1-line block ×4, first 2 shown]
	s_and_b32 exec_lo, exec_lo, vcc_lo
	s_cbranch_execz .LBB152_21
; %bb.17:
	s_load_dwordx2 s[2:3], s[4:5], 0x38
	v_cmp_eq_f32_e32 vcc_lo, 0, v3
	v_cmp_eq_f32_e64 s0, 0, v4
	s_waitcnt lgkmcnt(0)
	v_add_f32_e32 v0, v8, v12
	v_add_f32_e32 v8, v9, v13
	;; [unrolled: 1-line block ×4, first 2 shown]
	s_and_b32 s0, vcc_lo, s0
	s_and_saveexec_b32 s1, s0
	s_xor_b32 s0, exec_lo, s1
	s_cbranch_execz .LBB152_19
; %bb.18:
	v_lshlrev_b32_e32 v3, 1, v5
	v_mul_f32_e64 v9, v8, -v2
	v_mul_f32_e32 v10, v1, v8
	v_mul_f32_e64 v11, v7, -v2
	v_mul_f32_e32 v12, v1, v7
	v_ashrrev_i32_e32 v4, 31, v3
	v_fmac_f32_e32 v9, v1, v0
	v_fmac_f32_e32 v10, v2, v0
	;; [unrolled: 1-line block ×4, first 2 shown]
	v_lshlrev_b64 v[3:4], 3, v[3:4]
                                        ; implicit-def: $vgpr5
                                        ; implicit-def: $vgpr8
                                        ; implicit-def: $vgpr7
                                        ; implicit-def: $vgpr6
	v_add_co_u32 v0, vcc_lo, s2, v3
	v_add_co_ci_u32_e64 v1, null, s3, v4, vcc_lo
                                        ; implicit-def: $vgpr3_vgpr4
	global_store_dwordx4 v[0:1], v[9:12], off
                                        ; implicit-def: $vgpr1_vgpr2
                                        ; implicit-def: $vgpr0
.LBB152_19:
	s_andn2_saveexec_b32 s0, s0
	s_cbranch_execz .LBB152_21
; %bb.20:
	v_lshlrev_b32_e32 v9, 1, v5
	v_mul_f32_e64 v5, v8, -v2
	v_mul_f32_e32 v14, v1, v8
	v_mul_f32_e64 v8, v7, -v2
	v_mul_f32_e32 v16, v1, v7
	v_ashrrev_i32_e32 v10, 31, v9
	v_fmac_f32_e32 v5, v1, v0
	v_fmac_f32_e32 v14, v2, v0
	;; [unrolled: 1-line block ×4, first 2 shown]
	v_lshlrev_b64 v[9:10], 3, v[9:10]
	v_add_co_u32 v17, vcc_lo, s2, v9
	v_add_co_ci_u32_e64 v18, null, s3, v10, vcc_lo
	global_load_dwordx4 v[9:12], v[17:18], off
	s_waitcnt vmcnt(0)
	v_fmac_f32_e32 v5, v3, v9
	v_fmac_f32_e32 v14, v4, v9
	;; [unrolled: 1-line block ×4, first 2 shown]
	v_fma_f32 v13, -v4, v10, v5
	v_fmac_f32_e32 v14, v3, v10
	v_fma_f32 v15, -v4, v12, v8
	v_fmac_f32_e32 v16, v3, v12
	global_store_dwordx4 v[17:18], v[13:16], off
.LBB152_21:
	s_endpgm
	.section	.rodata,"a",@progbits
	.p2align	6, 0x0
	.amdhsa_kernel _ZN9rocsparseL19gebsrmvn_2xn_kernelILj128ELj1ELj4E21rocsparse_complex_numIfEEEvi20rocsparse_direction_NS_24const_host_device_scalarIT2_EEPKiS8_PKS5_SA_S6_PS5_21rocsparse_index_base_b
		.amdhsa_group_segment_fixed_size 0
		.amdhsa_private_segment_fixed_size 0
		.amdhsa_kernarg_size 72
		.amdhsa_user_sgpr_count 6
		.amdhsa_user_sgpr_private_segment_buffer 1
		.amdhsa_user_sgpr_dispatch_ptr 0
		.amdhsa_user_sgpr_queue_ptr 0
		.amdhsa_user_sgpr_kernarg_segment_ptr 1
		.amdhsa_user_sgpr_dispatch_id 0
		.amdhsa_user_sgpr_flat_scratch_init 0
		.amdhsa_user_sgpr_private_segment_size 0
		.amdhsa_wavefront_size32 1
		.amdhsa_uses_dynamic_stack 0
		.amdhsa_system_sgpr_private_segment_wavefront_offset 0
		.amdhsa_system_sgpr_workgroup_id_x 1
		.amdhsa_system_sgpr_workgroup_id_y 0
		.amdhsa_system_sgpr_workgroup_id_z 0
		.amdhsa_system_sgpr_workgroup_info 0
		.amdhsa_system_vgpr_workitem_id 0
		.amdhsa_next_free_vgpr 23
		.amdhsa_next_free_sgpr 16
		.amdhsa_reserve_vcc 1
		.amdhsa_reserve_flat_scratch 0
		.amdhsa_float_round_mode_32 0
		.amdhsa_float_round_mode_16_64 0
		.amdhsa_float_denorm_mode_32 3
		.amdhsa_float_denorm_mode_16_64 3
		.amdhsa_dx10_clamp 1
		.amdhsa_ieee_mode 1
		.amdhsa_fp16_overflow 0
		.amdhsa_workgroup_processor_mode 1
		.amdhsa_memory_ordered 1
		.amdhsa_forward_progress 1
		.amdhsa_shared_vgpr_count 0
		.amdhsa_exception_fp_ieee_invalid_op 0
		.amdhsa_exception_fp_denorm_src 0
		.amdhsa_exception_fp_ieee_div_zero 0
		.amdhsa_exception_fp_ieee_overflow 0
		.amdhsa_exception_fp_ieee_underflow 0
		.amdhsa_exception_fp_ieee_inexact 0
		.amdhsa_exception_int_div_zero 0
	.end_amdhsa_kernel
	.section	.text._ZN9rocsparseL19gebsrmvn_2xn_kernelILj128ELj1ELj4E21rocsparse_complex_numIfEEEvi20rocsparse_direction_NS_24const_host_device_scalarIT2_EEPKiS8_PKS5_SA_S6_PS5_21rocsparse_index_base_b,"axG",@progbits,_ZN9rocsparseL19gebsrmvn_2xn_kernelILj128ELj1ELj4E21rocsparse_complex_numIfEEEvi20rocsparse_direction_NS_24const_host_device_scalarIT2_EEPKiS8_PKS5_SA_S6_PS5_21rocsparse_index_base_b,comdat
.Lfunc_end152:
	.size	_ZN9rocsparseL19gebsrmvn_2xn_kernelILj128ELj1ELj4E21rocsparse_complex_numIfEEEvi20rocsparse_direction_NS_24const_host_device_scalarIT2_EEPKiS8_PKS5_SA_S6_PS5_21rocsparse_index_base_b, .Lfunc_end152-_ZN9rocsparseL19gebsrmvn_2xn_kernelILj128ELj1ELj4E21rocsparse_complex_numIfEEEvi20rocsparse_direction_NS_24const_host_device_scalarIT2_EEPKiS8_PKS5_SA_S6_PS5_21rocsparse_index_base_b
                                        ; -- End function
	.set _ZN9rocsparseL19gebsrmvn_2xn_kernelILj128ELj1ELj4E21rocsparse_complex_numIfEEEvi20rocsparse_direction_NS_24const_host_device_scalarIT2_EEPKiS8_PKS5_SA_S6_PS5_21rocsparse_index_base_b.num_vgpr, 23
	.set _ZN9rocsparseL19gebsrmvn_2xn_kernelILj128ELj1ELj4E21rocsparse_complex_numIfEEEvi20rocsparse_direction_NS_24const_host_device_scalarIT2_EEPKiS8_PKS5_SA_S6_PS5_21rocsparse_index_base_b.num_agpr, 0
	.set _ZN9rocsparseL19gebsrmvn_2xn_kernelILj128ELj1ELj4E21rocsparse_complex_numIfEEEvi20rocsparse_direction_NS_24const_host_device_scalarIT2_EEPKiS8_PKS5_SA_S6_PS5_21rocsparse_index_base_b.numbered_sgpr, 16
	.set _ZN9rocsparseL19gebsrmvn_2xn_kernelILj128ELj1ELj4E21rocsparse_complex_numIfEEEvi20rocsparse_direction_NS_24const_host_device_scalarIT2_EEPKiS8_PKS5_SA_S6_PS5_21rocsparse_index_base_b.num_named_barrier, 0
	.set _ZN9rocsparseL19gebsrmvn_2xn_kernelILj128ELj1ELj4E21rocsparse_complex_numIfEEEvi20rocsparse_direction_NS_24const_host_device_scalarIT2_EEPKiS8_PKS5_SA_S6_PS5_21rocsparse_index_base_b.private_seg_size, 0
	.set _ZN9rocsparseL19gebsrmvn_2xn_kernelILj128ELj1ELj4E21rocsparse_complex_numIfEEEvi20rocsparse_direction_NS_24const_host_device_scalarIT2_EEPKiS8_PKS5_SA_S6_PS5_21rocsparse_index_base_b.uses_vcc, 1
	.set _ZN9rocsparseL19gebsrmvn_2xn_kernelILj128ELj1ELj4E21rocsparse_complex_numIfEEEvi20rocsparse_direction_NS_24const_host_device_scalarIT2_EEPKiS8_PKS5_SA_S6_PS5_21rocsparse_index_base_b.uses_flat_scratch, 0
	.set _ZN9rocsparseL19gebsrmvn_2xn_kernelILj128ELj1ELj4E21rocsparse_complex_numIfEEEvi20rocsparse_direction_NS_24const_host_device_scalarIT2_EEPKiS8_PKS5_SA_S6_PS5_21rocsparse_index_base_b.has_dyn_sized_stack, 0
	.set _ZN9rocsparseL19gebsrmvn_2xn_kernelILj128ELj1ELj4E21rocsparse_complex_numIfEEEvi20rocsparse_direction_NS_24const_host_device_scalarIT2_EEPKiS8_PKS5_SA_S6_PS5_21rocsparse_index_base_b.has_recursion, 0
	.set _ZN9rocsparseL19gebsrmvn_2xn_kernelILj128ELj1ELj4E21rocsparse_complex_numIfEEEvi20rocsparse_direction_NS_24const_host_device_scalarIT2_EEPKiS8_PKS5_SA_S6_PS5_21rocsparse_index_base_b.has_indirect_call, 0
	.section	.AMDGPU.csdata,"",@progbits
; Kernel info:
; codeLenInByte = 1260
; TotalNumSgprs: 18
; NumVgprs: 23
; ScratchSize: 0
; MemoryBound: 0
; FloatMode: 240
; IeeeMode: 1
; LDSByteSize: 0 bytes/workgroup (compile time only)
; SGPRBlocks: 0
; VGPRBlocks: 2
; NumSGPRsForWavesPerEU: 18
; NumVGPRsForWavesPerEU: 23
; Occupancy: 16
; WaveLimiterHint : 1
; COMPUTE_PGM_RSRC2:SCRATCH_EN: 0
; COMPUTE_PGM_RSRC2:USER_SGPR: 6
; COMPUTE_PGM_RSRC2:TRAP_HANDLER: 0
; COMPUTE_PGM_RSRC2:TGID_X_EN: 1
; COMPUTE_PGM_RSRC2:TGID_Y_EN: 0
; COMPUTE_PGM_RSRC2:TGID_Z_EN: 0
; COMPUTE_PGM_RSRC2:TIDIG_COMP_CNT: 0
	.section	.text._ZN9rocsparseL19gebsrmvn_2xn_kernelILj128ELj1ELj8E21rocsparse_complex_numIfEEEvi20rocsparse_direction_NS_24const_host_device_scalarIT2_EEPKiS8_PKS5_SA_S6_PS5_21rocsparse_index_base_b,"axG",@progbits,_ZN9rocsparseL19gebsrmvn_2xn_kernelILj128ELj1ELj8E21rocsparse_complex_numIfEEEvi20rocsparse_direction_NS_24const_host_device_scalarIT2_EEPKiS8_PKS5_SA_S6_PS5_21rocsparse_index_base_b,comdat
	.globl	_ZN9rocsparseL19gebsrmvn_2xn_kernelILj128ELj1ELj8E21rocsparse_complex_numIfEEEvi20rocsparse_direction_NS_24const_host_device_scalarIT2_EEPKiS8_PKS5_SA_S6_PS5_21rocsparse_index_base_b ; -- Begin function _ZN9rocsparseL19gebsrmvn_2xn_kernelILj128ELj1ELj8E21rocsparse_complex_numIfEEEvi20rocsparse_direction_NS_24const_host_device_scalarIT2_EEPKiS8_PKS5_SA_S6_PS5_21rocsparse_index_base_b
	.p2align	8
	.type	_ZN9rocsparseL19gebsrmvn_2xn_kernelILj128ELj1ELj8E21rocsparse_complex_numIfEEEvi20rocsparse_direction_NS_24const_host_device_scalarIT2_EEPKiS8_PKS5_SA_S6_PS5_21rocsparse_index_base_b,@function
_ZN9rocsparseL19gebsrmvn_2xn_kernelILj128ELj1ELj8E21rocsparse_complex_numIfEEEvi20rocsparse_direction_NS_24const_host_device_scalarIT2_EEPKiS8_PKS5_SA_S6_PS5_21rocsparse_index_base_b: ; @_ZN9rocsparseL19gebsrmvn_2xn_kernelILj128ELj1ELj8E21rocsparse_complex_numIfEEEvi20rocsparse_direction_NS_24const_host_device_scalarIT2_EEPKiS8_PKS5_SA_S6_PS5_21rocsparse_index_base_b
; %bb.0:
	s_clause 0x2
	s_load_dwordx2 s[2:3], s[4:5], 0x40
	s_load_dwordx2 s[0:1], s[4:5], 0x8
	;; [unrolled: 1-line block ×3, first 2 shown]
	s_add_u32 s7, s4, 8
	s_addc_u32 s10, s5, 0
	s_add_u32 s11, s4, 48
	s_addc_u32 s12, s5, 0
	s_waitcnt lgkmcnt(0)
	s_bitcmp1_b32 s3, 0
	s_cselect_b32 s0, s7, s0
	s_cselect_b32 s1, s10, s1
	v_mov_b32_e32 v1, s0
	v_mov_b32_e32 v2, s1
	s_cselect_b32 s0, s11, s8
	s_cselect_b32 s1, s12, s9
	v_mov_b32_e32 v3, s0
	v_mov_b32_e32 v4, s1
	flat_load_dwordx2 v[1:2], v[1:2]
	flat_load_dwordx2 v[3:4], v[3:4]
	s_waitcnt vmcnt(1) lgkmcnt(1)
	v_cmp_eq_f32_e32 vcc_lo, 0, v1
	v_cmp_eq_f32_e64 s0, 0, v2
	s_and_b32 s3, vcc_lo, s0
	s_mov_b32 s0, -1
	s_and_saveexec_b32 s1, s3
	s_cbranch_execz .LBB153_2
; %bb.1:
	s_waitcnt vmcnt(0) lgkmcnt(0)
	v_cmp_neq_f32_e32 vcc_lo, 1.0, v3
	v_cmp_neq_f32_e64 s0, 0, v4
	s_or_b32 s0, vcc_lo, s0
	s_orn2_b32 s0, s0, exec_lo
.LBB153_2:
	s_or_b32 exec_lo, exec_lo, s1
	s_and_saveexec_b32 s1, s0
	s_cbranch_execz .LBB153_21
; %bb.3:
	s_load_dwordx2 s[0:1], s[4:5], 0x0
	v_lshrrev_b32_e32 v5, 3, v0
	v_lshl_or_b32 v5, s6, 4, v5
	s_waitcnt lgkmcnt(0)
	v_cmp_gt_i32_e32 vcc_lo, s0, v5
	s_and_b32 exec_lo, exec_lo, vcc_lo
	s_cbranch_execz .LBB153_21
; %bb.4:
	s_load_dwordx8 s[8:15], s[4:5], 0x10
	v_ashrrev_i32_e32 v6, 31, v5
	v_and_b32_e32 v0, 7, v0
	s_cmp_lg_u32 s1, 0
	v_lshlrev_b64 v[6:7], 2, v[5:6]
	s_waitcnt lgkmcnt(0)
	v_add_co_u32 v6, vcc_lo, s8, v6
	v_add_co_ci_u32_e64 v7, null, s9, v7, vcc_lo
	global_load_dwordx2 v[6:7], v[6:7], off
	s_waitcnt vmcnt(0)
	v_subrev_nc_u32_e32 v6, s2, v6
	v_subrev_nc_u32_e32 v15, s2, v7
	v_add_nc_u32_e32 v6, v6, v0
	v_cmp_lt_i32_e64 s0, v6, v15
	s_cbranch_scc0 .LBB153_10
; %bb.5:
	v_mov_b32_e32 v11, 0
	v_mov_b32_e32 v12, 0
	;; [unrolled: 1-line block ×4, first 2 shown]
	s_and_saveexec_b32 s1, s0
	s_cbranch_execz .LBB153_9
; %bb.6:
	v_mov_b32_e32 v8, 0
	v_lshlrev_b32_e32 v7, 1, v6
	v_mov_b32_e32 v9, v6
	s_mov_b32 s3, 0
	v_mov_b32_e32 v11, v8
	v_mov_b32_e32 v12, v8
	;; [unrolled: 1-line block ×4, first 2 shown]
	s_inst_prefetch 0x1
	.p2align	6
.LBB153_7:                              ; =>This Inner Loop Header: Depth=1
	v_ashrrev_i32_e32 v10, 31, v9
	v_mov_b32_e32 v18, v8
	v_lshlrev_b64 v[16:17], 2, v[9:10]
	v_add_nc_u32_e32 v9, 8, v9
	v_add_co_u32 v16, vcc_lo, s10, v16
	v_add_co_ci_u32_e64 v17, null, s11, v17, vcc_lo
	global_load_dword v10, v[16:17], off
	v_lshlrev_b64 v[16:17], 3, v[7:8]
	v_add_nc_u32_e32 v7, 16, v7
	v_add_co_u32 v19, vcc_lo, s12, v16
	v_add_co_ci_u32_e64 v20, null, s13, v17, vcc_lo
	s_waitcnt vmcnt(0)
	v_subrev_nc_u32_e32 v17, s2, v10
	v_lshlrev_b64 v[16:17], 3, v[17:18]
	v_add_co_u32 v21, vcc_lo, s14, v16
	v_add_co_ci_u32_e64 v22, null, s15, v17, vcc_lo
	v_cmp_ge_i32_e32 vcc_lo, v9, v15
	global_load_dwordx4 v[16:19], v[19:20], off
	global_load_dwordx2 v[20:21], v[21:22], off
	s_or_b32 s3, vcc_lo, s3
	s_waitcnt vmcnt(0)
	v_fmac_f32_e32 v12, v16, v20
	v_fmac_f32_e32 v11, v17, v20
	;; [unrolled: 1-line block ×4, first 2 shown]
	v_fma_f32 v12, -v17, v21, v12
	v_fmac_f32_e32 v11, v16, v21
	v_fma_f32 v13, -v19, v21, v13
	v_fmac_f32_e32 v14, v18, v21
	s_andn2_b32 exec_lo, exec_lo, s3
	s_cbranch_execnz .LBB153_7
; %bb.8:
	s_inst_prefetch 0x2
	s_or_b32 exec_lo, exec_lo, s3
.LBB153_9:
	s_or_b32 exec_lo, exec_lo, s1
	s_cbranch_execz .LBB153_11
	s_branch .LBB153_16
.LBB153_10:
                                        ; implicit-def: $vgpr11
                                        ; implicit-def: $vgpr12
                                        ; implicit-def: $vgpr13
                                        ; implicit-def: $vgpr14
.LBB153_11:
	v_mov_b32_e32 v11, 0
	v_mov_b32_e32 v12, 0
	;; [unrolled: 1-line block ×4, first 2 shown]
	s_and_saveexec_b32 s1, s0
	s_cbranch_execz .LBB153_15
; %bb.12:
	v_mov_b32_e32 v9, 0
	v_lshlrev_b32_e32 v8, 1, v6
	s_mov_b32 s0, 0
	v_mov_b32_e32 v11, v9
	v_mov_b32_e32 v12, v9
	;; [unrolled: 1-line block ×4, first 2 shown]
	s_inst_prefetch 0x1
	.p2align	6
.LBB153_13:                             ; =>This Inner Loop Header: Depth=1
	v_ashrrev_i32_e32 v7, 31, v6
	v_mov_b32_e32 v18, v9
	v_lshlrev_b64 v[16:17], 2, v[6:7]
	v_add_nc_u32_e32 v6, 8, v6
	v_add_co_u32 v16, vcc_lo, s10, v16
	v_add_co_ci_u32_e64 v17, null, s11, v17, vcc_lo
	global_load_dword v7, v[16:17], off
	v_lshlrev_b64 v[16:17], 3, v[8:9]
	v_add_nc_u32_e32 v8, 16, v8
	v_add_co_u32 v19, vcc_lo, s12, v16
	v_add_co_ci_u32_e64 v20, null, s13, v17, vcc_lo
	s_waitcnt vmcnt(0)
	v_subrev_nc_u32_e32 v17, s2, v7
	v_lshlrev_b64 v[16:17], 3, v[17:18]
	v_add_co_u32 v21, vcc_lo, s14, v16
	v_add_co_ci_u32_e64 v22, null, s15, v17, vcc_lo
	v_cmp_ge_i32_e32 vcc_lo, v6, v15
	global_load_dwordx4 v[16:19], v[19:20], off
	global_load_dwordx2 v[20:21], v[21:22], off
	s_or_b32 s0, vcc_lo, s0
	s_waitcnt vmcnt(0)
	v_fmac_f32_e32 v12, v16, v20
	v_fmac_f32_e32 v11, v17, v20
	;; [unrolled: 1-line block ×4, first 2 shown]
	v_fma_f32 v12, -v17, v21, v12
	v_fmac_f32_e32 v11, v16, v21
	v_fma_f32 v13, -v19, v21, v13
	v_fmac_f32_e32 v14, v18, v21
	s_andn2_b32 exec_lo, exec_lo, s0
	s_cbranch_execnz .LBB153_13
; %bb.14:
	s_inst_prefetch 0x2
	s_or_b32 exec_lo, exec_lo, s0
.LBB153_15:
	s_or_b32 exec_lo, exec_lo, s1
.LBB153_16:
	v_mbcnt_lo_u32_b32 v6, -1, 0
	v_xor_b32_e32 v7, 4, v6
	v_xor_b32_e32 v15, 2, v6
	v_cmp_gt_i32_e32 vcc_lo, 32, v7
	v_cndmask_b32_e32 v7, v6, v7, vcc_lo
	v_cmp_gt_i32_e32 vcc_lo, 32, v15
	v_lshlrev_b32_e32 v7, 2, v7
	v_cndmask_b32_e32 v15, v6, v15, vcc_lo
	ds_bpermute_b32 v8, v7, v12
	ds_bpermute_b32 v9, v7, v11
	;; [unrolled: 1-line block ×4, first 2 shown]
	v_lshlrev_b32_e32 v15, 2, v15
	s_waitcnt lgkmcnt(3)
	v_add_f32_e32 v8, v12, v8
	s_waitcnt lgkmcnt(2)
	v_add_f32_e32 v9, v11, v9
	;; [unrolled: 2-line block ×4, first 2 shown]
	ds_bpermute_b32 v11, v15, v8
	ds_bpermute_b32 v12, v15, v9
	ds_bpermute_b32 v13, v15, v10
	ds_bpermute_b32 v14, v15, v7
	v_xor_b32_e32 v15, 1, v6
	v_cmp_gt_i32_e32 vcc_lo, 32, v15
	v_cndmask_b32_e32 v6, v6, v15, vcc_lo
	v_cmp_eq_u32_e32 vcc_lo, 7, v0
	v_lshlrev_b32_e32 v15, 2, v6
	s_waitcnt lgkmcnt(3)
	v_add_f32_e32 v8, v8, v11
	s_waitcnt lgkmcnt(2)
	v_add_f32_e32 v9, v9, v12
	;; [unrolled: 2-line block ×4, first 2 shown]
	ds_bpermute_b32 v12, v15, v8
	ds_bpermute_b32 v13, v15, v9
	ds_bpermute_b32 v10, v15, v6
	ds_bpermute_b32 v11, v15, v7
	s_and_b32 exec_lo, exec_lo, vcc_lo
	s_cbranch_execz .LBB153_21
; %bb.17:
	s_load_dwordx2 s[2:3], s[4:5], 0x38
	v_cmp_eq_f32_e32 vcc_lo, 0, v3
	v_cmp_eq_f32_e64 s0, 0, v4
	s_waitcnt lgkmcnt(0)
	v_add_f32_e32 v0, v8, v12
	v_add_f32_e32 v8, v9, v13
	;; [unrolled: 1-line block ×4, first 2 shown]
	s_and_b32 s0, vcc_lo, s0
	s_and_saveexec_b32 s1, s0
	s_xor_b32 s0, exec_lo, s1
	s_cbranch_execz .LBB153_19
; %bb.18:
	v_lshlrev_b32_e32 v3, 1, v5
	v_mul_f32_e64 v9, v8, -v2
	v_mul_f32_e32 v10, v1, v8
	v_mul_f32_e64 v11, v7, -v2
	v_mul_f32_e32 v12, v1, v7
	v_ashrrev_i32_e32 v4, 31, v3
	v_fmac_f32_e32 v9, v1, v0
	v_fmac_f32_e32 v10, v2, v0
	;; [unrolled: 1-line block ×4, first 2 shown]
	v_lshlrev_b64 v[3:4], 3, v[3:4]
                                        ; implicit-def: $vgpr5
                                        ; implicit-def: $vgpr8
                                        ; implicit-def: $vgpr7
                                        ; implicit-def: $vgpr6
	v_add_co_u32 v0, vcc_lo, s2, v3
	v_add_co_ci_u32_e64 v1, null, s3, v4, vcc_lo
                                        ; implicit-def: $vgpr3_vgpr4
	global_store_dwordx4 v[0:1], v[9:12], off
                                        ; implicit-def: $vgpr1_vgpr2
                                        ; implicit-def: $vgpr0
.LBB153_19:
	s_andn2_saveexec_b32 s0, s0
	s_cbranch_execz .LBB153_21
; %bb.20:
	v_lshlrev_b32_e32 v9, 1, v5
	v_mul_f32_e64 v5, v8, -v2
	v_mul_f32_e32 v14, v1, v8
	v_mul_f32_e64 v8, v7, -v2
	v_mul_f32_e32 v16, v1, v7
	v_ashrrev_i32_e32 v10, 31, v9
	v_fmac_f32_e32 v5, v1, v0
	v_fmac_f32_e32 v14, v2, v0
	;; [unrolled: 1-line block ×4, first 2 shown]
	v_lshlrev_b64 v[9:10], 3, v[9:10]
	v_add_co_u32 v17, vcc_lo, s2, v9
	v_add_co_ci_u32_e64 v18, null, s3, v10, vcc_lo
	global_load_dwordx4 v[9:12], v[17:18], off
	s_waitcnt vmcnt(0)
	v_fmac_f32_e32 v5, v3, v9
	v_fmac_f32_e32 v14, v4, v9
	;; [unrolled: 1-line block ×4, first 2 shown]
	v_fma_f32 v13, -v4, v10, v5
	v_fmac_f32_e32 v14, v3, v10
	v_fma_f32 v15, -v4, v12, v8
	v_fmac_f32_e32 v16, v3, v12
	global_store_dwordx4 v[17:18], v[13:16], off
.LBB153_21:
	s_endpgm
	.section	.rodata,"a",@progbits
	.p2align	6, 0x0
	.amdhsa_kernel _ZN9rocsparseL19gebsrmvn_2xn_kernelILj128ELj1ELj8E21rocsparse_complex_numIfEEEvi20rocsparse_direction_NS_24const_host_device_scalarIT2_EEPKiS8_PKS5_SA_S6_PS5_21rocsparse_index_base_b
		.amdhsa_group_segment_fixed_size 0
		.amdhsa_private_segment_fixed_size 0
		.amdhsa_kernarg_size 72
		.amdhsa_user_sgpr_count 6
		.amdhsa_user_sgpr_private_segment_buffer 1
		.amdhsa_user_sgpr_dispatch_ptr 0
		.amdhsa_user_sgpr_queue_ptr 0
		.amdhsa_user_sgpr_kernarg_segment_ptr 1
		.amdhsa_user_sgpr_dispatch_id 0
		.amdhsa_user_sgpr_flat_scratch_init 0
		.amdhsa_user_sgpr_private_segment_size 0
		.amdhsa_wavefront_size32 1
		.amdhsa_uses_dynamic_stack 0
		.amdhsa_system_sgpr_private_segment_wavefront_offset 0
		.amdhsa_system_sgpr_workgroup_id_x 1
		.amdhsa_system_sgpr_workgroup_id_y 0
		.amdhsa_system_sgpr_workgroup_id_z 0
		.amdhsa_system_sgpr_workgroup_info 0
		.amdhsa_system_vgpr_workitem_id 0
		.amdhsa_next_free_vgpr 23
		.amdhsa_next_free_sgpr 16
		.amdhsa_reserve_vcc 1
		.amdhsa_reserve_flat_scratch 0
		.amdhsa_float_round_mode_32 0
		.amdhsa_float_round_mode_16_64 0
		.amdhsa_float_denorm_mode_32 3
		.amdhsa_float_denorm_mode_16_64 3
		.amdhsa_dx10_clamp 1
		.amdhsa_ieee_mode 1
		.amdhsa_fp16_overflow 0
		.amdhsa_workgroup_processor_mode 1
		.amdhsa_memory_ordered 1
		.amdhsa_forward_progress 1
		.amdhsa_shared_vgpr_count 0
		.amdhsa_exception_fp_ieee_invalid_op 0
		.amdhsa_exception_fp_denorm_src 0
		.amdhsa_exception_fp_ieee_div_zero 0
		.amdhsa_exception_fp_ieee_overflow 0
		.amdhsa_exception_fp_ieee_underflow 0
		.amdhsa_exception_fp_ieee_inexact 0
		.amdhsa_exception_int_div_zero 0
	.end_amdhsa_kernel
	.section	.text._ZN9rocsparseL19gebsrmvn_2xn_kernelILj128ELj1ELj8E21rocsparse_complex_numIfEEEvi20rocsparse_direction_NS_24const_host_device_scalarIT2_EEPKiS8_PKS5_SA_S6_PS5_21rocsparse_index_base_b,"axG",@progbits,_ZN9rocsparseL19gebsrmvn_2xn_kernelILj128ELj1ELj8E21rocsparse_complex_numIfEEEvi20rocsparse_direction_NS_24const_host_device_scalarIT2_EEPKiS8_PKS5_SA_S6_PS5_21rocsparse_index_base_b,comdat
.Lfunc_end153:
	.size	_ZN9rocsparseL19gebsrmvn_2xn_kernelILj128ELj1ELj8E21rocsparse_complex_numIfEEEvi20rocsparse_direction_NS_24const_host_device_scalarIT2_EEPKiS8_PKS5_SA_S6_PS5_21rocsparse_index_base_b, .Lfunc_end153-_ZN9rocsparseL19gebsrmvn_2xn_kernelILj128ELj1ELj8E21rocsparse_complex_numIfEEEvi20rocsparse_direction_NS_24const_host_device_scalarIT2_EEPKiS8_PKS5_SA_S6_PS5_21rocsparse_index_base_b
                                        ; -- End function
	.set _ZN9rocsparseL19gebsrmvn_2xn_kernelILj128ELj1ELj8E21rocsparse_complex_numIfEEEvi20rocsparse_direction_NS_24const_host_device_scalarIT2_EEPKiS8_PKS5_SA_S6_PS5_21rocsparse_index_base_b.num_vgpr, 23
	.set _ZN9rocsparseL19gebsrmvn_2xn_kernelILj128ELj1ELj8E21rocsparse_complex_numIfEEEvi20rocsparse_direction_NS_24const_host_device_scalarIT2_EEPKiS8_PKS5_SA_S6_PS5_21rocsparse_index_base_b.num_agpr, 0
	.set _ZN9rocsparseL19gebsrmvn_2xn_kernelILj128ELj1ELj8E21rocsparse_complex_numIfEEEvi20rocsparse_direction_NS_24const_host_device_scalarIT2_EEPKiS8_PKS5_SA_S6_PS5_21rocsparse_index_base_b.numbered_sgpr, 16
	.set _ZN9rocsparseL19gebsrmvn_2xn_kernelILj128ELj1ELj8E21rocsparse_complex_numIfEEEvi20rocsparse_direction_NS_24const_host_device_scalarIT2_EEPKiS8_PKS5_SA_S6_PS5_21rocsparse_index_base_b.num_named_barrier, 0
	.set _ZN9rocsparseL19gebsrmvn_2xn_kernelILj128ELj1ELj8E21rocsparse_complex_numIfEEEvi20rocsparse_direction_NS_24const_host_device_scalarIT2_EEPKiS8_PKS5_SA_S6_PS5_21rocsparse_index_base_b.private_seg_size, 0
	.set _ZN9rocsparseL19gebsrmvn_2xn_kernelILj128ELj1ELj8E21rocsparse_complex_numIfEEEvi20rocsparse_direction_NS_24const_host_device_scalarIT2_EEPKiS8_PKS5_SA_S6_PS5_21rocsparse_index_base_b.uses_vcc, 1
	.set _ZN9rocsparseL19gebsrmvn_2xn_kernelILj128ELj1ELj8E21rocsparse_complex_numIfEEEvi20rocsparse_direction_NS_24const_host_device_scalarIT2_EEPKiS8_PKS5_SA_S6_PS5_21rocsparse_index_base_b.uses_flat_scratch, 0
	.set _ZN9rocsparseL19gebsrmvn_2xn_kernelILj128ELj1ELj8E21rocsparse_complex_numIfEEEvi20rocsparse_direction_NS_24const_host_device_scalarIT2_EEPKiS8_PKS5_SA_S6_PS5_21rocsparse_index_base_b.has_dyn_sized_stack, 0
	.set _ZN9rocsparseL19gebsrmvn_2xn_kernelILj128ELj1ELj8E21rocsparse_complex_numIfEEEvi20rocsparse_direction_NS_24const_host_device_scalarIT2_EEPKiS8_PKS5_SA_S6_PS5_21rocsparse_index_base_b.has_recursion, 0
	.set _ZN9rocsparseL19gebsrmvn_2xn_kernelILj128ELj1ELj8E21rocsparse_complex_numIfEEEvi20rocsparse_direction_NS_24const_host_device_scalarIT2_EEPKiS8_PKS5_SA_S6_PS5_21rocsparse_index_base_b.has_indirect_call, 0
	.section	.AMDGPU.csdata,"",@progbits
; Kernel info:
; codeLenInByte = 1340
; TotalNumSgprs: 18
; NumVgprs: 23
; ScratchSize: 0
; MemoryBound: 0
; FloatMode: 240
; IeeeMode: 1
; LDSByteSize: 0 bytes/workgroup (compile time only)
; SGPRBlocks: 0
; VGPRBlocks: 2
; NumSGPRsForWavesPerEU: 18
; NumVGPRsForWavesPerEU: 23
; Occupancy: 16
; WaveLimiterHint : 1
; COMPUTE_PGM_RSRC2:SCRATCH_EN: 0
; COMPUTE_PGM_RSRC2:USER_SGPR: 6
; COMPUTE_PGM_RSRC2:TRAP_HANDLER: 0
; COMPUTE_PGM_RSRC2:TGID_X_EN: 1
; COMPUTE_PGM_RSRC2:TGID_Y_EN: 0
; COMPUTE_PGM_RSRC2:TGID_Z_EN: 0
; COMPUTE_PGM_RSRC2:TIDIG_COMP_CNT: 0
	.section	.text._ZN9rocsparseL19gebsrmvn_2xn_kernelILj128ELj1ELj16E21rocsparse_complex_numIfEEEvi20rocsparse_direction_NS_24const_host_device_scalarIT2_EEPKiS8_PKS5_SA_S6_PS5_21rocsparse_index_base_b,"axG",@progbits,_ZN9rocsparseL19gebsrmvn_2xn_kernelILj128ELj1ELj16E21rocsparse_complex_numIfEEEvi20rocsparse_direction_NS_24const_host_device_scalarIT2_EEPKiS8_PKS5_SA_S6_PS5_21rocsparse_index_base_b,comdat
	.globl	_ZN9rocsparseL19gebsrmvn_2xn_kernelILj128ELj1ELj16E21rocsparse_complex_numIfEEEvi20rocsparse_direction_NS_24const_host_device_scalarIT2_EEPKiS8_PKS5_SA_S6_PS5_21rocsparse_index_base_b ; -- Begin function _ZN9rocsparseL19gebsrmvn_2xn_kernelILj128ELj1ELj16E21rocsparse_complex_numIfEEEvi20rocsparse_direction_NS_24const_host_device_scalarIT2_EEPKiS8_PKS5_SA_S6_PS5_21rocsparse_index_base_b
	.p2align	8
	.type	_ZN9rocsparseL19gebsrmvn_2xn_kernelILj128ELj1ELj16E21rocsparse_complex_numIfEEEvi20rocsparse_direction_NS_24const_host_device_scalarIT2_EEPKiS8_PKS5_SA_S6_PS5_21rocsparse_index_base_b,@function
_ZN9rocsparseL19gebsrmvn_2xn_kernelILj128ELj1ELj16E21rocsparse_complex_numIfEEEvi20rocsparse_direction_NS_24const_host_device_scalarIT2_EEPKiS8_PKS5_SA_S6_PS5_21rocsparse_index_base_b: ; @_ZN9rocsparseL19gebsrmvn_2xn_kernelILj128ELj1ELj16E21rocsparse_complex_numIfEEEvi20rocsparse_direction_NS_24const_host_device_scalarIT2_EEPKiS8_PKS5_SA_S6_PS5_21rocsparse_index_base_b
; %bb.0:
	s_clause 0x2
	s_load_dwordx2 s[2:3], s[4:5], 0x40
	s_load_dwordx2 s[0:1], s[4:5], 0x8
	;; [unrolled: 1-line block ×3, first 2 shown]
	s_add_u32 s7, s4, 8
	s_addc_u32 s10, s5, 0
	s_add_u32 s11, s4, 48
	s_addc_u32 s12, s5, 0
	s_waitcnt lgkmcnt(0)
	s_bitcmp1_b32 s3, 0
	s_cselect_b32 s0, s7, s0
	s_cselect_b32 s1, s10, s1
	v_mov_b32_e32 v1, s0
	v_mov_b32_e32 v2, s1
	s_cselect_b32 s0, s11, s8
	s_cselect_b32 s1, s12, s9
	v_mov_b32_e32 v3, s0
	v_mov_b32_e32 v4, s1
	flat_load_dwordx2 v[1:2], v[1:2]
	flat_load_dwordx2 v[3:4], v[3:4]
	s_waitcnt vmcnt(1) lgkmcnt(1)
	v_cmp_eq_f32_e32 vcc_lo, 0, v1
	v_cmp_eq_f32_e64 s0, 0, v2
	s_and_b32 s3, vcc_lo, s0
	s_mov_b32 s0, -1
	s_and_saveexec_b32 s1, s3
	s_cbranch_execz .LBB154_2
; %bb.1:
	s_waitcnt vmcnt(0) lgkmcnt(0)
	v_cmp_neq_f32_e32 vcc_lo, 1.0, v3
	v_cmp_neq_f32_e64 s0, 0, v4
	s_or_b32 s0, vcc_lo, s0
	s_orn2_b32 s0, s0, exec_lo
.LBB154_2:
	s_or_b32 exec_lo, exec_lo, s1
	s_and_saveexec_b32 s1, s0
	s_cbranch_execz .LBB154_21
; %bb.3:
	s_load_dwordx2 s[0:1], s[4:5], 0x0
	v_lshrrev_b32_e32 v5, 4, v0
	v_lshl_or_b32 v5, s6, 3, v5
	s_waitcnt lgkmcnt(0)
	v_cmp_gt_i32_e32 vcc_lo, s0, v5
	s_and_b32 exec_lo, exec_lo, vcc_lo
	s_cbranch_execz .LBB154_21
; %bb.4:
	s_load_dwordx8 s[8:15], s[4:5], 0x10
	v_ashrrev_i32_e32 v6, 31, v5
	v_and_b32_e32 v0, 15, v0
	s_cmp_lg_u32 s1, 0
	v_lshlrev_b64 v[6:7], 2, v[5:6]
	s_waitcnt lgkmcnt(0)
	v_add_co_u32 v6, vcc_lo, s8, v6
	v_add_co_ci_u32_e64 v7, null, s9, v7, vcc_lo
	global_load_dwordx2 v[6:7], v[6:7], off
	s_waitcnt vmcnt(0)
	v_subrev_nc_u32_e32 v6, s2, v6
	v_subrev_nc_u32_e32 v15, s2, v7
	v_add_nc_u32_e32 v6, v6, v0
	v_cmp_lt_i32_e64 s0, v6, v15
	s_cbranch_scc0 .LBB154_10
; %bb.5:
	v_mov_b32_e32 v11, 0
	v_mov_b32_e32 v12, 0
	;; [unrolled: 1-line block ×4, first 2 shown]
	s_and_saveexec_b32 s1, s0
	s_cbranch_execz .LBB154_9
; %bb.6:
	v_mov_b32_e32 v8, 0
	v_lshlrev_b32_e32 v7, 1, v6
	v_mov_b32_e32 v9, v6
	s_mov_b32 s3, 0
	v_mov_b32_e32 v11, v8
	v_mov_b32_e32 v12, v8
	;; [unrolled: 1-line block ×4, first 2 shown]
	s_inst_prefetch 0x1
	.p2align	6
.LBB154_7:                              ; =>This Inner Loop Header: Depth=1
	v_ashrrev_i32_e32 v10, 31, v9
	v_mov_b32_e32 v18, v8
	v_lshlrev_b64 v[16:17], 2, v[9:10]
	v_add_nc_u32_e32 v9, 16, v9
	v_add_co_u32 v16, vcc_lo, s10, v16
	v_add_co_ci_u32_e64 v17, null, s11, v17, vcc_lo
	global_load_dword v10, v[16:17], off
	v_lshlrev_b64 v[16:17], 3, v[7:8]
	v_add_nc_u32_e32 v7, 32, v7
	v_add_co_u32 v19, vcc_lo, s12, v16
	v_add_co_ci_u32_e64 v20, null, s13, v17, vcc_lo
	s_waitcnt vmcnt(0)
	v_subrev_nc_u32_e32 v17, s2, v10
	v_lshlrev_b64 v[16:17], 3, v[17:18]
	v_add_co_u32 v21, vcc_lo, s14, v16
	v_add_co_ci_u32_e64 v22, null, s15, v17, vcc_lo
	v_cmp_ge_i32_e32 vcc_lo, v9, v15
	global_load_dwordx4 v[16:19], v[19:20], off
	global_load_dwordx2 v[20:21], v[21:22], off
	s_or_b32 s3, vcc_lo, s3
	s_waitcnt vmcnt(0)
	v_fmac_f32_e32 v12, v16, v20
	v_fmac_f32_e32 v11, v17, v20
	;; [unrolled: 1-line block ×4, first 2 shown]
	v_fma_f32 v12, -v17, v21, v12
	v_fmac_f32_e32 v11, v16, v21
	v_fma_f32 v13, -v19, v21, v13
	v_fmac_f32_e32 v14, v18, v21
	s_andn2_b32 exec_lo, exec_lo, s3
	s_cbranch_execnz .LBB154_7
; %bb.8:
	s_inst_prefetch 0x2
	s_or_b32 exec_lo, exec_lo, s3
.LBB154_9:
	s_or_b32 exec_lo, exec_lo, s1
	s_cbranch_execz .LBB154_11
	s_branch .LBB154_16
.LBB154_10:
                                        ; implicit-def: $vgpr11
                                        ; implicit-def: $vgpr12
                                        ; implicit-def: $vgpr13
                                        ; implicit-def: $vgpr14
.LBB154_11:
	v_mov_b32_e32 v11, 0
	v_mov_b32_e32 v12, 0
	;; [unrolled: 1-line block ×4, first 2 shown]
	s_and_saveexec_b32 s1, s0
	s_cbranch_execz .LBB154_15
; %bb.12:
	v_mov_b32_e32 v9, 0
	v_lshlrev_b32_e32 v8, 1, v6
	s_mov_b32 s0, 0
	v_mov_b32_e32 v11, v9
	v_mov_b32_e32 v12, v9
	;; [unrolled: 1-line block ×4, first 2 shown]
	s_inst_prefetch 0x1
	.p2align	6
.LBB154_13:                             ; =>This Inner Loop Header: Depth=1
	v_ashrrev_i32_e32 v7, 31, v6
	v_mov_b32_e32 v18, v9
	v_lshlrev_b64 v[16:17], 2, v[6:7]
	v_add_nc_u32_e32 v6, 16, v6
	v_add_co_u32 v16, vcc_lo, s10, v16
	v_add_co_ci_u32_e64 v17, null, s11, v17, vcc_lo
	global_load_dword v7, v[16:17], off
	v_lshlrev_b64 v[16:17], 3, v[8:9]
	v_add_nc_u32_e32 v8, 32, v8
	v_add_co_u32 v19, vcc_lo, s12, v16
	v_add_co_ci_u32_e64 v20, null, s13, v17, vcc_lo
	s_waitcnt vmcnt(0)
	v_subrev_nc_u32_e32 v17, s2, v7
	v_lshlrev_b64 v[16:17], 3, v[17:18]
	v_add_co_u32 v21, vcc_lo, s14, v16
	v_add_co_ci_u32_e64 v22, null, s15, v17, vcc_lo
	v_cmp_ge_i32_e32 vcc_lo, v6, v15
	global_load_dwordx4 v[16:19], v[19:20], off
	global_load_dwordx2 v[20:21], v[21:22], off
	s_or_b32 s0, vcc_lo, s0
	s_waitcnt vmcnt(0)
	v_fmac_f32_e32 v12, v16, v20
	v_fmac_f32_e32 v11, v17, v20
	;; [unrolled: 1-line block ×4, first 2 shown]
	v_fma_f32 v12, -v17, v21, v12
	v_fmac_f32_e32 v11, v16, v21
	v_fma_f32 v13, -v19, v21, v13
	v_fmac_f32_e32 v14, v18, v21
	s_andn2_b32 exec_lo, exec_lo, s0
	s_cbranch_execnz .LBB154_13
; %bb.14:
	s_inst_prefetch 0x2
	s_or_b32 exec_lo, exec_lo, s0
.LBB154_15:
	s_or_b32 exec_lo, exec_lo, s1
.LBB154_16:
	v_mbcnt_lo_u32_b32 v6, -1, 0
	v_xor_b32_e32 v7, 8, v6
	v_xor_b32_e32 v15, 4, v6
	v_cmp_gt_i32_e32 vcc_lo, 32, v7
	v_cndmask_b32_e32 v7, v6, v7, vcc_lo
	v_cmp_gt_i32_e32 vcc_lo, 32, v15
	v_lshlrev_b32_e32 v7, 2, v7
	v_cndmask_b32_e32 v15, v6, v15, vcc_lo
	ds_bpermute_b32 v8, v7, v12
	ds_bpermute_b32 v9, v7, v11
	;; [unrolled: 1-line block ×4, first 2 shown]
	v_lshlrev_b32_e32 v15, 2, v15
	s_waitcnt lgkmcnt(3)
	v_add_f32_e32 v8, v12, v8
	s_waitcnt lgkmcnt(2)
	v_add_f32_e32 v9, v11, v9
	;; [unrolled: 2-line block ×4, first 2 shown]
	ds_bpermute_b32 v11, v15, v8
	ds_bpermute_b32 v12, v15, v9
	;; [unrolled: 1-line block ×4, first 2 shown]
	v_xor_b32_e32 v15, 2, v6
	v_cmp_gt_i32_e32 vcc_lo, 32, v15
	v_cndmask_b32_e32 v15, v6, v15, vcc_lo
	v_lshlrev_b32_e32 v15, 2, v15
	s_waitcnt lgkmcnt(3)
	v_add_f32_e32 v8, v8, v11
	s_waitcnt lgkmcnt(2)
	v_add_f32_e32 v9, v9, v12
	;; [unrolled: 2-line block ×4, first 2 shown]
	ds_bpermute_b32 v11, v15, v8
	ds_bpermute_b32 v12, v15, v9
	ds_bpermute_b32 v13, v15, v10
	ds_bpermute_b32 v14, v15, v7
	v_xor_b32_e32 v15, 1, v6
	v_cmp_gt_i32_e32 vcc_lo, 32, v15
	v_cndmask_b32_e32 v6, v6, v15, vcc_lo
	v_cmp_eq_u32_e32 vcc_lo, 15, v0
	v_lshlrev_b32_e32 v15, 2, v6
	s_waitcnt lgkmcnt(3)
	v_add_f32_e32 v8, v8, v11
	s_waitcnt lgkmcnt(2)
	v_add_f32_e32 v9, v9, v12
	;; [unrolled: 2-line block ×4, first 2 shown]
	ds_bpermute_b32 v12, v15, v8
	ds_bpermute_b32 v13, v15, v9
	;; [unrolled: 1-line block ×4, first 2 shown]
	s_and_b32 exec_lo, exec_lo, vcc_lo
	s_cbranch_execz .LBB154_21
; %bb.17:
	s_load_dwordx2 s[2:3], s[4:5], 0x38
	v_cmp_eq_f32_e32 vcc_lo, 0, v3
	v_cmp_eq_f32_e64 s0, 0, v4
	s_waitcnt lgkmcnt(0)
	v_add_f32_e32 v0, v8, v12
	v_add_f32_e32 v8, v9, v13
	;; [unrolled: 1-line block ×4, first 2 shown]
	s_and_b32 s0, vcc_lo, s0
	s_and_saveexec_b32 s1, s0
	s_xor_b32 s0, exec_lo, s1
	s_cbranch_execz .LBB154_19
; %bb.18:
	v_lshlrev_b32_e32 v3, 1, v5
	v_mul_f32_e64 v9, v8, -v2
	v_mul_f32_e32 v10, v1, v8
	v_mul_f32_e64 v11, v7, -v2
	v_mul_f32_e32 v12, v1, v7
	v_ashrrev_i32_e32 v4, 31, v3
	v_fmac_f32_e32 v9, v1, v0
	v_fmac_f32_e32 v10, v2, v0
	;; [unrolled: 1-line block ×4, first 2 shown]
	v_lshlrev_b64 v[3:4], 3, v[3:4]
                                        ; implicit-def: $vgpr5
                                        ; implicit-def: $vgpr8
                                        ; implicit-def: $vgpr7
                                        ; implicit-def: $vgpr6
	v_add_co_u32 v0, vcc_lo, s2, v3
	v_add_co_ci_u32_e64 v1, null, s3, v4, vcc_lo
                                        ; implicit-def: $vgpr3_vgpr4
	global_store_dwordx4 v[0:1], v[9:12], off
                                        ; implicit-def: $vgpr1_vgpr2
                                        ; implicit-def: $vgpr0
.LBB154_19:
	s_andn2_saveexec_b32 s0, s0
	s_cbranch_execz .LBB154_21
; %bb.20:
	v_lshlrev_b32_e32 v9, 1, v5
	v_mul_f32_e64 v5, v8, -v2
	v_mul_f32_e32 v14, v1, v8
	v_mul_f32_e64 v8, v7, -v2
	v_mul_f32_e32 v16, v1, v7
	v_ashrrev_i32_e32 v10, 31, v9
	v_fmac_f32_e32 v5, v1, v0
	v_fmac_f32_e32 v14, v2, v0
	;; [unrolled: 1-line block ×4, first 2 shown]
	v_lshlrev_b64 v[9:10], 3, v[9:10]
	v_add_co_u32 v17, vcc_lo, s2, v9
	v_add_co_ci_u32_e64 v18, null, s3, v10, vcc_lo
	global_load_dwordx4 v[9:12], v[17:18], off
	s_waitcnt vmcnt(0)
	v_fmac_f32_e32 v5, v3, v9
	v_fmac_f32_e32 v14, v4, v9
	;; [unrolled: 1-line block ×4, first 2 shown]
	v_fma_f32 v13, -v4, v10, v5
	v_fmac_f32_e32 v14, v3, v10
	v_fma_f32 v15, -v4, v12, v8
	v_fmac_f32_e32 v16, v3, v12
	global_store_dwordx4 v[17:18], v[13:16], off
.LBB154_21:
	s_endpgm
	.section	.rodata,"a",@progbits
	.p2align	6, 0x0
	.amdhsa_kernel _ZN9rocsparseL19gebsrmvn_2xn_kernelILj128ELj1ELj16E21rocsparse_complex_numIfEEEvi20rocsparse_direction_NS_24const_host_device_scalarIT2_EEPKiS8_PKS5_SA_S6_PS5_21rocsparse_index_base_b
		.amdhsa_group_segment_fixed_size 0
		.amdhsa_private_segment_fixed_size 0
		.amdhsa_kernarg_size 72
		.amdhsa_user_sgpr_count 6
		.amdhsa_user_sgpr_private_segment_buffer 1
		.amdhsa_user_sgpr_dispatch_ptr 0
		.amdhsa_user_sgpr_queue_ptr 0
		.amdhsa_user_sgpr_kernarg_segment_ptr 1
		.amdhsa_user_sgpr_dispatch_id 0
		.amdhsa_user_sgpr_flat_scratch_init 0
		.amdhsa_user_sgpr_private_segment_size 0
		.amdhsa_wavefront_size32 1
		.amdhsa_uses_dynamic_stack 0
		.amdhsa_system_sgpr_private_segment_wavefront_offset 0
		.amdhsa_system_sgpr_workgroup_id_x 1
		.amdhsa_system_sgpr_workgroup_id_y 0
		.amdhsa_system_sgpr_workgroup_id_z 0
		.amdhsa_system_sgpr_workgroup_info 0
		.amdhsa_system_vgpr_workitem_id 0
		.amdhsa_next_free_vgpr 23
		.amdhsa_next_free_sgpr 16
		.amdhsa_reserve_vcc 1
		.amdhsa_reserve_flat_scratch 0
		.amdhsa_float_round_mode_32 0
		.amdhsa_float_round_mode_16_64 0
		.amdhsa_float_denorm_mode_32 3
		.amdhsa_float_denorm_mode_16_64 3
		.amdhsa_dx10_clamp 1
		.amdhsa_ieee_mode 1
		.amdhsa_fp16_overflow 0
		.amdhsa_workgroup_processor_mode 1
		.amdhsa_memory_ordered 1
		.amdhsa_forward_progress 1
		.amdhsa_shared_vgpr_count 0
		.amdhsa_exception_fp_ieee_invalid_op 0
		.amdhsa_exception_fp_denorm_src 0
		.amdhsa_exception_fp_ieee_div_zero 0
		.amdhsa_exception_fp_ieee_overflow 0
		.amdhsa_exception_fp_ieee_underflow 0
		.amdhsa_exception_fp_ieee_inexact 0
		.amdhsa_exception_int_div_zero 0
	.end_amdhsa_kernel
	.section	.text._ZN9rocsparseL19gebsrmvn_2xn_kernelILj128ELj1ELj16E21rocsparse_complex_numIfEEEvi20rocsparse_direction_NS_24const_host_device_scalarIT2_EEPKiS8_PKS5_SA_S6_PS5_21rocsparse_index_base_b,"axG",@progbits,_ZN9rocsparseL19gebsrmvn_2xn_kernelILj128ELj1ELj16E21rocsparse_complex_numIfEEEvi20rocsparse_direction_NS_24const_host_device_scalarIT2_EEPKiS8_PKS5_SA_S6_PS5_21rocsparse_index_base_b,comdat
.Lfunc_end154:
	.size	_ZN9rocsparseL19gebsrmvn_2xn_kernelILj128ELj1ELj16E21rocsparse_complex_numIfEEEvi20rocsparse_direction_NS_24const_host_device_scalarIT2_EEPKiS8_PKS5_SA_S6_PS5_21rocsparse_index_base_b, .Lfunc_end154-_ZN9rocsparseL19gebsrmvn_2xn_kernelILj128ELj1ELj16E21rocsparse_complex_numIfEEEvi20rocsparse_direction_NS_24const_host_device_scalarIT2_EEPKiS8_PKS5_SA_S6_PS5_21rocsparse_index_base_b
                                        ; -- End function
	.set _ZN9rocsparseL19gebsrmvn_2xn_kernelILj128ELj1ELj16E21rocsparse_complex_numIfEEEvi20rocsparse_direction_NS_24const_host_device_scalarIT2_EEPKiS8_PKS5_SA_S6_PS5_21rocsparse_index_base_b.num_vgpr, 23
	.set _ZN9rocsparseL19gebsrmvn_2xn_kernelILj128ELj1ELj16E21rocsparse_complex_numIfEEEvi20rocsparse_direction_NS_24const_host_device_scalarIT2_EEPKiS8_PKS5_SA_S6_PS5_21rocsparse_index_base_b.num_agpr, 0
	.set _ZN9rocsparseL19gebsrmvn_2xn_kernelILj128ELj1ELj16E21rocsparse_complex_numIfEEEvi20rocsparse_direction_NS_24const_host_device_scalarIT2_EEPKiS8_PKS5_SA_S6_PS5_21rocsparse_index_base_b.numbered_sgpr, 16
	.set _ZN9rocsparseL19gebsrmvn_2xn_kernelILj128ELj1ELj16E21rocsparse_complex_numIfEEEvi20rocsparse_direction_NS_24const_host_device_scalarIT2_EEPKiS8_PKS5_SA_S6_PS5_21rocsparse_index_base_b.num_named_barrier, 0
	.set _ZN9rocsparseL19gebsrmvn_2xn_kernelILj128ELj1ELj16E21rocsparse_complex_numIfEEEvi20rocsparse_direction_NS_24const_host_device_scalarIT2_EEPKiS8_PKS5_SA_S6_PS5_21rocsparse_index_base_b.private_seg_size, 0
	.set _ZN9rocsparseL19gebsrmvn_2xn_kernelILj128ELj1ELj16E21rocsparse_complex_numIfEEEvi20rocsparse_direction_NS_24const_host_device_scalarIT2_EEPKiS8_PKS5_SA_S6_PS5_21rocsparse_index_base_b.uses_vcc, 1
	.set _ZN9rocsparseL19gebsrmvn_2xn_kernelILj128ELj1ELj16E21rocsparse_complex_numIfEEEvi20rocsparse_direction_NS_24const_host_device_scalarIT2_EEPKiS8_PKS5_SA_S6_PS5_21rocsparse_index_base_b.uses_flat_scratch, 0
	.set _ZN9rocsparseL19gebsrmvn_2xn_kernelILj128ELj1ELj16E21rocsparse_complex_numIfEEEvi20rocsparse_direction_NS_24const_host_device_scalarIT2_EEPKiS8_PKS5_SA_S6_PS5_21rocsparse_index_base_b.has_dyn_sized_stack, 0
	.set _ZN9rocsparseL19gebsrmvn_2xn_kernelILj128ELj1ELj16E21rocsparse_complex_numIfEEEvi20rocsparse_direction_NS_24const_host_device_scalarIT2_EEPKiS8_PKS5_SA_S6_PS5_21rocsparse_index_base_b.has_recursion, 0
	.set _ZN9rocsparseL19gebsrmvn_2xn_kernelILj128ELj1ELj16E21rocsparse_complex_numIfEEEvi20rocsparse_direction_NS_24const_host_device_scalarIT2_EEPKiS8_PKS5_SA_S6_PS5_21rocsparse_index_base_b.has_indirect_call, 0
	.section	.AMDGPU.csdata,"",@progbits
; Kernel info:
; codeLenInByte = 1420
; TotalNumSgprs: 18
; NumVgprs: 23
; ScratchSize: 0
; MemoryBound: 0
; FloatMode: 240
; IeeeMode: 1
; LDSByteSize: 0 bytes/workgroup (compile time only)
; SGPRBlocks: 0
; VGPRBlocks: 2
; NumSGPRsForWavesPerEU: 18
; NumVGPRsForWavesPerEU: 23
; Occupancy: 16
; WaveLimiterHint : 1
; COMPUTE_PGM_RSRC2:SCRATCH_EN: 0
; COMPUTE_PGM_RSRC2:USER_SGPR: 6
; COMPUTE_PGM_RSRC2:TRAP_HANDLER: 0
; COMPUTE_PGM_RSRC2:TGID_X_EN: 1
; COMPUTE_PGM_RSRC2:TGID_Y_EN: 0
; COMPUTE_PGM_RSRC2:TGID_Z_EN: 0
; COMPUTE_PGM_RSRC2:TIDIG_COMP_CNT: 0
	.section	.text._ZN9rocsparseL19gebsrmvn_2xn_kernelILj128ELj1ELj32E21rocsparse_complex_numIfEEEvi20rocsparse_direction_NS_24const_host_device_scalarIT2_EEPKiS8_PKS5_SA_S6_PS5_21rocsparse_index_base_b,"axG",@progbits,_ZN9rocsparseL19gebsrmvn_2xn_kernelILj128ELj1ELj32E21rocsparse_complex_numIfEEEvi20rocsparse_direction_NS_24const_host_device_scalarIT2_EEPKiS8_PKS5_SA_S6_PS5_21rocsparse_index_base_b,comdat
	.globl	_ZN9rocsparseL19gebsrmvn_2xn_kernelILj128ELj1ELj32E21rocsparse_complex_numIfEEEvi20rocsparse_direction_NS_24const_host_device_scalarIT2_EEPKiS8_PKS5_SA_S6_PS5_21rocsparse_index_base_b ; -- Begin function _ZN9rocsparseL19gebsrmvn_2xn_kernelILj128ELj1ELj32E21rocsparse_complex_numIfEEEvi20rocsparse_direction_NS_24const_host_device_scalarIT2_EEPKiS8_PKS5_SA_S6_PS5_21rocsparse_index_base_b
	.p2align	8
	.type	_ZN9rocsparseL19gebsrmvn_2xn_kernelILj128ELj1ELj32E21rocsparse_complex_numIfEEEvi20rocsparse_direction_NS_24const_host_device_scalarIT2_EEPKiS8_PKS5_SA_S6_PS5_21rocsparse_index_base_b,@function
_ZN9rocsparseL19gebsrmvn_2xn_kernelILj128ELj1ELj32E21rocsparse_complex_numIfEEEvi20rocsparse_direction_NS_24const_host_device_scalarIT2_EEPKiS8_PKS5_SA_S6_PS5_21rocsparse_index_base_b: ; @_ZN9rocsparseL19gebsrmvn_2xn_kernelILj128ELj1ELj32E21rocsparse_complex_numIfEEEvi20rocsparse_direction_NS_24const_host_device_scalarIT2_EEPKiS8_PKS5_SA_S6_PS5_21rocsparse_index_base_b
; %bb.0:
	s_clause 0x2
	s_load_dwordx2 s[2:3], s[4:5], 0x40
	s_load_dwordx2 s[0:1], s[4:5], 0x8
	;; [unrolled: 1-line block ×3, first 2 shown]
	s_add_u32 s7, s4, 8
	s_addc_u32 s10, s5, 0
	s_add_u32 s11, s4, 48
	s_addc_u32 s12, s5, 0
	s_waitcnt lgkmcnt(0)
	s_bitcmp1_b32 s3, 0
	s_cselect_b32 s0, s7, s0
	s_cselect_b32 s1, s10, s1
	v_mov_b32_e32 v1, s0
	v_mov_b32_e32 v2, s1
	s_cselect_b32 s0, s11, s8
	s_cselect_b32 s1, s12, s9
	v_mov_b32_e32 v3, s0
	v_mov_b32_e32 v4, s1
	flat_load_dwordx2 v[1:2], v[1:2]
	flat_load_dwordx2 v[3:4], v[3:4]
	s_waitcnt vmcnt(1) lgkmcnt(1)
	v_cmp_eq_f32_e32 vcc_lo, 0, v1
	v_cmp_eq_f32_e64 s0, 0, v2
	s_and_b32 s3, vcc_lo, s0
	s_mov_b32 s0, -1
	s_and_saveexec_b32 s1, s3
	s_cbranch_execz .LBB155_2
; %bb.1:
	s_waitcnt vmcnt(0) lgkmcnt(0)
	v_cmp_neq_f32_e32 vcc_lo, 1.0, v3
	v_cmp_neq_f32_e64 s0, 0, v4
	s_or_b32 s0, vcc_lo, s0
	s_orn2_b32 s0, s0, exec_lo
.LBB155_2:
	s_or_b32 exec_lo, exec_lo, s1
	s_and_saveexec_b32 s1, s0
	s_cbranch_execz .LBB155_21
; %bb.3:
	s_load_dwordx2 s[0:1], s[4:5], 0x0
	v_lshrrev_b32_e32 v5, 5, v0
	v_lshl_or_b32 v5, s6, 2, v5
	s_waitcnt lgkmcnt(0)
	v_cmp_gt_i32_e32 vcc_lo, s0, v5
	s_and_b32 exec_lo, exec_lo, vcc_lo
	s_cbranch_execz .LBB155_21
; %bb.4:
	s_load_dwordx8 s[8:15], s[4:5], 0x10
	v_ashrrev_i32_e32 v6, 31, v5
	v_and_b32_e32 v0, 31, v0
	s_cmp_lg_u32 s1, 0
	v_lshlrev_b64 v[6:7], 2, v[5:6]
	s_waitcnt lgkmcnt(0)
	v_add_co_u32 v6, vcc_lo, s8, v6
	v_add_co_ci_u32_e64 v7, null, s9, v7, vcc_lo
	global_load_dwordx2 v[6:7], v[6:7], off
	s_waitcnt vmcnt(0)
	v_subrev_nc_u32_e32 v6, s2, v6
	v_subrev_nc_u32_e32 v15, s2, v7
	v_add_nc_u32_e32 v6, v6, v0
	v_cmp_lt_i32_e64 s0, v6, v15
	s_cbranch_scc0 .LBB155_10
; %bb.5:
	v_mov_b32_e32 v11, 0
	v_mov_b32_e32 v12, 0
	;; [unrolled: 1-line block ×4, first 2 shown]
	s_and_saveexec_b32 s1, s0
	s_cbranch_execz .LBB155_9
; %bb.6:
	v_mov_b32_e32 v8, 0
	v_lshlrev_b32_e32 v7, 1, v6
	v_mov_b32_e32 v9, v6
	s_mov_b32 s3, 0
	v_mov_b32_e32 v11, v8
	v_mov_b32_e32 v12, v8
	;; [unrolled: 1-line block ×4, first 2 shown]
	s_inst_prefetch 0x1
	.p2align	6
.LBB155_7:                              ; =>This Inner Loop Header: Depth=1
	v_ashrrev_i32_e32 v10, 31, v9
	v_mov_b32_e32 v18, v8
	v_lshlrev_b64 v[16:17], 2, v[9:10]
	v_add_nc_u32_e32 v9, 32, v9
	v_add_co_u32 v16, vcc_lo, s10, v16
	v_add_co_ci_u32_e64 v17, null, s11, v17, vcc_lo
	global_load_dword v10, v[16:17], off
	v_lshlrev_b64 v[16:17], 3, v[7:8]
	v_add_nc_u32_e32 v7, 64, v7
	v_add_co_u32 v19, vcc_lo, s12, v16
	v_add_co_ci_u32_e64 v20, null, s13, v17, vcc_lo
	s_waitcnt vmcnt(0)
	v_subrev_nc_u32_e32 v17, s2, v10
	v_lshlrev_b64 v[16:17], 3, v[17:18]
	v_add_co_u32 v21, vcc_lo, s14, v16
	v_add_co_ci_u32_e64 v22, null, s15, v17, vcc_lo
	v_cmp_ge_i32_e32 vcc_lo, v9, v15
	global_load_dwordx4 v[16:19], v[19:20], off
	global_load_dwordx2 v[20:21], v[21:22], off
	s_or_b32 s3, vcc_lo, s3
	s_waitcnt vmcnt(0)
	v_fmac_f32_e32 v12, v16, v20
	v_fmac_f32_e32 v11, v17, v20
	;; [unrolled: 1-line block ×4, first 2 shown]
	v_fma_f32 v12, -v17, v21, v12
	v_fmac_f32_e32 v11, v16, v21
	v_fma_f32 v13, -v19, v21, v13
	v_fmac_f32_e32 v14, v18, v21
	s_andn2_b32 exec_lo, exec_lo, s3
	s_cbranch_execnz .LBB155_7
; %bb.8:
	s_inst_prefetch 0x2
	s_or_b32 exec_lo, exec_lo, s3
.LBB155_9:
	s_or_b32 exec_lo, exec_lo, s1
	s_cbranch_execz .LBB155_11
	s_branch .LBB155_16
.LBB155_10:
                                        ; implicit-def: $vgpr11
                                        ; implicit-def: $vgpr12
                                        ; implicit-def: $vgpr13
                                        ; implicit-def: $vgpr14
.LBB155_11:
	v_mov_b32_e32 v11, 0
	v_mov_b32_e32 v12, 0
	;; [unrolled: 1-line block ×4, first 2 shown]
	s_and_saveexec_b32 s1, s0
	s_cbranch_execz .LBB155_15
; %bb.12:
	v_mov_b32_e32 v9, 0
	v_lshlrev_b32_e32 v8, 1, v6
	s_mov_b32 s0, 0
	v_mov_b32_e32 v11, v9
	v_mov_b32_e32 v12, v9
	;; [unrolled: 1-line block ×4, first 2 shown]
	s_inst_prefetch 0x1
	.p2align	6
.LBB155_13:                             ; =>This Inner Loop Header: Depth=1
	v_ashrrev_i32_e32 v7, 31, v6
	v_mov_b32_e32 v18, v9
	v_lshlrev_b64 v[16:17], 2, v[6:7]
	v_add_nc_u32_e32 v6, 32, v6
	v_add_co_u32 v16, vcc_lo, s10, v16
	v_add_co_ci_u32_e64 v17, null, s11, v17, vcc_lo
	global_load_dword v7, v[16:17], off
	v_lshlrev_b64 v[16:17], 3, v[8:9]
	v_add_nc_u32_e32 v8, 64, v8
	v_add_co_u32 v19, vcc_lo, s12, v16
	v_add_co_ci_u32_e64 v20, null, s13, v17, vcc_lo
	s_waitcnt vmcnt(0)
	v_subrev_nc_u32_e32 v17, s2, v7
	v_lshlrev_b64 v[16:17], 3, v[17:18]
	v_add_co_u32 v21, vcc_lo, s14, v16
	v_add_co_ci_u32_e64 v22, null, s15, v17, vcc_lo
	v_cmp_ge_i32_e32 vcc_lo, v6, v15
	global_load_dwordx4 v[16:19], v[19:20], off
	global_load_dwordx2 v[20:21], v[21:22], off
	s_or_b32 s0, vcc_lo, s0
	s_waitcnt vmcnt(0)
	v_fmac_f32_e32 v12, v16, v20
	v_fmac_f32_e32 v11, v17, v20
	;; [unrolled: 1-line block ×4, first 2 shown]
	v_fma_f32 v12, -v17, v21, v12
	v_fmac_f32_e32 v11, v16, v21
	v_fma_f32 v13, -v19, v21, v13
	v_fmac_f32_e32 v14, v18, v21
	s_andn2_b32 exec_lo, exec_lo, s0
	s_cbranch_execnz .LBB155_13
; %bb.14:
	s_inst_prefetch 0x2
	s_or_b32 exec_lo, exec_lo, s0
.LBB155_15:
	s_or_b32 exec_lo, exec_lo, s1
.LBB155_16:
	v_mbcnt_lo_u32_b32 v6, -1, 0
	v_xor_b32_e32 v7, 16, v6
	v_xor_b32_e32 v15, 8, v6
	v_cmp_gt_i32_e32 vcc_lo, 32, v7
	v_cndmask_b32_e32 v7, v6, v7, vcc_lo
	v_cmp_gt_i32_e32 vcc_lo, 32, v15
	v_lshlrev_b32_e32 v7, 2, v7
	v_cndmask_b32_e32 v15, v6, v15, vcc_lo
	ds_bpermute_b32 v8, v7, v12
	ds_bpermute_b32 v9, v7, v11
	;; [unrolled: 1-line block ×4, first 2 shown]
	v_lshlrev_b32_e32 v15, 2, v15
	s_waitcnt lgkmcnt(3)
	v_add_f32_e32 v8, v12, v8
	s_waitcnt lgkmcnt(2)
	v_add_f32_e32 v9, v11, v9
	s_waitcnt lgkmcnt(1)
	v_add_f32_e32 v10, v13, v10
	s_waitcnt lgkmcnt(0)
	v_add_f32_e32 v7, v14, v7
	ds_bpermute_b32 v11, v15, v8
	ds_bpermute_b32 v12, v15, v9
	ds_bpermute_b32 v13, v15, v10
	ds_bpermute_b32 v14, v15, v7
	v_xor_b32_e32 v15, 4, v6
	v_cmp_gt_i32_e32 vcc_lo, 32, v15
	v_cndmask_b32_e32 v15, v6, v15, vcc_lo
	v_lshlrev_b32_e32 v15, 2, v15
	s_waitcnt lgkmcnt(3)
	v_add_f32_e32 v8, v8, v11
	s_waitcnt lgkmcnt(2)
	v_add_f32_e32 v9, v9, v12
	s_waitcnt lgkmcnt(1)
	v_add_f32_e32 v10, v10, v13
	s_waitcnt lgkmcnt(0)
	v_add_f32_e32 v7, v7, v14
	ds_bpermute_b32 v11, v15, v8
	ds_bpermute_b32 v12, v15, v9
	ds_bpermute_b32 v13, v15, v10
	ds_bpermute_b32 v14, v15, v7
	v_xor_b32_e32 v15, 2, v6
	v_cmp_gt_i32_e32 vcc_lo, 32, v15
	v_cndmask_b32_e32 v15, v6, v15, vcc_lo
	;; [unrolled: 16-line block ×3, first 2 shown]
	v_cmp_eq_u32_e32 vcc_lo, 31, v0
	v_lshlrev_b32_e32 v15, 2, v6
	s_waitcnt lgkmcnt(3)
	v_add_f32_e32 v8, v8, v11
	s_waitcnt lgkmcnt(2)
	v_add_f32_e32 v9, v9, v12
	;; [unrolled: 2-line block ×4, first 2 shown]
	ds_bpermute_b32 v12, v15, v8
	ds_bpermute_b32 v13, v15, v9
	;; [unrolled: 1-line block ×4, first 2 shown]
	s_and_b32 exec_lo, exec_lo, vcc_lo
	s_cbranch_execz .LBB155_21
; %bb.17:
	s_load_dwordx2 s[2:3], s[4:5], 0x38
	v_cmp_eq_f32_e32 vcc_lo, 0, v3
	v_cmp_eq_f32_e64 s0, 0, v4
	s_waitcnt lgkmcnt(0)
	v_add_f32_e32 v0, v8, v12
	v_add_f32_e32 v8, v9, v13
	v_add_f32_e32 v6, v6, v10
	v_add_f32_e32 v7, v7, v11
	s_and_b32 s0, vcc_lo, s0
	s_and_saveexec_b32 s1, s0
	s_xor_b32 s0, exec_lo, s1
	s_cbranch_execz .LBB155_19
; %bb.18:
	v_lshlrev_b32_e32 v3, 1, v5
	v_mul_f32_e64 v9, v8, -v2
	v_mul_f32_e32 v10, v1, v8
	v_mul_f32_e64 v11, v7, -v2
	v_mul_f32_e32 v12, v1, v7
	v_ashrrev_i32_e32 v4, 31, v3
	v_fmac_f32_e32 v9, v1, v0
	v_fmac_f32_e32 v10, v2, v0
	;; [unrolled: 1-line block ×4, first 2 shown]
	v_lshlrev_b64 v[3:4], 3, v[3:4]
                                        ; implicit-def: $vgpr5
                                        ; implicit-def: $vgpr8
                                        ; implicit-def: $vgpr7
                                        ; implicit-def: $vgpr6
	v_add_co_u32 v0, vcc_lo, s2, v3
	v_add_co_ci_u32_e64 v1, null, s3, v4, vcc_lo
                                        ; implicit-def: $vgpr3_vgpr4
	global_store_dwordx4 v[0:1], v[9:12], off
                                        ; implicit-def: $vgpr1_vgpr2
                                        ; implicit-def: $vgpr0
.LBB155_19:
	s_andn2_saveexec_b32 s0, s0
	s_cbranch_execz .LBB155_21
; %bb.20:
	v_lshlrev_b32_e32 v9, 1, v5
	v_mul_f32_e64 v5, v8, -v2
	v_mul_f32_e32 v14, v1, v8
	v_mul_f32_e64 v8, v7, -v2
	v_mul_f32_e32 v16, v1, v7
	v_ashrrev_i32_e32 v10, 31, v9
	v_fmac_f32_e32 v5, v1, v0
	v_fmac_f32_e32 v14, v2, v0
	;; [unrolled: 1-line block ×4, first 2 shown]
	v_lshlrev_b64 v[9:10], 3, v[9:10]
	v_add_co_u32 v17, vcc_lo, s2, v9
	v_add_co_ci_u32_e64 v18, null, s3, v10, vcc_lo
	global_load_dwordx4 v[9:12], v[17:18], off
	s_waitcnt vmcnt(0)
	v_fmac_f32_e32 v5, v3, v9
	v_fmac_f32_e32 v14, v4, v9
	;; [unrolled: 1-line block ×4, first 2 shown]
	v_fma_f32 v13, -v4, v10, v5
	v_fmac_f32_e32 v14, v3, v10
	v_fma_f32 v15, -v4, v12, v8
	v_fmac_f32_e32 v16, v3, v12
	global_store_dwordx4 v[17:18], v[13:16], off
.LBB155_21:
	s_endpgm
	.section	.rodata,"a",@progbits
	.p2align	6, 0x0
	.amdhsa_kernel _ZN9rocsparseL19gebsrmvn_2xn_kernelILj128ELj1ELj32E21rocsparse_complex_numIfEEEvi20rocsparse_direction_NS_24const_host_device_scalarIT2_EEPKiS8_PKS5_SA_S6_PS5_21rocsparse_index_base_b
		.amdhsa_group_segment_fixed_size 0
		.amdhsa_private_segment_fixed_size 0
		.amdhsa_kernarg_size 72
		.amdhsa_user_sgpr_count 6
		.amdhsa_user_sgpr_private_segment_buffer 1
		.amdhsa_user_sgpr_dispatch_ptr 0
		.amdhsa_user_sgpr_queue_ptr 0
		.amdhsa_user_sgpr_kernarg_segment_ptr 1
		.amdhsa_user_sgpr_dispatch_id 0
		.amdhsa_user_sgpr_flat_scratch_init 0
		.amdhsa_user_sgpr_private_segment_size 0
		.amdhsa_wavefront_size32 1
		.amdhsa_uses_dynamic_stack 0
		.amdhsa_system_sgpr_private_segment_wavefront_offset 0
		.amdhsa_system_sgpr_workgroup_id_x 1
		.amdhsa_system_sgpr_workgroup_id_y 0
		.amdhsa_system_sgpr_workgroup_id_z 0
		.amdhsa_system_sgpr_workgroup_info 0
		.amdhsa_system_vgpr_workitem_id 0
		.amdhsa_next_free_vgpr 23
		.amdhsa_next_free_sgpr 16
		.amdhsa_reserve_vcc 1
		.amdhsa_reserve_flat_scratch 0
		.amdhsa_float_round_mode_32 0
		.amdhsa_float_round_mode_16_64 0
		.amdhsa_float_denorm_mode_32 3
		.amdhsa_float_denorm_mode_16_64 3
		.amdhsa_dx10_clamp 1
		.amdhsa_ieee_mode 1
		.amdhsa_fp16_overflow 0
		.amdhsa_workgroup_processor_mode 1
		.amdhsa_memory_ordered 1
		.amdhsa_forward_progress 1
		.amdhsa_shared_vgpr_count 0
		.amdhsa_exception_fp_ieee_invalid_op 0
		.amdhsa_exception_fp_denorm_src 0
		.amdhsa_exception_fp_ieee_div_zero 0
		.amdhsa_exception_fp_ieee_overflow 0
		.amdhsa_exception_fp_ieee_underflow 0
		.amdhsa_exception_fp_ieee_inexact 0
		.amdhsa_exception_int_div_zero 0
	.end_amdhsa_kernel
	.section	.text._ZN9rocsparseL19gebsrmvn_2xn_kernelILj128ELj1ELj32E21rocsparse_complex_numIfEEEvi20rocsparse_direction_NS_24const_host_device_scalarIT2_EEPKiS8_PKS5_SA_S6_PS5_21rocsparse_index_base_b,"axG",@progbits,_ZN9rocsparseL19gebsrmvn_2xn_kernelILj128ELj1ELj32E21rocsparse_complex_numIfEEEvi20rocsparse_direction_NS_24const_host_device_scalarIT2_EEPKiS8_PKS5_SA_S6_PS5_21rocsparse_index_base_b,comdat
.Lfunc_end155:
	.size	_ZN9rocsparseL19gebsrmvn_2xn_kernelILj128ELj1ELj32E21rocsparse_complex_numIfEEEvi20rocsparse_direction_NS_24const_host_device_scalarIT2_EEPKiS8_PKS5_SA_S6_PS5_21rocsparse_index_base_b, .Lfunc_end155-_ZN9rocsparseL19gebsrmvn_2xn_kernelILj128ELj1ELj32E21rocsparse_complex_numIfEEEvi20rocsparse_direction_NS_24const_host_device_scalarIT2_EEPKiS8_PKS5_SA_S6_PS5_21rocsparse_index_base_b
                                        ; -- End function
	.set _ZN9rocsparseL19gebsrmvn_2xn_kernelILj128ELj1ELj32E21rocsparse_complex_numIfEEEvi20rocsparse_direction_NS_24const_host_device_scalarIT2_EEPKiS8_PKS5_SA_S6_PS5_21rocsparse_index_base_b.num_vgpr, 23
	.set _ZN9rocsparseL19gebsrmvn_2xn_kernelILj128ELj1ELj32E21rocsparse_complex_numIfEEEvi20rocsparse_direction_NS_24const_host_device_scalarIT2_EEPKiS8_PKS5_SA_S6_PS5_21rocsparse_index_base_b.num_agpr, 0
	.set _ZN9rocsparseL19gebsrmvn_2xn_kernelILj128ELj1ELj32E21rocsparse_complex_numIfEEEvi20rocsparse_direction_NS_24const_host_device_scalarIT2_EEPKiS8_PKS5_SA_S6_PS5_21rocsparse_index_base_b.numbered_sgpr, 16
	.set _ZN9rocsparseL19gebsrmvn_2xn_kernelILj128ELj1ELj32E21rocsparse_complex_numIfEEEvi20rocsparse_direction_NS_24const_host_device_scalarIT2_EEPKiS8_PKS5_SA_S6_PS5_21rocsparse_index_base_b.num_named_barrier, 0
	.set _ZN9rocsparseL19gebsrmvn_2xn_kernelILj128ELj1ELj32E21rocsparse_complex_numIfEEEvi20rocsparse_direction_NS_24const_host_device_scalarIT2_EEPKiS8_PKS5_SA_S6_PS5_21rocsparse_index_base_b.private_seg_size, 0
	.set _ZN9rocsparseL19gebsrmvn_2xn_kernelILj128ELj1ELj32E21rocsparse_complex_numIfEEEvi20rocsparse_direction_NS_24const_host_device_scalarIT2_EEPKiS8_PKS5_SA_S6_PS5_21rocsparse_index_base_b.uses_vcc, 1
	.set _ZN9rocsparseL19gebsrmvn_2xn_kernelILj128ELj1ELj32E21rocsparse_complex_numIfEEEvi20rocsparse_direction_NS_24const_host_device_scalarIT2_EEPKiS8_PKS5_SA_S6_PS5_21rocsparse_index_base_b.uses_flat_scratch, 0
	.set _ZN9rocsparseL19gebsrmvn_2xn_kernelILj128ELj1ELj32E21rocsparse_complex_numIfEEEvi20rocsparse_direction_NS_24const_host_device_scalarIT2_EEPKiS8_PKS5_SA_S6_PS5_21rocsparse_index_base_b.has_dyn_sized_stack, 0
	.set _ZN9rocsparseL19gebsrmvn_2xn_kernelILj128ELj1ELj32E21rocsparse_complex_numIfEEEvi20rocsparse_direction_NS_24const_host_device_scalarIT2_EEPKiS8_PKS5_SA_S6_PS5_21rocsparse_index_base_b.has_recursion, 0
	.set _ZN9rocsparseL19gebsrmvn_2xn_kernelILj128ELj1ELj32E21rocsparse_complex_numIfEEEvi20rocsparse_direction_NS_24const_host_device_scalarIT2_EEPKiS8_PKS5_SA_S6_PS5_21rocsparse_index_base_b.has_indirect_call, 0
	.section	.AMDGPU.csdata,"",@progbits
; Kernel info:
; codeLenInByte = 1500
; TotalNumSgprs: 18
; NumVgprs: 23
; ScratchSize: 0
; MemoryBound: 0
; FloatMode: 240
; IeeeMode: 1
; LDSByteSize: 0 bytes/workgroup (compile time only)
; SGPRBlocks: 0
; VGPRBlocks: 2
; NumSGPRsForWavesPerEU: 18
; NumVGPRsForWavesPerEU: 23
; Occupancy: 16
; WaveLimiterHint : 1
; COMPUTE_PGM_RSRC2:SCRATCH_EN: 0
; COMPUTE_PGM_RSRC2:USER_SGPR: 6
; COMPUTE_PGM_RSRC2:TRAP_HANDLER: 0
; COMPUTE_PGM_RSRC2:TGID_X_EN: 1
; COMPUTE_PGM_RSRC2:TGID_Y_EN: 0
; COMPUTE_PGM_RSRC2:TGID_Z_EN: 0
; COMPUTE_PGM_RSRC2:TIDIG_COMP_CNT: 0
	.section	.text._ZN9rocsparseL19gebsrmvn_2xn_kernelILj128ELj1ELj64E21rocsparse_complex_numIfEEEvi20rocsparse_direction_NS_24const_host_device_scalarIT2_EEPKiS8_PKS5_SA_S6_PS5_21rocsparse_index_base_b,"axG",@progbits,_ZN9rocsparseL19gebsrmvn_2xn_kernelILj128ELj1ELj64E21rocsparse_complex_numIfEEEvi20rocsparse_direction_NS_24const_host_device_scalarIT2_EEPKiS8_PKS5_SA_S6_PS5_21rocsparse_index_base_b,comdat
	.globl	_ZN9rocsparseL19gebsrmvn_2xn_kernelILj128ELj1ELj64E21rocsparse_complex_numIfEEEvi20rocsparse_direction_NS_24const_host_device_scalarIT2_EEPKiS8_PKS5_SA_S6_PS5_21rocsparse_index_base_b ; -- Begin function _ZN9rocsparseL19gebsrmvn_2xn_kernelILj128ELj1ELj64E21rocsparse_complex_numIfEEEvi20rocsparse_direction_NS_24const_host_device_scalarIT2_EEPKiS8_PKS5_SA_S6_PS5_21rocsparse_index_base_b
	.p2align	8
	.type	_ZN9rocsparseL19gebsrmvn_2xn_kernelILj128ELj1ELj64E21rocsparse_complex_numIfEEEvi20rocsparse_direction_NS_24const_host_device_scalarIT2_EEPKiS8_PKS5_SA_S6_PS5_21rocsparse_index_base_b,@function
_ZN9rocsparseL19gebsrmvn_2xn_kernelILj128ELj1ELj64E21rocsparse_complex_numIfEEEvi20rocsparse_direction_NS_24const_host_device_scalarIT2_EEPKiS8_PKS5_SA_S6_PS5_21rocsparse_index_base_b: ; @_ZN9rocsparseL19gebsrmvn_2xn_kernelILj128ELj1ELj64E21rocsparse_complex_numIfEEEvi20rocsparse_direction_NS_24const_host_device_scalarIT2_EEPKiS8_PKS5_SA_S6_PS5_21rocsparse_index_base_b
; %bb.0:
	s_clause 0x2
	s_load_dwordx2 s[2:3], s[4:5], 0x40
	s_load_dwordx2 s[0:1], s[4:5], 0x8
	;; [unrolled: 1-line block ×3, first 2 shown]
	s_add_u32 s7, s4, 8
	s_addc_u32 s10, s5, 0
	s_add_u32 s11, s4, 48
	s_addc_u32 s12, s5, 0
	s_waitcnt lgkmcnt(0)
	s_bitcmp1_b32 s3, 0
	s_cselect_b32 s0, s7, s0
	s_cselect_b32 s1, s10, s1
	v_mov_b32_e32 v1, s0
	v_mov_b32_e32 v2, s1
	s_cselect_b32 s0, s11, s8
	s_cselect_b32 s1, s12, s9
	v_mov_b32_e32 v3, s0
	v_mov_b32_e32 v4, s1
	flat_load_dwordx2 v[1:2], v[1:2]
	flat_load_dwordx2 v[3:4], v[3:4]
	s_waitcnt vmcnt(1) lgkmcnt(1)
	v_cmp_eq_f32_e32 vcc_lo, 0, v1
	v_cmp_eq_f32_e64 s0, 0, v2
	s_and_b32 s3, vcc_lo, s0
	s_mov_b32 s0, -1
	s_and_saveexec_b32 s1, s3
	s_cbranch_execz .LBB156_2
; %bb.1:
	s_waitcnt vmcnt(0) lgkmcnt(0)
	v_cmp_neq_f32_e32 vcc_lo, 1.0, v3
	v_cmp_neq_f32_e64 s0, 0, v4
	s_or_b32 s0, vcc_lo, s0
	s_orn2_b32 s0, s0, exec_lo
.LBB156_2:
	s_or_b32 exec_lo, exec_lo, s1
	s_and_saveexec_b32 s1, s0
	s_cbranch_execz .LBB156_21
; %bb.3:
	s_load_dwordx2 s[0:1], s[4:5], 0x0
	v_lshrrev_b32_e32 v5, 6, v0
	v_lshl_or_b32 v5, s6, 1, v5
	s_waitcnt lgkmcnt(0)
	v_cmp_gt_i32_e32 vcc_lo, s0, v5
	s_and_b32 exec_lo, exec_lo, vcc_lo
	s_cbranch_execz .LBB156_21
; %bb.4:
	s_load_dwordx8 s[8:15], s[4:5], 0x10
	v_ashrrev_i32_e32 v6, 31, v5
	v_and_b32_e32 v0, 63, v0
	s_cmp_lg_u32 s1, 0
	v_lshlrev_b64 v[6:7], 2, v[5:6]
	s_waitcnt lgkmcnt(0)
	v_add_co_u32 v6, vcc_lo, s8, v6
	v_add_co_ci_u32_e64 v7, null, s9, v7, vcc_lo
	global_load_dwordx2 v[6:7], v[6:7], off
	s_waitcnt vmcnt(0)
	v_subrev_nc_u32_e32 v6, s2, v6
	v_subrev_nc_u32_e32 v15, s2, v7
	v_add_nc_u32_e32 v6, v6, v0
	v_cmp_lt_i32_e64 s0, v6, v15
	s_cbranch_scc0 .LBB156_10
; %bb.5:
	v_mov_b32_e32 v11, 0
	v_mov_b32_e32 v12, 0
	;; [unrolled: 1-line block ×4, first 2 shown]
	s_and_saveexec_b32 s1, s0
	s_cbranch_execz .LBB156_9
; %bb.6:
	v_mov_b32_e32 v8, 0
	v_lshlrev_b32_e32 v7, 1, v6
	v_mov_b32_e32 v9, v6
	s_mov_b32 s3, 0
	v_mov_b32_e32 v11, v8
	v_mov_b32_e32 v12, v8
	;; [unrolled: 1-line block ×4, first 2 shown]
	s_inst_prefetch 0x1
	.p2align	6
.LBB156_7:                              ; =>This Inner Loop Header: Depth=1
	v_ashrrev_i32_e32 v10, 31, v9
	v_mov_b32_e32 v18, v8
	v_lshlrev_b64 v[16:17], 2, v[9:10]
	v_add_nc_u32_e32 v9, 64, v9
	v_add_co_u32 v16, vcc_lo, s10, v16
	v_add_co_ci_u32_e64 v17, null, s11, v17, vcc_lo
	global_load_dword v10, v[16:17], off
	v_lshlrev_b64 v[16:17], 3, v[7:8]
	v_add_nc_u32_e32 v7, 0x80, v7
	v_add_co_u32 v19, vcc_lo, s12, v16
	v_add_co_ci_u32_e64 v20, null, s13, v17, vcc_lo
	s_waitcnt vmcnt(0)
	v_subrev_nc_u32_e32 v17, s2, v10
	v_lshlrev_b64 v[16:17], 3, v[17:18]
	v_add_co_u32 v21, vcc_lo, s14, v16
	v_add_co_ci_u32_e64 v22, null, s15, v17, vcc_lo
	v_cmp_ge_i32_e32 vcc_lo, v9, v15
	global_load_dwordx4 v[16:19], v[19:20], off
	global_load_dwordx2 v[20:21], v[21:22], off
	s_or_b32 s3, vcc_lo, s3
	s_waitcnt vmcnt(0)
	v_fmac_f32_e32 v12, v16, v20
	v_fmac_f32_e32 v11, v17, v20
	;; [unrolled: 1-line block ×4, first 2 shown]
	v_fma_f32 v12, -v17, v21, v12
	v_fmac_f32_e32 v11, v16, v21
	v_fma_f32 v13, -v19, v21, v13
	v_fmac_f32_e32 v14, v18, v21
	s_andn2_b32 exec_lo, exec_lo, s3
	s_cbranch_execnz .LBB156_7
; %bb.8:
	s_inst_prefetch 0x2
	s_or_b32 exec_lo, exec_lo, s3
.LBB156_9:
	s_or_b32 exec_lo, exec_lo, s1
	s_cbranch_execz .LBB156_11
	s_branch .LBB156_16
.LBB156_10:
                                        ; implicit-def: $vgpr11
                                        ; implicit-def: $vgpr12
                                        ; implicit-def: $vgpr13
                                        ; implicit-def: $vgpr14
.LBB156_11:
	v_mov_b32_e32 v11, 0
	v_mov_b32_e32 v12, 0
	;; [unrolled: 1-line block ×4, first 2 shown]
	s_and_saveexec_b32 s1, s0
	s_cbranch_execz .LBB156_15
; %bb.12:
	v_mov_b32_e32 v9, 0
	v_lshlrev_b32_e32 v8, 1, v6
	s_mov_b32 s0, 0
	v_mov_b32_e32 v11, v9
	v_mov_b32_e32 v12, v9
	;; [unrolled: 1-line block ×4, first 2 shown]
	s_inst_prefetch 0x1
	.p2align	6
.LBB156_13:                             ; =>This Inner Loop Header: Depth=1
	v_ashrrev_i32_e32 v7, 31, v6
	v_mov_b32_e32 v18, v9
	v_lshlrev_b64 v[16:17], 2, v[6:7]
	v_add_nc_u32_e32 v6, 64, v6
	v_add_co_u32 v16, vcc_lo, s10, v16
	v_add_co_ci_u32_e64 v17, null, s11, v17, vcc_lo
	global_load_dword v7, v[16:17], off
	v_lshlrev_b64 v[16:17], 3, v[8:9]
	v_add_nc_u32_e32 v8, 0x80, v8
	v_add_co_u32 v19, vcc_lo, s12, v16
	v_add_co_ci_u32_e64 v20, null, s13, v17, vcc_lo
	s_waitcnt vmcnt(0)
	v_subrev_nc_u32_e32 v17, s2, v7
	v_lshlrev_b64 v[16:17], 3, v[17:18]
	v_add_co_u32 v21, vcc_lo, s14, v16
	v_add_co_ci_u32_e64 v22, null, s15, v17, vcc_lo
	v_cmp_ge_i32_e32 vcc_lo, v6, v15
	global_load_dwordx4 v[16:19], v[19:20], off
	global_load_dwordx2 v[20:21], v[21:22], off
	s_or_b32 s0, vcc_lo, s0
	s_waitcnt vmcnt(0)
	v_fmac_f32_e32 v12, v16, v20
	v_fmac_f32_e32 v11, v17, v20
	;; [unrolled: 1-line block ×4, first 2 shown]
	v_fma_f32 v12, -v17, v21, v12
	v_fmac_f32_e32 v11, v16, v21
	v_fma_f32 v13, -v19, v21, v13
	v_fmac_f32_e32 v14, v18, v21
	s_andn2_b32 exec_lo, exec_lo, s0
	s_cbranch_execnz .LBB156_13
; %bb.14:
	s_inst_prefetch 0x2
	s_or_b32 exec_lo, exec_lo, s0
.LBB156_15:
	s_or_b32 exec_lo, exec_lo, s1
.LBB156_16:
	v_mbcnt_lo_u32_b32 v6, -1, 0
	v_or_b32_e32 v7, 32, v6
	v_xor_b32_e32 v15, 16, v6
	v_cmp_gt_i32_e32 vcc_lo, 32, v7
	v_cndmask_b32_e32 v7, v6, v7, vcc_lo
	v_cmp_gt_i32_e32 vcc_lo, 32, v15
	v_lshlrev_b32_e32 v7, 2, v7
	v_cndmask_b32_e32 v15, v6, v15, vcc_lo
	ds_bpermute_b32 v8, v7, v12
	ds_bpermute_b32 v9, v7, v11
	;; [unrolled: 1-line block ×4, first 2 shown]
	v_lshlrev_b32_e32 v15, 2, v15
	s_waitcnt lgkmcnt(3)
	v_add_f32_e32 v8, v12, v8
	s_waitcnt lgkmcnt(2)
	v_add_f32_e32 v9, v11, v9
	s_waitcnt lgkmcnt(1)
	v_add_f32_e32 v10, v13, v10
	s_waitcnt lgkmcnt(0)
	v_add_f32_e32 v7, v14, v7
	ds_bpermute_b32 v11, v15, v8
	ds_bpermute_b32 v12, v15, v9
	ds_bpermute_b32 v13, v15, v10
	ds_bpermute_b32 v14, v15, v7
	v_xor_b32_e32 v15, 8, v6
	v_cmp_gt_i32_e32 vcc_lo, 32, v15
	v_cndmask_b32_e32 v15, v6, v15, vcc_lo
	v_lshlrev_b32_e32 v15, 2, v15
	s_waitcnt lgkmcnt(3)
	v_add_f32_e32 v8, v8, v11
	s_waitcnt lgkmcnt(2)
	v_add_f32_e32 v9, v9, v12
	s_waitcnt lgkmcnt(1)
	v_add_f32_e32 v10, v10, v13
	s_waitcnt lgkmcnt(0)
	v_add_f32_e32 v7, v7, v14
	ds_bpermute_b32 v11, v15, v8
	ds_bpermute_b32 v12, v15, v9
	ds_bpermute_b32 v13, v15, v10
	ds_bpermute_b32 v14, v15, v7
	v_xor_b32_e32 v15, 4, v6
	v_cmp_gt_i32_e32 vcc_lo, 32, v15
	v_cndmask_b32_e32 v15, v6, v15, vcc_lo
	;; [unrolled: 16-line block ×4, first 2 shown]
	v_cmp_eq_u32_e32 vcc_lo, 63, v0
	v_lshlrev_b32_e32 v15, 2, v6
	s_waitcnt lgkmcnt(3)
	v_add_f32_e32 v8, v8, v11
	s_waitcnt lgkmcnt(2)
	v_add_f32_e32 v9, v9, v12
	s_waitcnt lgkmcnt(1)
	v_add_f32_e32 v6, v10, v13
	s_waitcnt lgkmcnt(0)
	v_add_f32_e32 v7, v7, v14
	ds_bpermute_b32 v12, v15, v8
	ds_bpermute_b32 v13, v15, v9
	;; [unrolled: 1-line block ×4, first 2 shown]
	s_and_b32 exec_lo, exec_lo, vcc_lo
	s_cbranch_execz .LBB156_21
; %bb.17:
	s_load_dwordx2 s[2:3], s[4:5], 0x38
	v_cmp_eq_f32_e32 vcc_lo, 0, v3
	v_cmp_eq_f32_e64 s0, 0, v4
	s_waitcnt lgkmcnt(0)
	v_add_f32_e32 v0, v8, v12
	v_add_f32_e32 v8, v9, v13
	;; [unrolled: 1-line block ×4, first 2 shown]
	s_and_b32 s0, vcc_lo, s0
	s_and_saveexec_b32 s1, s0
	s_xor_b32 s0, exec_lo, s1
	s_cbranch_execz .LBB156_19
; %bb.18:
	v_lshlrev_b32_e32 v3, 1, v5
	v_mul_f32_e64 v9, v8, -v2
	v_mul_f32_e32 v10, v1, v8
	v_mul_f32_e64 v11, v7, -v2
	v_mul_f32_e32 v12, v1, v7
	v_ashrrev_i32_e32 v4, 31, v3
	v_fmac_f32_e32 v9, v1, v0
	v_fmac_f32_e32 v10, v2, v0
	;; [unrolled: 1-line block ×4, first 2 shown]
	v_lshlrev_b64 v[3:4], 3, v[3:4]
                                        ; implicit-def: $vgpr5
                                        ; implicit-def: $vgpr8
                                        ; implicit-def: $vgpr7
                                        ; implicit-def: $vgpr6
	v_add_co_u32 v0, vcc_lo, s2, v3
	v_add_co_ci_u32_e64 v1, null, s3, v4, vcc_lo
                                        ; implicit-def: $vgpr3_vgpr4
	global_store_dwordx4 v[0:1], v[9:12], off
                                        ; implicit-def: $vgpr1_vgpr2
                                        ; implicit-def: $vgpr0
.LBB156_19:
	s_andn2_saveexec_b32 s0, s0
	s_cbranch_execz .LBB156_21
; %bb.20:
	v_lshlrev_b32_e32 v9, 1, v5
	v_mul_f32_e64 v5, v8, -v2
	v_mul_f32_e32 v14, v1, v8
	v_mul_f32_e64 v8, v7, -v2
	v_mul_f32_e32 v16, v1, v7
	v_ashrrev_i32_e32 v10, 31, v9
	v_fmac_f32_e32 v5, v1, v0
	v_fmac_f32_e32 v14, v2, v0
	;; [unrolled: 1-line block ×4, first 2 shown]
	v_lshlrev_b64 v[9:10], 3, v[9:10]
	v_add_co_u32 v17, vcc_lo, s2, v9
	v_add_co_ci_u32_e64 v18, null, s3, v10, vcc_lo
	global_load_dwordx4 v[9:12], v[17:18], off
	s_waitcnt vmcnt(0)
	v_fmac_f32_e32 v5, v3, v9
	v_fmac_f32_e32 v14, v4, v9
	;; [unrolled: 1-line block ×4, first 2 shown]
	v_fma_f32 v13, -v4, v10, v5
	v_fmac_f32_e32 v14, v3, v10
	v_fma_f32 v15, -v4, v12, v8
	v_fmac_f32_e32 v16, v3, v12
	global_store_dwordx4 v[17:18], v[13:16], off
.LBB156_21:
	s_endpgm
	.section	.rodata,"a",@progbits
	.p2align	6, 0x0
	.amdhsa_kernel _ZN9rocsparseL19gebsrmvn_2xn_kernelILj128ELj1ELj64E21rocsparse_complex_numIfEEEvi20rocsparse_direction_NS_24const_host_device_scalarIT2_EEPKiS8_PKS5_SA_S6_PS5_21rocsparse_index_base_b
		.amdhsa_group_segment_fixed_size 0
		.amdhsa_private_segment_fixed_size 0
		.amdhsa_kernarg_size 72
		.amdhsa_user_sgpr_count 6
		.amdhsa_user_sgpr_private_segment_buffer 1
		.amdhsa_user_sgpr_dispatch_ptr 0
		.amdhsa_user_sgpr_queue_ptr 0
		.amdhsa_user_sgpr_kernarg_segment_ptr 1
		.amdhsa_user_sgpr_dispatch_id 0
		.amdhsa_user_sgpr_flat_scratch_init 0
		.amdhsa_user_sgpr_private_segment_size 0
		.amdhsa_wavefront_size32 1
		.amdhsa_uses_dynamic_stack 0
		.amdhsa_system_sgpr_private_segment_wavefront_offset 0
		.amdhsa_system_sgpr_workgroup_id_x 1
		.amdhsa_system_sgpr_workgroup_id_y 0
		.amdhsa_system_sgpr_workgroup_id_z 0
		.amdhsa_system_sgpr_workgroup_info 0
		.amdhsa_system_vgpr_workitem_id 0
		.amdhsa_next_free_vgpr 23
		.amdhsa_next_free_sgpr 16
		.amdhsa_reserve_vcc 1
		.amdhsa_reserve_flat_scratch 0
		.amdhsa_float_round_mode_32 0
		.amdhsa_float_round_mode_16_64 0
		.amdhsa_float_denorm_mode_32 3
		.amdhsa_float_denorm_mode_16_64 3
		.amdhsa_dx10_clamp 1
		.amdhsa_ieee_mode 1
		.amdhsa_fp16_overflow 0
		.amdhsa_workgroup_processor_mode 1
		.amdhsa_memory_ordered 1
		.amdhsa_forward_progress 1
		.amdhsa_shared_vgpr_count 0
		.amdhsa_exception_fp_ieee_invalid_op 0
		.amdhsa_exception_fp_denorm_src 0
		.amdhsa_exception_fp_ieee_div_zero 0
		.amdhsa_exception_fp_ieee_overflow 0
		.amdhsa_exception_fp_ieee_underflow 0
		.amdhsa_exception_fp_ieee_inexact 0
		.amdhsa_exception_int_div_zero 0
	.end_amdhsa_kernel
	.section	.text._ZN9rocsparseL19gebsrmvn_2xn_kernelILj128ELj1ELj64E21rocsparse_complex_numIfEEEvi20rocsparse_direction_NS_24const_host_device_scalarIT2_EEPKiS8_PKS5_SA_S6_PS5_21rocsparse_index_base_b,"axG",@progbits,_ZN9rocsparseL19gebsrmvn_2xn_kernelILj128ELj1ELj64E21rocsparse_complex_numIfEEEvi20rocsparse_direction_NS_24const_host_device_scalarIT2_EEPKiS8_PKS5_SA_S6_PS5_21rocsparse_index_base_b,comdat
.Lfunc_end156:
	.size	_ZN9rocsparseL19gebsrmvn_2xn_kernelILj128ELj1ELj64E21rocsparse_complex_numIfEEEvi20rocsparse_direction_NS_24const_host_device_scalarIT2_EEPKiS8_PKS5_SA_S6_PS5_21rocsparse_index_base_b, .Lfunc_end156-_ZN9rocsparseL19gebsrmvn_2xn_kernelILj128ELj1ELj64E21rocsparse_complex_numIfEEEvi20rocsparse_direction_NS_24const_host_device_scalarIT2_EEPKiS8_PKS5_SA_S6_PS5_21rocsparse_index_base_b
                                        ; -- End function
	.set _ZN9rocsparseL19gebsrmvn_2xn_kernelILj128ELj1ELj64E21rocsparse_complex_numIfEEEvi20rocsparse_direction_NS_24const_host_device_scalarIT2_EEPKiS8_PKS5_SA_S6_PS5_21rocsparse_index_base_b.num_vgpr, 23
	.set _ZN9rocsparseL19gebsrmvn_2xn_kernelILj128ELj1ELj64E21rocsparse_complex_numIfEEEvi20rocsparse_direction_NS_24const_host_device_scalarIT2_EEPKiS8_PKS5_SA_S6_PS5_21rocsparse_index_base_b.num_agpr, 0
	.set _ZN9rocsparseL19gebsrmvn_2xn_kernelILj128ELj1ELj64E21rocsparse_complex_numIfEEEvi20rocsparse_direction_NS_24const_host_device_scalarIT2_EEPKiS8_PKS5_SA_S6_PS5_21rocsparse_index_base_b.numbered_sgpr, 16
	.set _ZN9rocsparseL19gebsrmvn_2xn_kernelILj128ELj1ELj64E21rocsparse_complex_numIfEEEvi20rocsparse_direction_NS_24const_host_device_scalarIT2_EEPKiS8_PKS5_SA_S6_PS5_21rocsparse_index_base_b.num_named_barrier, 0
	.set _ZN9rocsparseL19gebsrmvn_2xn_kernelILj128ELj1ELj64E21rocsparse_complex_numIfEEEvi20rocsparse_direction_NS_24const_host_device_scalarIT2_EEPKiS8_PKS5_SA_S6_PS5_21rocsparse_index_base_b.private_seg_size, 0
	.set _ZN9rocsparseL19gebsrmvn_2xn_kernelILj128ELj1ELj64E21rocsparse_complex_numIfEEEvi20rocsparse_direction_NS_24const_host_device_scalarIT2_EEPKiS8_PKS5_SA_S6_PS5_21rocsparse_index_base_b.uses_vcc, 1
	.set _ZN9rocsparseL19gebsrmvn_2xn_kernelILj128ELj1ELj64E21rocsparse_complex_numIfEEEvi20rocsparse_direction_NS_24const_host_device_scalarIT2_EEPKiS8_PKS5_SA_S6_PS5_21rocsparse_index_base_b.uses_flat_scratch, 0
	.set _ZN9rocsparseL19gebsrmvn_2xn_kernelILj128ELj1ELj64E21rocsparse_complex_numIfEEEvi20rocsparse_direction_NS_24const_host_device_scalarIT2_EEPKiS8_PKS5_SA_S6_PS5_21rocsparse_index_base_b.has_dyn_sized_stack, 0
	.set _ZN9rocsparseL19gebsrmvn_2xn_kernelILj128ELj1ELj64E21rocsparse_complex_numIfEEEvi20rocsparse_direction_NS_24const_host_device_scalarIT2_EEPKiS8_PKS5_SA_S6_PS5_21rocsparse_index_base_b.has_recursion, 0
	.set _ZN9rocsparseL19gebsrmvn_2xn_kernelILj128ELj1ELj64E21rocsparse_complex_numIfEEEvi20rocsparse_direction_NS_24const_host_device_scalarIT2_EEPKiS8_PKS5_SA_S6_PS5_21rocsparse_index_base_b.has_indirect_call, 0
	.section	.AMDGPU.csdata,"",@progbits
; Kernel info:
; codeLenInByte = 1648
; TotalNumSgprs: 18
; NumVgprs: 23
; ScratchSize: 0
; MemoryBound: 0
; FloatMode: 240
; IeeeMode: 1
; LDSByteSize: 0 bytes/workgroup (compile time only)
; SGPRBlocks: 0
; VGPRBlocks: 2
; NumSGPRsForWavesPerEU: 18
; NumVGPRsForWavesPerEU: 23
; Occupancy: 16
; WaveLimiterHint : 1
; COMPUTE_PGM_RSRC2:SCRATCH_EN: 0
; COMPUTE_PGM_RSRC2:USER_SGPR: 6
; COMPUTE_PGM_RSRC2:TRAP_HANDLER: 0
; COMPUTE_PGM_RSRC2:TGID_X_EN: 1
; COMPUTE_PGM_RSRC2:TGID_Y_EN: 0
; COMPUTE_PGM_RSRC2:TGID_Z_EN: 0
; COMPUTE_PGM_RSRC2:TIDIG_COMP_CNT: 0
	.section	.text._ZN9rocsparseL19gebsrmvn_2xn_kernelILj128ELj3ELj4E21rocsparse_complex_numIfEEEvi20rocsparse_direction_NS_24const_host_device_scalarIT2_EEPKiS8_PKS5_SA_S6_PS5_21rocsparse_index_base_b,"axG",@progbits,_ZN9rocsparseL19gebsrmvn_2xn_kernelILj128ELj3ELj4E21rocsparse_complex_numIfEEEvi20rocsparse_direction_NS_24const_host_device_scalarIT2_EEPKiS8_PKS5_SA_S6_PS5_21rocsparse_index_base_b,comdat
	.globl	_ZN9rocsparseL19gebsrmvn_2xn_kernelILj128ELj3ELj4E21rocsparse_complex_numIfEEEvi20rocsparse_direction_NS_24const_host_device_scalarIT2_EEPKiS8_PKS5_SA_S6_PS5_21rocsparse_index_base_b ; -- Begin function _ZN9rocsparseL19gebsrmvn_2xn_kernelILj128ELj3ELj4E21rocsparse_complex_numIfEEEvi20rocsparse_direction_NS_24const_host_device_scalarIT2_EEPKiS8_PKS5_SA_S6_PS5_21rocsparse_index_base_b
	.p2align	8
	.type	_ZN9rocsparseL19gebsrmvn_2xn_kernelILj128ELj3ELj4E21rocsparse_complex_numIfEEEvi20rocsparse_direction_NS_24const_host_device_scalarIT2_EEPKiS8_PKS5_SA_S6_PS5_21rocsparse_index_base_b,@function
_ZN9rocsparseL19gebsrmvn_2xn_kernelILj128ELj3ELj4E21rocsparse_complex_numIfEEEvi20rocsparse_direction_NS_24const_host_device_scalarIT2_EEPKiS8_PKS5_SA_S6_PS5_21rocsparse_index_base_b: ; @_ZN9rocsparseL19gebsrmvn_2xn_kernelILj128ELj3ELj4E21rocsparse_complex_numIfEEEvi20rocsparse_direction_NS_24const_host_device_scalarIT2_EEPKiS8_PKS5_SA_S6_PS5_21rocsparse_index_base_b
; %bb.0:
	s_clause 0x2
	s_load_dwordx2 s[2:3], s[4:5], 0x40
	s_load_dwordx2 s[0:1], s[4:5], 0x8
	;; [unrolled: 1-line block ×3, first 2 shown]
	s_add_u32 s7, s4, 8
	s_addc_u32 s10, s5, 0
	s_add_u32 s11, s4, 48
	s_addc_u32 s12, s5, 0
	s_waitcnt lgkmcnt(0)
	s_bitcmp1_b32 s3, 0
	s_cselect_b32 s0, s7, s0
	s_cselect_b32 s1, s10, s1
	v_mov_b32_e32 v1, s0
	v_mov_b32_e32 v2, s1
	s_cselect_b32 s0, s11, s8
	s_cselect_b32 s1, s12, s9
	v_mov_b32_e32 v3, s0
	v_mov_b32_e32 v4, s1
	flat_load_dwordx2 v[1:2], v[1:2]
	flat_load_dwordx2 v[3:4], v[3:4]
	s_waitcnt vmcnt(1) lgkmcnt(1)
	v_cmp_eq_f32_e32 vcc_lo, 0, v1
	v_cmp_eq_f32_e64 s0, 0, v2
	s_and_b32 s3, vcc_lo, s0
	s_mov_b32 s0, -1
	s_and_saveexec_b32 s1, s3
	s_cbranch_execz .LBB157_2
; %bb.1:
	s_waitcnt vmcnt(0) lgkmcnt(0)
	v_cmp_neq_f32_e32 vcc_lo, 1.0, v3
	v_cmp_neq_f32_e64 s0, 0, v4
	s_or_b32 s0, vcc_lo, s0
	s_orn2_b32 s0, s0, exec_lo
.LBB157_2:
	s_or_b32 exec_lo, exec_lo, s1
	s_and_saveexec_b32 s1, s0
	s_cbranch_execz .LBB157_21
; %bb.3:
	s_load_dwordx2 s[0:1], s[4:5], 0x0
	v_lshrrev_b32_e32 v5, 2, v0
	v_lshl_or_b32 v5, s6, 5, v5
	s_waitcnt lgkmcnt(0)
	v_cmp_gt_i32_e32 vcc_lo, s0, v5
	s_and_b32 exec_lo, exec_lo, vcc_lo
	s_cbranch_execz .LBB157_21
; %bb.4:
	s_load_dwordx8 s[8:15], s[4:5], 0x10
	v_ashrrev_i32_e32 v6, 31, v5
	v_and_b32_e32 v0, 3, v0
	s_cmp_lg_u32 s1, 0
	v_lshlrev_b64 v[6:7], 2, v[5:6]
	s_waitcnt lgkmcnt(0)
	v_add_co_u32 v6, vcc_lo, s8, v6
	v_add_co_ci_u32_e64 v7, null, s9, v7, vcc_lo
	global_load_dwordx2 v[6:7], v[6:7], off
	s_waitcnt vmcnt(0)
	v_subrev_nc_u32_e32 v6, s2, v6
	v_subrev_nc_u32_e32 v14, s2, v7
	v_add_nc_u32_e32 v6, v6, v0
	v_cmp_lt_i32_e64 s0, v6, v14
	s_cbranch_scc0 .LBB157_10
; %bb.5:
	v_mov_b32_e32 v12, 0
	v_mov_b32_e32 v15, 0
	;; [unrolled: 1-line block ×4, first 2 shown]
	s_and_saveexec_b32 s1, s0
	s_cbranch_execz .LBB157_9
; %bb.6:
	v_mov_b32_e32 v8, 0
	v_mul_lo_u32 v7, v6, 6
	v_mov_b32_e32 v9, v6
	s_mov_b32 s3, 0
	v_mov_b32_e32 v12, v8
	v_mov_b32_e32 v15, v8
	;; [unrolled: 1-line block ×4, first 2 shown]
.LBB157_7:                              ; =>This Inner Loop Header: Depth=1
	v_ashrrev_i32_e32 v10, 31, v9
	v_add_nc_u32_e32 v17, 2, v7
	v_mov_b32_e32 v18, v8
	v_add_nc_u32_e32 v19, 4, v7
	v_mov_b32_e32 v20, v8
	v_lshlrev_b64 v[10:11], 2, v[9:10]
	v_mov_b32_e32 v26, v8
	v_lshlrev_b64 v[21:22], 3, v[17:18]
	;; [unrolled: 2-line block ×3, first 2 shown]
	v_mov_b32_e32 v30, v8
	v_add_co_u32 v10, vcc_lo, s10, v10
	v_add_co_ci_u32_e64 v11, null, s11, v11, vcc_lo
	v_add_nc_u32_e32 v9, 4, v9
	global_load_dword v25, v[10:11], off
	v_lshlrev_b64 v[10:11], 3, v[7:8]
	v_add_nc_u32_e32 v7, 24, v7
	v_add_co_u32 v10, vcc_lo, s12, v10
	v_add_co_ci_u32_e64 v11, null, s13, v11, vcc_lo
	global_load_dwordx4 v[17:20], v[10:11], off
	v_add_co_u32 v10, vcc_lo, s12, v21
	v_add_co_ci_u32_e64 v11, null, s13, v22, vcc_lo
	v_add_co_u32 v31, vcc_lo, s12, v23
	v_add_co_ci_u32_e64 v32, null, s13, v24, vcc_lo
	global_load_dwordx4 v[21:24], v[10:11], off
	s_waitcnt vmcnt(2)
	v_subrev_nc_u32_e32 v10, s2, v25
	v_lshl_add_u32 v25, v10, 1, v10
	v_lshlrev_b64 v[10:11], 3, v[25:26]
	v_add_nc_u32_e32 v27, 1, v25
	v_add_nc_u32_e32 v29, 2, v25
	v_lshlrev_b64 v[25:26], 3, v[27:28]
	v_add_co_u32 v10, vcc_lo, s14, v10
	v_add_co_ci_u32_e64 v11, null, s15, v11, vcc_lo
	v_lshlrev_b64 v[27:28], 3, v[29:30]
	v_add_co_u32 v25, vcc_lo, s14, v25
	global_load_dwordx2 v[10:11], v[10:11], off
	v_add_co_ci_u32_e64 v26, null, s15, v26, vcc_lo
	v_add_co_u32 v29, vcc_lo, s14, v27
	v_add_co_ci_u32_e64 v30, null, s15, v28, vcc_lo
	global_load_dwordx2 v[33:34], v[25:26], off
	global_load_dwordx4 v[25:28], v[31:32], off
	global_load_dwordx2 v[29:30], v[29:30], off
	v_cmp_ge_i32_e32 vcc_lo, v9, v14
	s_or_b32 s3, vcc_lo, s3
	s_waitcnt vmcnt(3)
	v_fmac_f32_e32 v15, v17, v10
	v_fmac_f32_e32 v12, v18, v10
	v_fmac_f32_e32 v16, v19, v10
	v_fmac_f32_e32 v13, v20, v10
	v_fma_f32 v10, -v18, v11, v15
	v_fmac_f32_e32 v12, v17, v11
	v_fma_f32 v15, -v20, v11, v16
	v_fmac_f32_e32 v13, v19, v11
	s_waitcnt vmcnt(2)
	v_fmac_f32_e32 v10, v21, v33
	v_fmac_f32_e32 v12, v22, v33
	v_fmac_f32_e32 v15, v23, v33
	v_fmac_f32_e32 v13, v24, v33
	v_fma_f32 v10, -v22, v34, v10
	v_fmac_f32_e32 v12, v21, v34
	v_fma_f32 v11, -v24, v34, v15
	v_fmac_f32_e32 v13, v23, v34
	;; [unrolled: 9-line block ×3, first 2 shown]
	s_andn2_b32 exec_lo, exec_lo, s3
	s_cbranch_execnz .LBB157_7
; %bb.8:
	s_or_b32 exec_lo, exec_lo, s3
.LBB157_9:
	s_or_b32 exec_lo, exec_lo, s1
	s_cbranch_execz .LBB157_11
	s_branch .LBB157_16
.LBB157_10:
                                        ; implicit-def: $vgpr12
                                        ; implicit-def: $vgpr15
                                        ; implicit-def: $vgpr16
                                        ; implicit-def: $vgpr13
.LBB157_11:
	v_mov_b32_e32 v12, 0
	v_mov_b32_e32 v15, 0
	;; [unrolled: 1-line block ×4, first 2 shown]
	s_and_saveexec_b32 s1, s0
	s_cbranch_execz .LBB157_15
; %bb.12:
	v_mad_u64_u32 v[8:9], null, v6, 6, 5
	v_mov_b32_e32 v11, 0
	v_mov_b32_e32 v12, 0
	;; [unrolled: 1-line block ×5, first 2 shown]
	s_mov_b32 s0, 0
.LBB157_13:                             ; =>This Inner Loop Header: Depth=1
	v_ashrrev_i32_e32 v7, 31, v6
	v_add_nc_u32_e32 v17, -2, v8
	v_mov_b32_e32 v18, v11
	v_mov_b32_e32 v22, v11
	v_lshlrev_b64 v[9:10], 2, v[6:7]
	v_add_nc_u32_e32 v6, 4, v6
	v_lshlrev_b64 v[17:18], 3, v[17:18]
	v_add_co_u32 v9, vcc_lo, s10, v9
	v_add_co_ci_u32_e64 v10, null, s11, v10, vcc_lo
	global_load_dword v7, v[9:10], off
	v_add_nc_u32_e32 v10, -5, v8
	v_mov_b32_e32 v9, v11
	v_lshlrev_b64 v[19:20], 3, v[10:11]
	v_lshlrev_b64 v[9:10], 3, v[8:9]
	v_add_co_u32 v19, vcc_lo, s12, v19
	v_add_co_ci_u32_e64 v20, null, s13, v20, vcc_lo
	v_add_co_u32 v23, vcc_lo, s12, v17
	v_add_co_ci_u32_e64 v24, null, s13, v18, vcc_lo
	;; [unrolled: 2-line block ×3, first 2 shown]
	s_clause 0x2
	global_load_dwordx4 v[17:20], v[19:20], off
	global_load_dwordx2 v[23:24], v[23:24], off
	global_load_dwordx2 v[25:26], v[9:10], off
	s_waitcnt vmcnt(3)
	v_subrev_nc_u32_e32 v7, s2, v7
	v_lshl_add_u32 v21, v7, 1, v7
	v_add_nc_u32_e32 v10, 1, v21
	v_lshlrev_b64 v[27:28], 3, v[21:22]
	v_lshlrev_b64 v[29:30], 3, v[10:11]
	v_add_nc_u32_e32 v10, -1, v8
	v_add_co_u32 v27, vcc_lo, s14, v27
	v_add_co_ci_u32_e64 v28, null, s15, v28, vcc_lo
	v_lshlrev_b64 v[31:32], 3, v[10:11]
	v_add_nc_u32_e32 v10, -3, v8
	v_add_co_u32 v29, vcc_lo, s14, v29
	global_load_dwordx2 v[27:28], v[27:28], off
	v_add_co_ci_u32_e64 v30, null, s15, v30, vcc_lo
	v_lshlrev_b64 v[33:34], 3, v[10:11]
	v_add_nc_u32_e32 v10, 2, v21
	v_add_co_u32 v21, vcc_lo, s12, v31
	v_add_co_ci_u32_e64 v22, null, s13, v32, vcc_lo
	v_lshlrev_b64 v[9:10], 3, v[10:11]
	global_load_dwordx2 v[29:30], v[29:30], off
	v_add_co_u32 v31, vcc_lo, s12, v33
	global_load_dwordx2 v[21:22], v[21:22], off
	v_add_co_ci_u32_e64 v32, null, s13, v34, vcc_lo
	v_add_co_u32 v9, vcc_lo, s14, v9
	v_add_co_ci_u32_e64 v10, null, s15, v10, vcc_lo
	global_load_dwordx2 v[31:32], v[31:32], off
	global_load_dwordx2 v[9:10], v[9:10], off
	v_cmp_ge_i32_e32 vcc_lo, v6, v14
	v_add_nc_u32_e32 v8, 24, v8
	s_or_b32 s0, vcc_lo, s0
	s_waitcnt vmcnt(4)
	v_fmac_f32_e32 v15, v17, v27
	v_fmac_f32_e32 v12, v18, v27
	;; [unrolled: 1-line block ×4, first 2 shown]
	v_fma_f32 v7, -v18, v28, v15
	v_fmac_f32_e32 v12, v17, v28
	v_fma_f32 v15, -v24, v28, v16
	v_fmac_f32_e32 v13, v23, v28
	s_waitcnt vmcnt(3)
	v_fmac_f32_e32 v7, v19, v29
	v_fmac_f32_e32 v12, v20, v29
	s_waitcnt vmcnt(2)
	v_fmac_f32_e32 v15, v21, v29
	v_fmac_f32_e32 v13, v22, v29
	v_fma_f32 v7, -v20, v30, v7
	v_fmac_f32_e32 v12, v19, v30
	v_fma_f32 v16, -v22, v30, v15
	v_fmac_f32_e32 v13, v21, v30
	s_waitcnt vmcnt(0)
	v_fmac_f32_e32 v7, v31, v9
	v_fmac_f32_e32 v12, v32, v9
	;; [unrolled: 1-line block ×4, first 2 shown]
	v_fma_f32 v15, -v32, v10, v7
	v_fmac_f32_e32 v12, v31, v10
	v_fma_f32 v16, -v26, v10, v16
	v_fmac_f32_e32 v13, v25, v10
	s_andn2_b32 exec_lo, exec_lo, s0
	s_cbranch_execnz .LBB157_13
; %bb.14:
	s_or_b32 exec_lo, exec_lo, s0
.LBB157_15:
	s_or_b32 exec_lo, exec_lo, s1
.LBB157_16:
	v_mbcnt_lo_u32_b32 v6, -1, 0
	v_xor_b32_e32 v7, 2, v6
	v_xor_b32_e32 v11, 1, v6
	v_cmp_gt_i32_e32 vcc_lo, 32, v7
	v_cndmask_b32_e32 v7, v6, v7, vcc_lo
	v_cmp_gt_i32_e32 vcc_lo, 32, v11
	v_lshlrev_b32_e32 v7, 2, v7
	v_cndmask_b32_e32 v6, v6, v11, vcc_lo
	v_cmp_eq_u32_e32 vcc_lo, 3, v0
	ds_bpermute_b32 v8, v7, v15
	ds_bpermute_b32 v9, v7, v12
	;; [unrolled: 1-line block ×4, first 2 shown]
	v_lshlrev_b32_e32 v11, 2, v6
	s_waitcnt lgkmcnt(3)
	v_add_f32_e32 v8, v15, v8
	s_waitcnt lgkmcnt(2)
	v_add_f32_e32 v9, v12, v9
	s_waitcnt lgkmcnt(1)
	v_add_f32_e32 v6, v16, v10
	s_waitcnt lgkmcnt(0)
	v_add_f32_e32 v7, v13, v7
	ds_bpermute_b32 v12, v11, v8
	ds_bpermute_b32 v13, v11, v9
	;; [unrolled: 1-line block ×4, first 2 shown]
	s_and_b32 exec_lo, exec_lo, vcc_lo
	s_cbranch_execz .LBB157_21
; %bb.17:
	s_load_dwordx2 s[2:3], s[4:5], 0x38
	v_cmp_eq_f32_e32 vcc_lo, 0, v3
	v_cmp_eq_f32_e64 s0, 0, v4
	s_waitcnt lgkmcnt(0)
	v_add_f32_e32 v0, v8, v12
	v_add_f32_e32 v8, v9, v13
	;; [unrolled: 1-line block ×4, first 2 shown]
	s_and_b32 s0, vcc_lo, s0
	s_and_saveexec_b32 s1, s0
	s_xor_b32 s0, exec_lo, s1
	s_cbranch_execz .LBB157_19
; %bb.18:
	v_lshlrev_b32_e32 v3, 1, v5
	v_mul_f32_e64 v9, v8, -v2
	v_mul_f32_e32 v10, v1, v8
	v_mul_f32_e64 v11, v7, -v2
	v_mul_f32_e32 v12, v1, v7
	v_ashrrev_i32_e32 v4, 31, v3
	v_fmac_f32_e32 v9, v1, v0
	v_fmac_f32_e32 v10, v2, v0
	;; [unrolled: 1-line block ×4, first 2 shown]
	v_lshlrev_b64 v[3:4], 3, v[3:4]
                                        ; implicit-def: $vgpr5
                                        ; implicit-def: $vgpr8
                                        ; implicit-def: $vgpr7
                                        ; implicit-def: $vgpr6
	v_add_co_u32 v0, vcc_lo, s2, v3
	v_add_co_ci_u32_e64 v1, null, s3, v4, vcc_lo
                                        ; implicit-def: $vgpr3_vgpr4
	global_store_dwordx4 v[0:1], v[9:12], off
                                        ; implicit-def: $vgpr1_vgpr2
                                        ; implicit-def: $vgpr0
.LBB157_19:
	s_andn2_saveexec_b32 s0, s0
	s_cbranch_execz .LBB157_21
; %bb.20:
	v_lshlrev_b32_e32 v9, 1, v5
	v_mul_f32_e64 v5, v8, -v2
	v_mul_f32_e32 v14, v1, v8
	v_mul_f32_e64 v8, v7, -v2
	v_mul_f32_e32 v16, v1, v7
	v_ashrrev_i32_e32 v10, 31, v9
	v_fmac_f32_e32 v5, v1, v0
	v_fmac_f32_e32 v14, v2, v0
	;; [unrolled: 1-line block ×4, first 2 shown]
	v_lshlrev_b64 v[9:10], 3, v[9:10]
	v_add_co_u32 v17, vcc_lo, s2, v9
	v_add_co_ci_u32_e64 v18, null, s3, v10, vcc_lo
	global_load_dwordx4 v[9:12], v[17:18], off
	s_waitcnt vmcnt(0)
	v_fmac_f32_e32 v5, v3, v9
	v_fmac_f32_e32 v14, v4, v9
	;; [unrolled: 1-line block ×4, first 2 shown]
	v_fma_f32 v13, -v4, v10, v5
	v_fmac_f32_e32 v14, v3, v10
	v_fma_f32 v15, -v4, v12, v8
	v_fmac_f32_e32 v16, v3, v12
	global_store_dwordx4 v[17:18], v[13:16], off
.LBB157_21:
	s_endpgm
	.section	.rodata,"a",@progbits
	.p2align	6, 0x0
	.amdhsa_kernel _ZN9rocsparseL19gebsrmvn_2xn_kernelILj128ELj3ELj4E21rocsparse_complex_numIfEEEvi20rocsparse_direction_NS_24const_host_device_scalarIT2_EEPKiS8_PKS5_SA_S6_PS5_21rocsparse_index_base_b
		.amdhsa_group_segment_fixed_size 0
		.amdhsa_private_segment_fixed_size 0
		.amdhsa_kernarg_size 72
		.amdhsa_user_sgpr_count 6
		.amdhsa_user_sgpr_private_segment_buffer 1
		.amdhsa_user_sgpr_dispatch_ptr 0
		.amdhsa_user_sgpr_queue_ptr 0
		.amdhsa_user_sgpr_kernarg_segment_ptr 1
		.amdhsa_user_sgpr_dispatch_id 0
		.amdhsa_user_sgpr_flat_scratch_init 0
		.amdhsa_user_sgpr_private_segment_size 0
		.amdhsa_wavefront_size32 1
		.amdhsa_uses_dynamic_stack 0
		.amdhsa_system_sgpr_private_segment_wavefront_offset 0
		.amdhsa_system_sgpr_workgroup_id_x 1
		.amdhsa_system_sgpr_workgroup_id_y 0
		.amdhsa_system_sgpr_workgroup_id_z 0
		.amdhsa_system_sgpr_workgroup_info 0
		.amdhsa_system_vgpr_workitem_id 0
		.amdhsa_next_free_vgpr 35
		.amdhsa_next_free_sgpr 16
		.amdhsa_reserve_vcc 1
		.amdhsa_reserve_flat_scratch 0
		.amdhsa_float_round_mode_32 0
		.amdhsa_float_round_mode_16_64 0
		.amdhsa_float_denorm_mode_32 3
		.amdhsa_float_denorm_mode_16_64 3
		.amdhsa_dx10_clamp 1
		.amdhsa_ieee_mode 1
		.amdhsa_fp16_overflow 0
		.amdhsa_workgroup_processor_mode 1
		.amdhsa_memory_ordered 1
		.amdhsa_forward_progress 1
		.amdhsa_shared_vgpr_count 0
		.amdhsa_exception_fp_ieee_invalid_op 0
		.amdhsa_exception_fp_denorm_src 0
		.amdhsa_exception_fp_ieee_div_zero 0
		.amdhsa_exception_fp_ieee_overflow 0
		.amdhsa_exception_fp_ieee_underflow 0
		.amdhsa_exception_fp_ieee_inexact 0
		.amdhsa_exception_int_div_zero 0
	.end_amdhsa_kernel
	.section	.text._ZN9rocsparseL19gebsrmvn_2xn_kernelILj128ELj3ELj4E21rocsparse_complex_numIfEEEvi20rocsparse_direction_NS_24const_host_device_scalarIT2_EEPKiS8_PKS5_SA_S6_PS5_21rocsparse_index_base_b,"axG",@progbits,_ZN9rocsparseL19gebsrmvn_2xn_kernelILj128ELj3ELj4E21rocsparse_complex_numIfEEEvi20rocsparse_direction_NS_24const_host_device_scalarIT2_EEPKiS8_PKS5_SA_S6_PS5_21rocsparse_index_base_b,comdat
.Lfunc_end157:
	.size	_ZN9rocsparseL19gebsrmvn_2xn_kernelILj128ELj3ELj4E21rocsparse_complex_numIfEEEvi20rocsparse_direction_NS_24const_host_device_scalarIT2_EEPKiS8_PKS5_SA_S6_PS5_21rocsparse_index_base_b, .Lfunc_end157-_ZN9rocsparseL19gebsrmvn_2xn_kernelILj128ELj3ELj4E21rocsparse_complex_numIfEEEvi20rocsparse_direction_NS_24const_host_device_scalarIT2_EEPKiS8_PKS5_SA_S6_PS5_21rocsparse_index_base_b
                                        ; -- End function
	.set _ZN9rocsparseL19gebsrmvn_2xn_kernelILj128ELj3ELj4E21rocsparse_complex_numIfEEEvi20rocsparse_direction_NS_24const_host_device_scalarIT2_EEPKiS8_PKS5_SA_S6_PS5_21rocsparse_index_base_b.num_vgpr, 35
	.set _ZN9rocsparseL19gebsrmvn_2xn_kernelILj128ELj3ELj4E21rocsparse_complex_numIfEEEvi20rocsparse_direction_NS_24const_host_device_scalarIT2_EEPKiS8_PKS5_SA_S6_PS5_21rocsparse_index_base_b.num_agpr, 0
	.set _ZN9rocsparseL19gebsrmvn_2xn_kernelILj128ELj3ELj4E21rocsparse_complex_numIfEEEvi20rocsparse_direction_NS_24const_host_device_scalarIT2_EEPKiS8_PKS5_SA_S6_PS5_21rocsparse_index_base_b.numbered_sgpr, 16
	.set _ZN9rocsparseL19gebsrmvn_2xn_kernelILj128ELj3ELj4E21rocsparse_complex_numIfEEEvi20rocsparse_direction_NS_24const_host_device_scalarIT2_EEPKiS8_PKS5_SA_S6_PS5_21rocsparse_index_base_b.num_named_barrier, 0
	.set _ZN9rocsparseL19gebsrmvn_2xn_kernelILj128ELj3ELj4E21rocsparse_complex_numIfEEEvi20rocsparse_direction_NS_24const_host_device_scalarIT2_EEPKiS8_PKS5_SA_S6_PS5_21rocsparse_index_base_b.private_seg_size, 0
	.set _ZN9rocsparseL19gebsrmvn_2xn_kernelILj128ELj3ELj4E21rocsparse_complex_numIfEEEvi20rocsparse_direction_NS_24const_host_device_scalarIT2_EEPKiS8_PKS5_SA_S6_PS5_21rocsparse_index_base_b.uses_vcc, 1
	.set _ZN9rocsparseL19gebsrmvn_2xn_kernelILj128ELj3ELj4E21rocsparse_complex_numIfEEEvi20rocsparse_direction_NS_24const_host_device_scalarIT2_EEPKiS8_PKS5_SA_S6_PS5_21rocsparse_index_base_b.uses_flat_scratch, 0
	.set _ZN9rocsparseL19gebsrmvn_2xn_kernelILj128ELj3ELj4E21rocsparse_complex_numIfEEEvi20rocsparse_direction_NS_24const_host_device_scalarIT2_EEPKiS8_PKS5_SA_S6_PS5_21rocsparse_index_base_b.has_dyn_sized_stack, 0
	.set _ZN9rocsparseL19gebsrmvn_2xn_kernelILj128ELj3ELj4E21rocsparse_complex_numIfEEEvi20rocsparse_direction_NS_24const_host_device_scalarIT2_EEPKiS8_PKS5_SA_S6_PS5_21rocsparse_index_base_b.has_recursion, 0
	.set _ZN9rocsparseL19gebsrmvn_2xn_kernelILj128ELj3ELj4E21rocsparse_complex_numIfEEEvi20rocsparse_direction_NS_24const_host_device_scalarIT2_EEPKiS8_PKS5_SA_S6_PS5_21rocsparse_index_base_b.has_indirect_call, 0
	.section	.AMDGPU.csdata,"",@progbits
; Kernel info:
; codeLenInByte = 1800
; TotalNumSgprs: 18
; NumVgprs: 35
; ScratchSize: 0
; MemoryBound: 0
; FloatMode: 240
; IeeeMode: 1
; LDSByteSize: 0 bytes/workgroup (compile time only)
; SGPRBlocks: 0
; VGPRBlocks: 4
; NumSGPRsForWavesPerEU: 18
; NumVGPRsForWavesPerEU: 35
; Occupancy: 16
; WaveLimiterHint : 1
; COMPUTE_PGM_RSRC2:SCRATCH_EN: 0
; COMPUTE_PGM_RSRC2:USER_SGPR: 6
; COMPUTE_PGM_RSRC2:TRAP_HANDLER: 0
; COMPUTE_PGM_RSRC2:TGID_X_EN: 1
; COMPUTE_PGM_RSRC2:TGID_Y_EN: 0
; COMPUTE_PGM_RSRC2:TGID_Z_EN: 0
; COMPUTE_PGM_RSRC2:TIDIG_COMP_CNT: 0
	.section	.text._ZN9rocsparseL19gebsrmvn_2xn_kernelILj128ELj3ELj8E21rocsparse_complex_numIfEEEvi20rocsparse_direction_NS_24const_host_device_scalarIT2_EEPKiS8_PKS5_SA_S6_PS5_21rocsparse_index_base_b,"axG",@progbits,_ZN9rocsparseL19gebsrmvn_2xn_kernelILj128ELj3ELj8E21rocsparse_complex_numIfEEEvi20rocsparse_direction_NS_24const_host_device_scalarIT2_EEPKiS8_PKS5_SA_S6_PS5_21rocsparse_index_base_b,comdat
	.globl	_ZN9rocsparseL19gebsrmvn_2xn_kernelILj128ELj3ELj8E21rocsparse_complex_numIfEEEvi20rocsparse_direction_NS_24const_host_device_scalarIT2_EEPKiS8_PKS5_SA_S6_PS5_21rocsparse_index_base_b ; -- Begin function _ZN9rocsparseL19gebsrmvn_2xn_kernelILj128ELj3ELj8E21rocsparse_complex_numIfEEEvi20rocsparse_direction_NS_24const_host_device_scalarIT2_EEPKiS8_PKS5_SA_S6_PS5_21rocsparse_index_base_b
	.p2align	8
	.type	_ZN9rocsparseL19gebsrmvn_2xn_kernelILj128ELj3ELj8E21rocsparse_complex_numIfEEEvi20rocsparse_direction_NS_24const_host_device_scalarIT2_EEPKiS8_PKS5_SA_S6_PS5_21rocsparse_index_base_b,@function
_ZN9rocsparseL19gebsrmvn_2xn_kernelILj128ELj3ELj8E21rocsparse_complex_numIfEEEvi20rocsparse_direction_NS_24const_host_device_scalarIT2_EEPKiS8_PKS5_SA_S6_PS5_21rocsparse_index_base_b: ; @_ZN9rocsparseL19gebsrmvn_2xn_kernelILj128ELj3ELj8E21rocsparse_complex_numIfEEEvi20rocsparse_direction_NS_24const_host_device_scalarIT2_EEPKiS8_PKS5_SA_S6_PS5_21rocsparse_index_base_b
; %bb.0:
	s_clause 0x2
	s_load_dwordx2 s[2:3], s[4:5], 0x40
	s_load_dwordx2 s[0:1], s[4:5], 0x8
	;; [unrolled: 1-line block ×3, first 2 shown]
	s_add_u32 s7, s4, 8
	s_addc_u32 s10, s5, 0
	s_add_u32 s11, s4, 48
	s_addc_u32 s12, s5, 0
	s_waitcnt lgkmcnt(0)
	s_bitcmp1_b32 s3, 0
	s_cselect_b32 s0, s7, s0
	s_cselect_b32 s1, s10, s1
	v_mov_b32_e32 v1, s0
	v_mov_b32_e32 v2, s1
	s_cselect_b32 s0, s11, s8
	s_cselect_b32 s1, s12, s9
	v_mov_b32_e32 v3, s0
	v_mov_b32_e32 v4, s1
	flat_load_dwordx2 v[1:2], v[1:2]
	flat_load_dwordx2 v[3:4], v[3:4]
	s_waitcnt vmcnt(1) lgkmcnt(1)
	v_cmp_eq_f32_e32 vcc_lo, 0, v1
	v_cmp_eq_f32_e64 s0, 0, v2
	s_and_b32 s3, vcc_lo, s0
	s_mov_b32 s0, -1
	s_and_saveexec_b32 s1, s3
	s_cbranch_execz .LBB158_2
; %bb.1:
	s_waitcnt vmcnt(0) lgkmcnt(0)
	v_cmp_neq_f32_e32 vcc_lo, 1.0, v3
	v_cmp_neq_f32_e64 s0, 0, v4
	s_or_b32 s0, vcc_lo, s0
	s_orn2_b32 s0, s0, exec_lo
.LBB158_2:
	s_or_b32 exec_lo, exec_lo, s1
	s_and_saveexec_b32 s1, s0
	s_cbranch_execz .LBB158_21
; %bb.3:
	s_load_dwordx2 s[0:1], s[4:5], 0x0
	v_lshrrev_b32_e32 v5, 3, v0
	v_lshl_or_b32 v5, s6, 4, v5
	s_waitcnt lgkmcnt(0)
	v_cmp_gt_i32_e32 vcc_lo, s0, v5
	s_and_b32 exec_lo, exec_lo, vcc_lo
	s_cbranch_execz .LBB158_21
; %bb.4:
	s_load_dwordx8 s[8:15], s[4:5], 0x10
	v_ashrrev_i32_e32 v6, 31, v5
	v_and_b32_e32 v0, 7, v0
	s_cmp_lg_u32 s1, 0
	v_lshlrev_b64 v[6:7], 2, v[5:6]
	s_waitcnt lgkmcnt(0)
	v_add_co_u32 v6, vcc_lo, s8, v6
	v_add_co_ci_u32_e64 v7, null, s9, v7, vcc_lo
	global_load_dwordx2 v[6:7], v[6:7], off
	s_waitcnt vmcnt(0)
	v_subrev_nc_u32_e32 v6, s2, v6
	v_subrev_nc_u32_e32 v14, s2, v7
	v_add_nc_u32_e32 v6, v6, v0
	v_cmp_lt_i32_e64 s0, v6, v14
	s_cbranch_scc0 .LBB158_10
; %bb.5:
	v_mov_b32_e32 v12, 0
	v_mov_b32_e32 v15, 0
	;; [unrolled: 1-line block ×4, first 2 shown]
	s_and_saveexec_b32 s1, s0
	s_cbranch_execz .LBB158_9
; %bb.6:
	v_mov_b32_e32 v8, 0
	v_mul_lo_u32 v7, v6, 6
	v_mov_b32_e32 v9, v6
	s_mov_b32 s3, 0
	v_mov_b32_e32 v12, v8
	v_mov_b32_e32 v15, v8
	;; [unrolled: 1-line block ×4, first 2 shown]
.LBB158_7:                              ; =>This Inner Loop Header: Depth=1
	v_ashrrev_i32_e32 v10, 31, v9
	v_add_nc_u32_e32 v17, 2, v7
	v_mov_b32_e32 v18, v8
	v_add_nc_u32_e32 v19, 4, v7
	v_mov_b32_e32 v20, v8
	v_lshlrev_b64 v[10:11], 2, v[9:10]
	v_mov_b32_e32 v26, v8
	v_lshlrev_b64 v[21:22], 3, v[17:18]
	;; [unrolled: 2-line block ×3, first 2 shown]
	v_mov_b32_e32 v30, v8
	v_add_co_u32 v10, vcc_lo, s10, v10
	v_add_co_ci_u32_e64 v11, null, s11, v11, vcc_lo
	v_add_nc_u32_e32 v9, 8, v9
	global_load_dword v25, v[10:11], off
	v_lshlrev_b64 v[10:11], 3, v[7:8]
	v_add_nc_u32_e32 v7, 48, v7
	v_add_co_u32 v10, vcc_lo, s12, v10
	v_add_co_ci_u32_e64 v11, null, s13, v11, vcc_lo
	global_load_dwordx4 v[17:20], v[10:11], off
	v_add_co_u32 v10, vcc_lo, s12, v21
	v_add_co_ci_u32_e64 v11, null, s13, v22, vcc_lo
	v_add_co_u32 v31, vcc_lo, s12, v23
	v_add_co_ci_u32_e64 v32, null, s13, v24, vcc_lo
	global_load_dwordx4 v[21:24], v[10:11], off
	s_waitcnt vmcnt(2)
	v_subrev_nc_u32_e32 v10, s2, v25
	v_lshl_add_u32 v25, v10, 1, v10
	v_lshlrev_b64 v[10:11], 3, v[25:26]
	v_add_nc_u32_e32 v27, 1, v25
	v_add_nc_u32_e32 v29, 2, v25
	v_lshlrev_b64 v[25:26], 3, v[27:28]
	v_add_co_u32 v10, vcc_lo, s14, v10
	v_add_co_ci_u32_e64 v11, null, s15, v11, vcc_lo
	v_lshlrev_b64 v[27:28], 3, v[29:30]
	v_add_co_u32 v25, vcc_lo, s14, v25
	global_load_dwordx2 v[10:11], v[10:11], off
	v_add_co_ci_u32_e64 v26, null, s15, v26, vcc_lo
	v_add_co_u32 v29, vcc_lo, s14, v27
	v_add_co_ci_u32_e64 v30, null, s15, v28, vcc_lo
	global_load_dwordx2 v[33:34], v[25:26], off
	global_load_dwordx4 v[25:28], v[31:32], off
	global_load_dwordx2 v[29:30], v[29:30], off
	v_cmp_ge_i32_e32 vcc_lo, v9, v14
	s_or_b32 s3, vcc_lo, s3
	s_waitcnt vmcnt(3)
	v_fmac_f32_e32 v15, v17, v10
	v_fmac_f32_e32 v12, v18, v10
	v_fmac_f32_e32 v16, v19, v10
	v_fmac_f32_e32 v13, v20, v10
	v_fma_f32 v10, -v18, v11, v15
	v_fmac_f32_e32 v12, v17, v11
	v_fma_f32 v15, -v20, v11, v16
	v_fmac_f32_e32 v13, v19, v11
	s_waitcnt vmcnt(2)
	v_fmac_f32_e32 v10, v21, v33
	v_fmac_f32_e32 v12, v22, v33
	v_fmac_f32_e32 v15, v23, v33
	v_fmac_f32_e32 v13, v24, v33
	v_fma_f32 v10, -v22, v34, v10
	v_fmac_f32_e32 v12, v21, v34
	v_fma_f32 v11, -v24, v34, v15
	v_fmac_f32_e32 v13, v23, v34
	;; [unrolled: 9-line block ×3, first 2 shown]
	s_andn2_b32 exec_lo, exec_lo, s3
	s_cbranch_execnz .LBB158_7
; %bb.8:
	s_or_b32 exec_lo, exec_lo, s3
.LBB158_9:
	s_or_b32 exec_lo, exec_lo, s1
	s_cbranch_execz .LBB158_11
	s_branch .LBB158_16
.LBB158_10:
                                        ; implicit-def: $vgpr12
                                        ; implicit-def: $vgpr15
                                        ; implicit-def: $vgpr16
                                        ; implicit-def: $vgpr13
.LBB158_11:
	v_mov_b32_e32 v12, 0
	v_mov_b32_e32 v15, 0
	;; [unrolled: 1-line block ×4, first 2 shown]
	s_and_saveexec_b32 s1, s0
	s_cbranch_execz .LBB158_15
; %bb.12:
	v_mad_u64_u32 v[8:9], null, v6, 6, 5
	v_mov_b32_e32 v11, 0
	v_mov_b32_e32 v12, 0
	;; [unrolled: 1-line block ×5, first 2 shown]
	s_mov_b32 s0, 0
.LBB158_13:                             ; =>This Inner Loop Header: Depth=1
	v_ashrrev_i32_e32 v7, 31, v6
	v_add_nc_u32_e32 v17, -2, v8
	v_mov_b32_e32 v18, v11
	v_mov_b32_e32 v22, v11
	v_lshlrev_b64 v[9:10], 2, v[6:7]
	v_add_nc_u32_e32 v6, 8, v6
	v_lshlrev_b64 v[17:18], 3, v[17:18]
	v_add_co_u32 v9, vcc_lo, s10, v9
	v_add_co_ci_u32_e64 v10, null, s11, v10, vcc_lo
	global_load_dword v7, v[9:10], off
	v_add_nc_u32_e32 v10, -5, v8
	v_mov_b32_e32 v9, v11
	v_lshlrev_b64 v[19:20], 3, v[10:11]
	v_lshlrev_b64 v[9:10], 3, v[8:9]
	v_add_co_u32 v19, vcc_lo, s12, v19
	v_add_co_ci_u32_e64 v20, null, s13, v20, vcc_lo
	v_add_co_u32 v23, vcc_lo, s12, v17
	v_add_co_ci_u32_e64 v24, null, s13, v18, vcc_lo
	;; [unrolled: 2-line block ×3, first 2 shown]
	s_clause 0x2
	global_load_dwordx4 v[17:20], v[19:20], off
	global_load_dwordx2 v[23:24], v[23:24], off
	global_load_dwordx2 v[25:26], v[9:10], off
	s_waitcnt vmcnt(3)
	v_subrev_nc_u32_e32 v7, s2, v7
	v_lshl_add_u32 v21, v7, 1, v7
	v_add_nc_u32_e32 v10, 1, v21
	v_lshlrev_b64 v[27:28], 3, v[21:22]
	v_lshlrev_b64 v[29:30], 3, v[10:11]
	v_add_nc_u32_e32 v10, -1, v8
	v_add_co_u32 v27, vcc_lo, s14, v27
	v_add_co_ci_u32_e64 v28, null, s15, v28, vcc_lo
	v_lshlrev_b64 v[31:32], 3, v[10:11]
	v_add_nc_u32_e32 v10, -3, v8
	v_add_co_u32 v29, vcc_lo, s14, v29
	global_load_dwordx2 v[27:28], v[27:28], off
	v_add_co_ci_u32_e64 v30, null, s15, v30, vcc_lo
	v_lshlrev_b64 v[33:34], 3, v[10:11]
	v_add_nc_u32_e32 v10, 2, v21
	v_add_co_u32 v21, vcc_lo, s12, v31
	v_add_co_ci_u32_e64 v22, null, s13, v32, vcc_lo
	v_lshlrev_b64 v[9:10], 3, v[10:11]
	global_load_dwordx2 v[29:30], v[29:30], off
	v_add_co_u32 v31, vcc_lo, s12, v33
	global_load_dwordx2 v[21:22], v[21:22], off
	v_add_co_ci_u32_e64 v32, null, s13, v34, vcc_lo
	v_add_co_u32 v9, vcc_lo, s14, v9
	v_add_co_ci_u32_e64 v10, null, s15, v10, vcc_lo
	global_load_dwordx2 v[31:32], v[31:32], off
	global_load_dwordx2 v[9:10], v[9:10], off
	v_cmp_ge_i32_e32 vcc_lo, v6, v14
	v_add_nc_u32_e32 v8, 48, v8
	s_or_b32 s0, vcc_lo, s0
	s_waitcnt vmcnt(4)
	v_fmac_f32_e32 v15, v17, v27
	v_fmac_f32_e32 v12, v18, v27
	;; [unrolled: 1-line block ×4, first 2 shown]
	v_fma_f32 v7, -v18, v28, v15
	v_fmac_f32_e32 v12, v17, v28
	v_fma_f32 v15, -v24, v28, v16
	v_fmac_f32_e32 v13, v23, v28
	s_waitcnt vmcnt(3)
	v_fmac_f32_e32 v7, v19, v29
	v_fmac_f32_e32 v12, v20, v29
	s_waitcnt vmcnt(2)
	v_fmac_f32_e32 v15, v21, v29
	v_fmac_f32_e32 v13, v22, v29
	v_fma_f32 v7, -v20, v30, v7
	v_fmac_f32_e32 v12, v19, v30
	v_fma_f32 v16, -v22, v30, v15
	v_fmac_f32_e32 v13, v21, v30
	s_waitcnt vmcnt(0)
	v_fmac_f32_e32 v7, v31, v9
	v_fmac_f32_e32 v12, v32, v9
	;; [unrolled: 1-line block ×4, first 2 shown]
	v_fma_f32 v15, -v32, v10, v7
	v_fmac_f32_e32 v12, v31, v10
	v_fma_f32 v16, -v26, v10, v16
	v_fmac_f32_e32 v13, v25, v10
	s_andn2_b32 exec_lo, exec_lo, s0
	s_cbranch_execnz .LBB158_13
; %bb.14:
	s_or_b32 exec_lo, exec_lo, s0
.LBB158_15:
	s_or_b32 exec_lo, exec_lo, s1
.LBB158_16:
	v_mbcnt_lo_u32_b32 v6, -1, 0
	v_xor_b32_e32 v7, 4, v6
	v_xor_b32_e32 v11, 2, v6
	v_cmp_gt_i32_e32 vcc_lo, 32, v7
	v_cndmask_b32_e32 v7, v6, v7, vcc_lo
	v_cmp_gt_i32_e32 vcc_lo, 32, v11
	v_lshlrev_b32_e32 v7, 2, v7
	v_cndmask_b32_e32 v11, v6, v11, vcc_lo
	ds_bpermute_b32 v8, v7, v15
	ds_bpermute_b32 v9, v7, v12
	;; [unrolled: 1-line block ×4, first 2 shown]
	v_lshlrev_b32_e32 v11, 2, v11
	s_waitcnt lgkmcnt(3)
	v_add_f32_e32 v8, v15, v8
	s_waitcnt lgkmcnt(2)
	v_add_f32_e32 v9, v12, v9
	;; [unrolled: 2-line block ×4, first 2 shown]
	v_xor_b32_e32 v15, 1, v6
	ds_bpermute_b32 v12, v11, v8
	ds_bpermute_b32 v13, v11, v9
	;; [unrolled: 1-line block ×4, first 2 shown]
	v_cmp_gt_i32_e32 vcc_lo, 32, v15
	v_cndmask_b32_e32 v6, v6, v15, vcc_lo
	v_cmp_eq_u32_e32 vcc_lo, 7, v0
	v_lshlrev_b32_e32 v15, 2, v6
	s_waitcnt lgkmcnt(3)
	v_add_f32_e32 v8, v8, v12
	s_waitcnt lgkmcnt(2)
	v_add_f32_e32 v9, v9, v13
	;; [unrolled: 2-line block ×4, first 2 shown]
	ds_bpermute_b32 v12, v15, v8
	ds_bpermute_b32 v13, v15, v9
	;; [unrolled: 1-line block ×4, first 2 shown]
	s_and_b32 exec_lo, exec_lo, vcc_lo
	s_cbranch_execz .LBB158_21
; %bb.17:
	s_load_dwordx2 s[2:3], s[4:5], 0x38
	v_cmp_eq_f32_e32 vcc_lo, 0, v3
	v_cmp_eq_f32_e64 s0, 0, v4
	s_waitcnt lgkmcnt(0)
	v_add_f32_e32 v0, v8, v12
	v_add_f32_e32 v8, v9, v13
	;; [unrolled: 1-line block ×4, first 2 shown]
	s_and_b32 s0, vcc_lo, s0
	s_and_saveexec_b32 s1, s0
	s_xor_b32 s0, exec_lo, s1
	s_cbranch_execz .LBB158_19
; %bb.18:
	v_lshlrev_b32_e32 v3, 1, v5
	v_mul_f32_e64 v9, v8, -v2
	v_mul_f32_e32 v10, v1, v8
	v_mul_f32_e64 v11, v7, -v2
	v_mul_f32_e32 v12, v1, v7
	v_ashrrev_i32_e32 v4, 31, v3
	v_fmac_f32_e32 v9, v1, v0
	v_fmac_f32_e32 v10, v2, v0
	;; [unrolled: 1-line block ×4, first 2 shown]
	v_lshlrev_b64 v[3:4], 3, v[3:4]
                                        ; implicit-def: $vgpr5
                                        ; implicit-def: $vgpr8
                                        ; implicit-def: $vgpr7
                                        ; implicit-def: $vgpr6
	v_add_co_u32 v0, vcc_lo, s2, v3
	v_add_co_ci_u32_e64 v1, null, s3, v4, vcc_lo
                                        ; implicit-def: $vgpr3_vgpr4
	global_store_dwordx4 v[0:1], v[9:12], off
                                        ; implicit-def: $vgpr1_vgpr2
                                        ; implicit-def: $vgpr0
.LBB158_19:
	s_andn2_saveexec_b32 s0, s0
	s_cbranch_execz .LBB158_21
; %bb.20:
	v_lshlrev_b32_e32 v9, 1, v5
	v_mul_f32_e64 v5, v8, -v2
	v_mul_f32_e32 v14, v1, v8
	v_mul_f32_e64 v8, v7, -v2
	v_mul_f32_e32 v16, v1, v7
	v_ashrrev_i32_e32 v10, 31, v9
	v_fmac_f32_e32 v5, v1, v0
	v_fmac_f32_e32 v14, v2, v0
	;; [unrolled: 1-line block ×4, first 2 shown]
	v_lshlrev_b64 v[9:10], 3, v[9:10]
	v_add_co_u32 v17, vcc_lo, s2, v9
	v_add_co_ci_u32_e64 v18, null, s3, v10, vcc_lo
	global_load_dwordx4 v[9:12], v[17:18], off
	s_waitcnt vmcnt(0)
	v_fmac_f32_e32 v5, v3, v9
	v_fmac_f32_e32 v14, v4, v9
	;; [unrolled: 1-line block ×4, first 2 shown]
	v_fma_f32 v13, -v4, v10, v5
	v_fmac_f32_e32 v14, v3, v10
	v_fma_f32 v15, -v4, v12, v8
	v_fmac_f32_e32 v16, v3, v12
	global_store_dwordx4 v[17:18], v[13:16], off
.LBB158_21:
	s_endpgm
	.section	.rodata,"a",@progbits
	.p2align	6, 0x0
	.amdhsa_kernel _ZN9rocsparseL19gebsrmvn_2xn_kernelILj128ELj3ELj8E21rocsparse_complex_numIfEEEvi20rocsparse_direction_NS_24const_host_device_scalarIT2_EEPKiS8_PKS5_SA_S6_PS5_21rocsparse_index_base_b
		.amdhsa_group_segment_fixed_size 0
		.amdhsa_private_segment_fixed_size 0
		.amdhsa_kernarg_size 72
		.amdhsa_user_sgpr_count 6
		.amdhsa_user_sgpr_private_segment_buffer 1
		.amdhsa_user_sgpr_dispatch_ptr 0
		.amdhsa_user_sgpr_queue_ptr 0
		.amdhsa_user_sgpr_kernarg_segment_ptr 1
		.amdhsa_user_sgpr_dispatch_id 0
		.amdhsa_user_sgpr_flat_scratch_init 0
		.amdhsa_user_sgpr_private_segment_size 0
		.amdhsa_wavefront_size32 1
		.amdhsa_uses_dynamic_stack 0
		.amdhsa_system_sgpr_private_segment_wavefront_offset 0
		.amdhsa_system_sgpr_workgroup_id_x 1
		.amdhsa_system_sgpr_workgroup_id_y 0
		.amdhsa_system_sgpr_workgroup_id_z 0
		.amdhsa_system_sgpr_workgroup_info 0
		.amdhsa_system_vgpr_workitem_id 0
		.amdhsa_next_free_vgpr 35
		.amdhsa_next_free_sgpr 16
		.amdhsa_reserve_vcc 1
		.amdhsa_reserve_flat_scratch 0
		.amdhsa_float_round_mode_32 0
		.amdhsa_float_round_mode_16_64 0
		.amdhsa_float_denorm_mode_32 3
		.amdhsa_float_denorm_mode_16_64 3
		.amdhsa_dx10_clamp 1
		.amdhsa_ieee_mode 1
		.amdhsa_fp16_overflow 0
		.amdhsa_workgroup_processor_mode 1
		.amdhsa_memory_ordered 1
		.amdhsa_forward_progress 1
		.amdhsa_shared_vgpr_count 0
		.amdhsa_exception_fp_ieee_invalid_op 0
		.amdhsa_exception_fp_denorm_src 0
		.amdhsa_exception_fp_ieee_div_zero 0
		.amdhsa_exception_fp_ieee_overflow 0
		.amdhsa_exception_fp_ieee_underflow 0
		.amdhsa_exception_fp_ieee_inexact 0
		.amdhsa_exception_int_div_zero 0
	.end_amdhsa_kernel
	.section	.text._ZN9rocsparseL19gebsrmvn_2xn_kernelILj128ELj3ELj8E21rocsparse_complex_numIfEEEvi20rocsparse_direction_NS_24const_host_device_scalarIT2_EEPKiS8_PKS5_SA_S6_PS5_21rocsparse_index_base_b,"axG",@progbits,_ZN9rocsparseL19gebsrmvn_2xn_kernelILj128ELj3ELj8E21rocsparse_complex_numIfEEEvi20rocsparse_direction_NS_24const_host_device_scalarIT2_EEPKiS8_PKS5_SA_S6_PS5_21rocsparse_index_base_b,comdat
.Lfunc_end158:
	.size	_ZN9rocsparseL19gebsrmvn_2xn_kernelILj128ELj3ELj8E21rocsparse_complex_numIfEEEvi20rocsparse_direction_NS_24const_host_device_scalarIT2_EEPKiS8_PKS5_SA_S6_PS5_21rocsparse_index_base_b, .Lfunc_end158-_ZN9rocsparseL19gebsrmvn_2xn_kernelILj128ELj3ELj8E21rocsparse_complex_numIfEEEvi20rocsparse_direction_NS_24const_host_device_scalarIT2_EEPKiS8_PKS5_SA_S6_PS5_21rocsparse_index_base_b
                                        ; -- End function
	.set _ZN9rocsparseL19gebsrmvn_2xn_kernelILj128ELj3ELj8E21rocsparse_complex_numIfEEEvi20rocsparse_direction_NS_24const_host_device_scalarIT2_EEPKiS8_PKS5_SA_S6_PS5_21rocsparse_index_base_b.num_vgpr, 35
	.set _ZN9rocsparseL19gebsrmvn_2xn_kernelILj128ELj3ELj8E21rocsparse_complex_numIfEEEvi20rocsparse_direction_NS_24const_host_device_scalarIT2_EEPKiS8_PKS5_SA_S6_PS5_21rocsparse_index_base_b.num_agpr, 0
	.set _ZN9rocsparseL19gebsrmvn_2xn_kernelILj128ELj3ELj8E21rocsparse_complex_numIfEEEvi20rocsparse_direction_NS_24const_host_device_scalarIT2_EEPKiS8_PKS5_SA_S6_PS5_21rocsparse_index_base_b.numbered_sgpr, 16
	.set _ZN9rocsparseL19gebsrmvn_2xn_kernelILj128ELj3ELj8E21rocsparse_complex_numIfEEEvi20rocsparse_direction_NS_24const_host_device_scalarIT2_EEPKiS8_PKS5_SA_S6_PS5_21rocsparse_index_base_b.num_named_barrier, 0
	.set _ZN9rocsparseL19gebsrmvn_2xn_kernelILj128ELj3ELj8E21rocsparse_complex_numIfEEEvi20rocsparse_direction_NS_24const_host_device_scalarIT2_EEPKiS8_PKS5_SA_S6_PS5_21rocsparse_index_base_b.private_seg_size, 0
	.set _ZN9rocsparseL19gebsrmvn_2xn_kernelILj128ELj3ELj8E21rocsparse_complex_numIfEEEvi20rocsparse_direction_NS_24const_host_device_scalarIT2_EEPKiS8_PKS5_SA_S6_PS5_21rocsparse_index_base_b.uses_vcc, 1
	.set _ZN9rocsparseL19gebsrmvn_2xn_kernelILj128ELj3ELj8E21rocsparse_complex_numIfEEEvi20rocsparse_direction_NS_24const_host_device_scalarIT2_EEPKiS8_PKS5_SA_S6_PS5_21rocsparse_index_base_b.uses_flat_scratch, 0
	.set _ZN9rocsparseL19gebsrmvn_2xn_kernelILj128ELj3ELj8E21rocsparse_complex_numIfEEEvi20rocsparse_direction_NS_24const_host_device_scalarIT2_EEPKiS8_PKS5_SA_S6_PS5_21rocsparse_index_base_b.has_dyn_sized_stack, 0
	.set _ZN9rocsparseL19gebsrmvn_2xn_kernelILj128ELj3ELj8E21rocsparse_complex_numIfEEEvi20rocsparse_direction_NS_24const_host_device_scalarIT2_EEPKiS8_PKS5_SA_S6_PS5_21rocsparse_index_base_b.has_recursion, 0
	.set _ZN9rocsparseL19gebsrmvn_2xn_kernelILj128ELj3ELj8E21rocsparse_complex_numIfEEEvi20rocsparse_direction_NS_24const_host_device_scalarIT2_EEPKiS8_PKS5_SA_S6_PS5_21rocsparse_index_base_b.has_indirect_call, 0
	.section	.AMDGPU.csdata,"",@progbits
; Kernel info:
; codeLenInByte = 1880
; TotalNumSgprs: 18
; NumVgprs: 35
; ScratchSize: 0
; MemoryBound: 0
; FloatMode: 240
; IeeeMode: 1
; LDSByteSize: 0 bytes/workgroup (compile time only)
; SGPRBlocks: 0
; VGPRBlocks: 4
; NumSGPRsForWavesPerEU: 18
; NumVGPRsForWavesPerEU: 35
; Occupancy: 16
; WaveLimiterHint : 1
; COMPUTE_PGM_RSRC2:SCRATCH_EN: 0
; COMPUTE_PGM_RSRC2:USER_SGPR: 6
; COMPUTE_PGM_RSRC2:TRAP_HANDLER: 0
; COMPUTE_PGM_RSRC2:TGID_X_EN: 1
; COMPUTE_PGM_RSRC2:TGID_Y_EN: 0
; COMPUTE_PGM_RSRC2:TGID_Z_EN: 0
; COMPUTE_PGM_RSRC2:TIDIG_COMP_CNT: 0
	.section	.text._ZN9rocsparseL19gebsrmvn_2xn_kernelILj128ELj3ELj16E21rocsparse_complex_numIfEEEvi20rocsparse_direction_NS_24const_host_device_scalarIT2_EEPKiS8_PKS5_SA_S6_PS5_21rocsparse_index_base_b,"axG",@progbits,_ZN9rocsparseL19gebsrmvn_2xn_kernelILj128ELj3ELj16E21rocsparse_complex_numIfEEEvi20rocsparse_direction_NS_24const_host_device_scalarIT2_EEPKiS8_PKS5_SA_S6_PS5_21rocsparse_index_base_b,comdat
	.globl	_ZN9rocsparseL19gebsrmvn_2xn_kernelILj128ELj3ELj16E21rocsparse_complex_numIfEEEvi20rocsparse_direction_NS_24const_host_device_scalarIT2_EEPKiS8_PKS5_SA_S6_PS5_21rocsparse_index_base_b ; -- Begin function _ZN9rocsparseL19gebsrmvn_2xn_kernelILj128ELj3ELj16E21rocsparse_complex_numIfEEEvi20rocsparse_direction_NS_24const_host_device_scalarIT2_EEPKiS8_PKS5_SA_S6_PS5_21rocsparse_index_base_b
	.p2align	8
	.type	_ZN9rocsparseL19gebsrmvn_2xn_kernelILj128ELj3ELj16E21rocsparse_complex_numIfEEEvi20rocsparse_direction_NS_24const_host_device_scalarIT2_EEPKiS8_PKS5_SA_S6_PS5_21rocsparse_index_base_b,@function
_ZN9rocsparseL19gebsrmvn_2xn_kernelILj128ELj3ELj16E21rocsparse_complex_numIfEEEvi20rocsparse_direction_NS_24const_host_device_scalarIT2_EEPKiS8_PKS5_SA_S6_PS5_21rocsparse_index_base_b: ; @_ZN9rocsparseL19gebsrmvn_2xn_kernelILj128ELj3ELj16E21rocsparse_complex_numIfEEEvi20rocsparse_direction_NS_24const_host_device_scalarIT2_EEPKiS8_PKS5_SA_S6_PS5_21rocsparse_index_base_b
; %bb.0:
	s_clause 0x2
	s_load_dwordx2 s[2:3], s[4:5], 0x40
	s_load_dwordx2 s[0:1], s[4:5], 0x8
	;; [unrolled: 1-line block ×3, first 2 shown]
	s_add_u32 s7, s4, 8
	s_addc_u32 s10, s5, 0
	s_add_u32 s11, s4, 48
	s_addc_u32 s12, s5, 0
	s_waitcnt lgkmcnt(0)
	s_bitcmp1_b32 s3, 0
	s_cselect_b32 s0, s7, s0
	s_cselect_b32 s1, s10, s1
	v_mov_b32_e32 v1, s0
	v_mov_b32_e32 v2, s1
	s_cselect_b32 s0, s11, s8
	s_cselect_b32 s1, s12, s9
	v_mov_b32_e32 v3, s0
	v_mov_b32_e32 v4, s1
	flat_load_dwordx2 v[1:2], v[1:2]
	flat_load_dwordx2 v[3:4], v[3:4]
	s_waitcnt vmcnt(1) lgkmcnt(1)
	v_cmp_eq_f32_e32 vcc_lo, 0, v1
	v_cmp_eq_f32_e64 s0, 0, v2
	s_and_b32 s3, vcc_lo, s0
	s_mov_b32 s0, -1
	s_and_saveexec_b32 s1, s3
	s_cbranch_execz .LBB159_2
; %bb.1:
	s_waitcnt vmcnt(0) lgkmcnt(0)
	v_cmp_neq_f32_e32 vcc_lo, 1.0, v3
	v_cmp_neq_f32_e64 s0, 0, v4
	s_or_b32 s0, vcc_lo, s0
	s_orn2_b32 s0, s0, exec_lo
.LBB159_2:
	s_or_b32 exec_lo, exec_lo, s1
	s_and_saveexec_b32 s1, s0
	s_cbranch_execz .LBB159_21
; %bb.3:
	s_load_dwordx2 s[0:1], s[4:5], 0x0
	v_lshrrev_b32_e32 v5, 4, v0
	v_lshl_or_b32 v5, s6, 3, v5
	s_waitcnt lgkmcnt(0)
	v_cmp_gt_i32_e32 vcc_lo, s0, v5
	s_and_b32 exec_lo, exec_lo, vcc_lo
	s_cbranch_execz .LBB159_21
; %bb.4:
	s_load_dwordx8 s[8:15], s[4:5], 0x10
	v_ashrrev_i32_e32 v6, 31, v5
	v_and_b32_e32 v0, 15, v0
	s_cmp_lg_u32 s1, 0
	v_lshlrev_b64 v[6:7], 2, v[5:6]
	s_waitcnt lgkmcnt(0)
	v_add_co_u32 v6, vcc_lo, s8, v6
	v_add_co_ci_u32_e64 v7, null, s9, v7, vcc_lo
	global_load_dwordx2 v[6:7], v[6:7], off
	s_waitcnt vmcnt(0)
	v_subrev_nc_u32_e32 v6, s2, v6
	v_subrev_nc_u32_e32 v14, s2, v7
	v_add_nc_u32_e32 v6, v6, v0
	v_cmp_lt_i32_e64 s0, v6, v14
	s_cbranch_scc0 .LBB159_10
; %bb.5:
	v_mov_b32_e32 v12, 0
	v_mov_b32_e32 v15, 0
	v_mov_b32_e32 v16, 0
	v_mov_b32_e32 v13, 0
	s_and_saveexec_b32 s1, s0
	s_cbranch_execz .LBB159_9
; %bb.6:
	v_mov_b32_e32 v8, 0
	v_mul_lo_u32 v7, v6, 6
	v_mov_b32_e32 v9, v6
	s_mov_b32 s3, 0
	v_mov_b32_e32 v12, v8
	v_mov_b32_e32 v15, v8
	v_mov_b32_e32 v16, v8
	v_mov_b32_e32 v13, v8
.LBB159_7:                              ; =>This Inner Loop Header: Depth=1
	v_ashrrev_i32_e32 v10, 31, v9
	v_add_nc_u32_e32 v17, 2, v7
	v_mov_b32_e32 v18, v8
	v_add_nc_u32_e32 v19, 4, v7
	v_mov_b32_e32 v20, v8
	v_lshlrev_b64 v[10:11], 2, v[9:10]
	v_mov_b32_e32 v26, v8
	v_lshlrev_b64 v[21:22], 3, v[17:18]
	;; [unrolled: 2-line block ×3, first 2 shown]
	v_mov_b32_e32 v30, v8
	v_add_co_u32 v10, vcc_lo, s10, v10
	v_add_co_ci_u32_e64 v11, null, s11, v11, vcc_lo
	v_add_nc_u32_e32 v9, 16, v9
	global_load_dword v25, v[10:11], off
	v_lshlrev_b64 v[10:11], 3, v[7:8]
	v_add_nc_u32_e32 v7, 0x60, v7
	v_add_co_u32 v10, vcc_lo, s12, v10
	v_add_co_ci_u32_e64 v11, null, s13, v11, vcc_lo
	global_load_dwordx4 v[17:20], v[10:11], off
	v_add_co_u32 v10, vcc_lo, s12, v21
	v_add_co_ci_u32_e64 v11, null, s13, v22, vcc_lo
	v_add_co_u32 v31, vcc_lo, s12, v23
	v_add_co_ci_u32_e64 v32, null, s13, v24, vcc_lo
	global_load_dwordx4 v[21:24], v[10:11], off
	s_waitcnt vmcnt(2)
	v_subrev_nc_u32_e32 v10, s2, v25
	v_lshl_add_u32 v25, v10, 1, v10
	v_lshlrev_b64 v[10:11], 3, v[25:26]
	v_add_nc_u32_e32 v27, 1, v25
	v_add_nc_u32_e32 v29, 2, v25
	v_lshlrev_b64 v[25:26], 3, v[27:28]
	v_add_co_u32 v10, vcc_lo, s14, v10
	v_add_co_ci_u32_e64 v11, null, s15, v11, vcc_lo
	v_lshlrev_b64 v[27:28], 3, v[29:30]
	v_add_co_u32 v25, vcc_lo, s14, v25
	global_load_dwordx2 v[10:11], v[10:11], off
	v_add_co_ci_u32_e64 v26, null, s15, v26, vcc_lo
	v_add_co_u32 v29, vcc_lo, s14, v27
	v_add_co_ci_u32_e64 v30, null, s15, v28, vcc_lo
	global_load_dwordx2 v[33:34], v[25:26], off
	global_load_dwordx4 v[25:28], v[31:32], off
	global_load_dwordx2 v[29:30], v[29:30], off
	v_cmp_ge_i32_e32 vcc_lo, v9, v14
	s_or_b32 s3, vcc_lo, s3
	s_waitcnt vmcnt(3)
	v_fmac_f32_e32 v15, v17, v10
	v_fmac_f32_e32 v12, v18, v10
	v_fmac_f32_e32 v16, v19, v10
	v_fmac_f32_e32 v13, v20, v10
	v_fma_f32 v10, -v18, v11, v15
	v_fmac_f32_e32 v12, v17, v11
	v_fma_f32 v15, -v20, v11, v16
	v_fmac_f32_e32 v13, v19, v11
	s_waitcnt vmcnt(2)
	v_fmac_f32_e32 v10, v21, v33
	v_fmac_f32_e32 v12, v22, v33
	v_fmac_f32_e32 v15, v23, v33
	v_fmac_f32_e32 v13, v24, v33
	v_fma_f32 v10, -v22, v34, v10
	v_fmac_f32_e32 v12, v21, v34
	v_fma_f32 v11, -v24, v34, v15
	v_fmac_f32_e32 v13, v23, v34
	;; [unrolled: 9-line block ×3, first 2 shown]
	s_andn2_b32 exec_lo, exec_lo, s3
	s_cbranch_execnz .LBB159_7
; %bb.8:
	s_or_b32 exec_lo, exec_lo, s3
.LBB159_9:
	s_or_b32 exec_lo, exec_lo, s1
	s_cbranch_execz .LBB159_11
	s_branch .LBB159_16
.LBB159_10:
                                        ; implicit-def: $vgpr12
                                        ; implicit-def: $vgpr15
                                        ; implicit-def: $vgpr16
                                        ; implicit-def: $vgpr13
.LBB159_11:
	v_mov_b32_e32 v12, 0
	v_mov_b32_e32 v15, 0
	;; [unrolled: 1-line block ×4, first 2 shown]
	s_and_saveexec_b32 s1, s0
	s_cbranch_execz .LBB159_15
; %bb.12:
	v_mad_u64_u32 v[8:9], null, v6, 6, 5
	v_mov_b32_e32 v11, 0
	v_mov_b32_e32 v12, 0
	;; [unrolled: 1-line block ×5, first 2 shown]
	s_mov_b32 s0, 0
.LBB159_13:                             ; =>This Inner Loop Header: Depth=1
	v_ashrrev_i32_e32 v7, 31, v6
	v_add_nc_u32_e32 v17, -2, v8
	v_mov_b32_e32 v18, v11
	v_mov_b32_e32 v22, v11
	v_lshlrev_b64 v[9:10], 2, v[6:7]
	v_add_nc_u32_e32 v6, 16, v6
	v_lshlrev_b64 v[17:18], 3, v[17:18]
	v_add_co_u32 v9, vcc_lo, s10, v9
	v_add_co_ci_u32_e64 v10, null, s11, v10, vcc_lo
	global_load_dword v7, v[9:10], off
	v_add_nc_u32_e32 v10, -5, v8
	v_mov_b32_e32 v9, v11
	v_lshlrev_b64 v[19:20], 3, v[10:11]
	v_lshlrev_b64 v[9:10], 3, v[8:9]
	v_add_co_u32 v19, vcc_lo, s12, v19
	v_add_co_ci_u32_e64 v20, null, s13, v20, vcc_lo
	v_add_co_u32 v23, vcc_lo, s12, v17
	v_add_co_ci_u32_e64 v24, null, s13, v18, vcc_lo
	;; [unrolled: 2-line block ×3, first 2 shown]
	s_clause 0x2
	global_load_dwordx4 v[17:20], v[19:20], off
	global_load_dwordx2 v[23:24], v[23:24], off
	global_load_dwordx2 v[25:26], v[9:10], off
	s_waitcnt vmcnt(3)
	v_subrev_nc_u32_e32 v7, s2, v7
	v_lshl_add_u32 v21, v7, 1, v7
	v_add_nc_u32_e32 v10, 1, v21
	v_lshlrev_b64 v[27:28], 3, v[21:22]
	v_lshlrev_b64 v[29:30], 3, v[10:11]
	v_add_nc_u32_e32 v10, -1, v8
	v_add_co_u32 v27, vcc_lo, s14, v27
	v_add_co_ci_u32_e64 v28, null, s15, v28, vcc_lo
	v_lshlrev_b64 v[31:32], 3, v[10:11]
	v_add_nc_u32_e32 v10, -3, v8
	v_add_co_u32 v29, vcc_lo, s14, v29
	global_load_dwordx2 v[27:28], v[27:28], off
	v_add_co_ci_u32_e64 v30, null, s15, v30, vcc_lo
	v_lshlrev_b64 v[33:34], 3, v[10:11]
	v_add_nc_u32_e32 v10, 2, v21
	v_add_co_u32 v21, vcc_lo, s12, v31
	v_add_co_ci_u32_e64 v22, null, s13, v32, vcc_lo
	v_lshlrev_b64 v[9:10], 3, v[10:11]
	global_load_dwordx2 v[29:30], v[29:30], off
	v_add_co_u32 v31, vcc_lo, s12, v33
	global_load_dwordx2 v[21:22], v[21:22], off
	v_add_co_ci_u32_e64 v32, null, s13, v34, vcc_lo
	v_add_co_u32 v9, vcc_lo, s14, v9
	v_add_co_ci_u32_e64 v10, null, s15, v10, vcc_lo
	global_load_dwordx2 v[31:32], v[31:32], off
	global_load_dwordx2 v[9:10], v[9:10], off
	v_cmp_ge_i32_e32 vcc_lo, v6, v14
	v_add_nc_u32_e32 v8, 0x60, v8
	s_or_b32 s0, vcc_lo, s0
	s_waitcnt vmcnt(4)
	v_fmac_f32_e32 v15, v17, v27
	v_fmac_f32_e32 v12, v18, v27
	;; [unrolled: 1-line block ×4, first 2 shown]
	v_fma_f32 v7, -v18, v28, v15
	v_fmac_f32_e32 v12, v17, v28
	v_fma_f32 v15, -v24, v28, v16
	v_fmac_f32_e32 v13, v23, v28
	s_waitcnt vmcnt(3)
	v_fmac_f32_e32 v7, v19, v29
	v_fmac_f32_e32 v12, v20, v29
	s_waitcnt vmcnt(2)
	v_fmac_f32_e32 v15, v21, v29
	v_fmac_f32_e32 v13, v22, v29
	v_fma_f32 v7, -v20, v30, v7
	v_fmac_f32_e32 v12, v19, v30
	v_fma_f32 v16, -v22, v30, v15
	v_fmac_f32_e32 v13, v21, v30
	s_waitcnt vmcnt(0)
	v_fmac_f32_e32 v7, v31, v9
	v_fmac_f32_e32 v12, v32, v9
	;; [unrolled: 1-line block ×4, first 2 shown]
	v_fma_f32 v15, -v32, v10, v7
	v_fmac_f32_e32 v12, v31, v10
	v_fma_f32 v16, -v26, v10, v16
	v_fmac_f32_e32 v13, v25, v10
	s_andn2_b32 exec_lo, exec_lo, s0
	s_cbranch_execnz .LBB159_13
; %bb.14:
	s_or_b32 exec_lo, exec_lo, s0
.LBB159_15:
	s_or_b32 exec_lo, exec_lo, s1
.LBB159_16:
	v_mbcnt_lo_u32_b32 v6, -1, 0
	v_xor_b32_e32 v7, 8, v6
	v_xor_b32_e32 v11, 4, v6
	v_cmp_gt_i32_e32 vcc_lo, 32, v7
	v_cndmask_b32_e32 v7, v6, v7, vcc_lo
	v_cmp_gt_i32_e32 vcc_lo, 32, v11
	v_lshlrev_b32_e32 v7, 2, v7
	v_cndmask_b32_e32 v11, v6, v11, vcc_lo
	ds_bpermute_b32 v8, v7, v15
	ds_bpermute_b32 v9, v7, v12
	;; [unrolled: 1-line block ×4, first 2 shown]
	v_lshlrev_b32_e32 v11, 2, v11
	s_waitcnt lgkmcnt(3)
	v_add_f32_e32 v8, v15, v8
	s_waitcnt lgkmcnt(2)
	v_add_f32_e32 v9, v12, v9
	s_waitcnt lgkmcnt(1)
	v_add_f32_e32 v10, v16, v10
	s_waitcnt lgkmcnt(0)
	v_add_f32_e32 v7, v13, v7
	v_xor_b32_e32 v15, 2, v6
	ds_bpermute_b32 v12, v11, v8
	ds_bpermute_b32 v13, v11, v9
	;; [unrolled: 1-line block ×4, first 2 shown]
	v_cmp_gt_i32_e32 vcc_lo, 32, v15
	v_cndmask_b32_e32 v15, v6, v15, vcc_lo
	v_lshlrev_b32_e32 v15, 2, v15
	s_waitcnt lgkmcnt(3)
	v_add_f32_e32 v8, v8, v12
	s_waitcnt lgkmcnt(2)
	v_add_f32_e32 v9, v9, v13
	;; [unrolled: 2-line block ×4, first 2 shown]
	ds_bpermute_b32 v11, v15, v8
	ds_bpermute_b32 v12, v15, v9
	;; [unrolled: 1-line block ×4, first 2 shown]
	v_xor_b32_e32 v15, 1, v6
	v_cmp_gt_i32_e32 vcc_lo, 32, v15
	v_cndmask_b32_e32 v6, v6, v15, vcc_lo
	v_cmp_eq_u32_e32 vcc_lo, 15, v0
	v_lshlrev_b32_e32 v15, 2, v6
	s_waitcnt lgkmcnt(3)
	v_add_f32_e32 v8, v8, v11
	s_waitcnt lgkmcnt(2)
	v_add_f32_e32 v9, v9, v12
	;; [unrolled: 2-line block ×4, first 2 shown]
	ds_bpermute_b32 v12, v15, v8
	ds_bpermute_b32 v13, v15, v9
	;; [unrolled: 1-line block ×4, first 2 shown]
	s_and_b32 exec_lo, exec_lo, vcc_lo
	s_cbranch_execz .LBB159_21
; %bb.17:
	s_load_dwordx2 s[2:3], s[4:5], 0x38
	v_cmp_eq_f32_e32 vcc_lo, 0, v3
	v_cmp_eq_f32_e64 s0, 0, v4
	s_waitcnt lgkmcnt(0)
	v_add_f32_e32 v0, v8, v12
	v_add_f32_e32 v8, v9, v13
	;; [unrolled: 1-line block ×4, first 2 shown]
	s_and_b32 s0, vcc_lo, s0
	s_and_saveexec_b32 s1, s0
	s_xor_b32 s0, exec_lo, s1
	s_cbranch_execz .LBB159_19
; %bb.18:
	v_lshlrev_b32_e32 v3, 1, v5
	v_mul_f32_e64 v9, v8, -v2
	v_mul_f32_e32 v10, v1, v8
	v_mul_f32_e64 v11, v7, -v2
	v_mul_f32_e32 v12, v1, v7
	v_ashrrev_i32_e32 v4, 31, v3
	v_fmac_f32_e32 v9, v1, v0
	v_fmac_f32_e32 v10, v2, v0
	;; [unrolled: 1-line block ×4, first 2 shown]
	v_lshlrev_b64 v[3:4], 3, v[3:4]
                                        ; implicit-def: $vgpr5
                                        ; implicit-def: $vgpr8
                                        ; implicit-def: $vgpr7
                                        ; implicit-def: $vgpr6
	v_add_co_u32 v0, vcc_lo, s2, v3
	v_add_co_ci_u32_e64 v1, null, s3, v4, vcc_lo
                                        ; implicit-def: $vgpr3_vgpr4
	global_store_dwordx4 v[0:1], v[9:12], off
                                        ; implicit-def: $vgpr1_vgpr2
                                        ; implicit-def: $vgpr0
.LBB159_19:
	s_andn2_saveexec_b32 s0, s0
	s_cbranch_execz .LBB159_21
; %bb.20:
	v_lshlrev_b32_e32 v9, 1, v5
	v_mul_f32_e64 v5, v8, -v2
	v_mul_f32_e32 v14, v1, v8
	v_mul_f32_e64 v8, v7, -v2
	v_mul_f32_e32 v16, v1, v7
	v_ashrrev_i32_e32 v10, 31, v9
	v_fmac_f32_e32 v5, v1, v0
	v_fmac_f32_e32 v14, v2, v0
	;; [unrolled: 1-line block ×4, first 2 shown]
	v_lshlrev_b64 v[9:10], 3, v[9:10]
	v_add_co_u32 v17, vcc_lo, s2, v9
	v_add_co_ci_u32_e64 v18, null, s3, v10, vcc_lo
	global_load_dwordx4 v[9:12], v[17:18], off
	s_waitcnt vmcnt(0)
	v_fmac_f32_e32 v5, v3, v9
	v_fmac_f32_e32 v14, v4, v9
	;; [unrolled: 1-line block ×4, first 2 shown]
	v_fma_f32 v13, -v4, v10, v5
	v_fmac_f32_e32 v14, v3, v10
	v_fma_f32 v15, -v4, v12, v8
	v_fmac_f32_e32 v16, v3, v12
	global_store_dwordx4 v[17:18], v[13:16], off
.LBB159_21:
	s_endpgm
	.section	.rodata,"a",@progbits
	.p2align	6, 0x0
	.amdhsa_kernel _ZN9rocsparseL19gebsrmvn_2xn_kernelILj128ELj3ELj16E21rocsparse_complex_numIfEEEvi20rocsparse_direction_NS_24const_host_device_scalarIT2_EEPKiS8_PKS5_SA_S6_PS5_21rocsparse_index_base_b
		.amdhsa_group_segment_fixed_size 0
		.amdhsa_private_segment_fixed_size 0
		.amdhsa_kernarg_size 72
		.amdhsa_user_sgpr_count 6
		.amdhsa_user_sgpr_private_segment_buffer 1
		.amdhsa_user_sgpr_dispatch_ptr 0
		.amdhsa_user_sgpr_queue_ptr 0
		.amdhsa_user_sgpr_kernarg_segment_ptr 1
		.amdhsa_user_sgpr_dispatch_id 0
		.amdhsa_user_sgpr_flat_scratch_init 0
		.amdhsa_user_sgpr_private_segment_size 0
		.amdhsa_wavefront_size32 1
		.amdhsa_uses_dynamic_stack 0
		.amdhsa_system_sgpr_private_segment_wavefront_offset 0
		.amdhsa_system_sgpr_workgroup_id_x 1
		.amdhsa_system_sgpr_workgroup_id_y 0
		.amdhsa_system_sgpr_workgroup_id_z 0
		.amdhsa_system_sgpr_workgroup_info 0
		.amdhsa_system_vgpr_workitem_id 0
		.amdhsa_next_free_vgpr 35
		.amdhsa_next_free_sgpr 16
		.amdhsa_reserve_vcc 1
		.amdhsa_reserve_flat_scratch 0
		.amdhsa_float_round_mode_32 0
		.amdhsa_float_round_mode_16_64 0
		.amdhsa_float_denorm_mode_32 3
		.amdhsa_float_denorm_mode_16_64 3
		.amdhsa_dx10_clamp 1
		.amdhsa_ieee_mode 1
		.amdhsa_fp16_overflow 0
		.amdhsa_workgroup_processor_mode 1
		.amdhsa_memory_ordered 1
		.amdhsa_forward_progress 1
		.amdhsa_shared_vgpr_count 0
		.amdhsa_exception_fp_ieee_invalid_op 0
		.amdhsa_exception_fp_denorm_src 0
		.amdhsa_exception_fp_ieee_div_zero 0
		.amdhsa_exception_fp_ieee_overflow 0
		.amdhsa_exception_fp_ieee_underflow 0
		.amdhsa_exception_fp_ieee_inexact 0
		.amdhsa_exception_int_div_zero 0
	.end_amdhsa_kernel
	.section	.text._ZN9rocsparseL19gebsrmvn_2xn_kernelILj128ELj3ELj16E21rocsparse_complex_numIfEEEvi20rocsparse_direction_NS_24const_host_device_scalarIT2_EEPKiS8_PKS5_SA_S6_PS5_21rocsparse_index_base_b,"axG",@progbits,_ZN9rocsparseL19gebsrmvn_2xn_kernelILj128ELj3ELj16E21rocsparse_complex_numIfEEEvi20rocsparse_direction_NS_24const_host_device_scalarIT2_EEPKiS8_PKS5_SA_S6_PS5_21rocsparse_index_base_b,comdat
.Lfunc_end159:
	.size	_ZN9rocsparseL19gebsrmvn_2xn_kernelILj128ELj3ELj16E21rocsparse_complex_numIfEEEvi20rocsparse_direction_NS_24const_host_device_scalarIT2_EEPKiS8_PKS5_SA_S6_PS5_21rocsparse_index_base_b, .Lfunc_end159-_ZN9rocsparseL19gebsrmvn_2xn_kernelILj128ELj3ELj16E21rocsparse_complex_numIfEEEvi20rocsparse_direction_NS_24const_host_device_scalarIT2_EEPKiS8_PKS5_SA_S6_PS5_21rocsparse_index_base_b
                                        ; -- End function
	.set _ZN9rocsparseL19gebsrmvn_2xn_kernelILj128ELj3ELj16E21rocsparse_complex_numIfEEEvi20rocsparse_direction_NS_24const_host_device_scalarIT2_EEPKiS8_PKS5_SA_S6_PS5_21rocsparse_index_base_b.num_vgpr, 35
	.set _ZN9rocsparseL19gebsrmvn_2xn_kernelILj128ELj3ELj16E21rocsparse_complex_numIfEEEvi20rocsparse_direction_NS_24const_host_device_scalarIT2_EEPKiS8_PKS5_SA_S6_PS5_21rocsparse_index_base_b.num_agpr, 0
	.set _ZN9rocsparseL19gebsrmvn_2xn_kernelILj128ELj3ELj16E21rocsparse_complex_numIfEEEvi20rocsparse_direction_NS_24const_host_device_scalarIT2_EEPKiS8_PKS5_SA_S6_PS5_21rocsparse_index_base_b.numbered_sgpr, 16
	.set _ZN9rocsparseL19gebsrmvn_2xn_kernelILj128ELj3ELj16E21rocsparse_complex_numIfEEEvi20rocsparse_direction_NS_24const_host_device_scalarIT2_EEPKiS8_PKS5_SA_S6_PS5_21rocsparse_index_base_b.num_named_barrier, 0
	.set _ZN9rocsparseL19gebsrmvn_2xn_kernelILj128ELj3ELj16E21rocsparse_complex_numIfEEEvi20rocsparse_direction_NS_24const_host_device_scalarIT2_EEPKiS8_PKS5_SA_S6_PS5_21rocsparse_index_base_b.private_seg_size, 0
	.set _ZN9rocsparseL19gebsrmvn_2xn_kernelILj128ELj3ELj16E21rocsparse_complex_numIfEEEvi20rocsparse_direction_NS_24const_host_device_scalarIT2_EEPKiS8_PKS5_SA_S6_PS5_21rocsparse_index_base_b.uses_vcc, 1
	.set _ZN9rocsparseL19gebsrmvn_2xn_kernelILj128ELj3ELj16E21rocsparse_complex_numIfEEEvi20rocsparse_direction_NS_24const_host_device_scalarIT2_EEPKiS8_PKS5_SA_S6_PS5_21rocsparse_index_base_b.uses_flat_scratch, 0
	.set _ZN9rocsparseL19gebsrmvn_2xn_kernelILj128ELj3ELj16E21rocsparse_complex_numIfEEEvi20rocsparse_direction_NS_24const_host_device_scalarIT2_EEPKiS8_PKS5_SA_S6_PS5_21rocsparse_index_base_b.has_dyn_sized_stack, 0
	.set _ZN9rocsparseL19gebsrmvn_2xn_kernelILj128ELj3ELj16E21rocsparse_complex_numIfEEEvi20rocsparse_direction_NS_24const_host_device_scalarIT2_EEPKiS8_PKS5_SA_S6_PS5_21rocsparse_index_base_b.has_recursion, 0
	.set _ZN9rocsparseL19gebsrmvn_2xn_kernelILj128ELj3ELj16E21rocsparse_complex_numIfEEEvi20rocsparse_direction_NS_24const_host_device_scalarIT2_EEPKiS8_PKS5_SA_S6_PS5_21rocsparse_index_base_b.has_indirect_call, 0
	.section	.AMDGPU.csdata,"",@progbits
; Kernel info:
; codeLenInByte = 1968
; TotalNumSgprs: 18
; NumVgprs: 35
; ScratchSize: 0
; MemoryBound: 0
; FloatMode: 240
; IeeeMode: 1
; LDSByteSize: 0 bytes/workgroup (compile time only)
; SGPRBlocks: 0
; VGPRBlocks: 4
; NumSGPRsForWavesPerEU: 18
; NumVGPRsForWavesPerEU: 35
; Occupancy: 16
; WaveLimiterHint : 1
; COMPUTE_PGM_RSRC2:SCRATCH_EN: 0
; COMPUTE_PGM_RSRC2:USER_SGPR: 6
; COMPUTE_PGM_RSRC2:TRAP_HANDLER: 0
; COMPUTE_PGM_RSRC2:TGID_X_EN: 1
; COMPUTE_PGM_RSRC2:TGID_Y_EN: 0
; COMPUTE_PGM_RSRC2:TGID_Z_EN: 0
; COMPUTE_PGM_RSRC2:TIDIG_COMP_CNT: 0
	.section	.text._ZN9rocsparseL19gebsrmvn_2xn_kernelILj128ELj3ELj32E21rocsparse_complex_numIfEEEvi20rocsparse_direction_NS_24const_host_device_scalarIT2_EEPKiS8_PKS5_SA_S6_PS5_21rocsparse_index_base_b,"axG",@progbits,_ZN9rocsparseL19gebsrmvn_2xn_kernelILj128ELj3ELj32E21rocsparse_complex_numIfEEEvi20rocsparse_direction_NS_24const_host_device_scalarIT2_EEPKiS8_PKS5_SA_S6_PS5_21rocsparse_index_base_b,comdat
	.globl	_ZN9rocsparseL19gebsrmvn_2xn_kernelILj128ELj3ELj32E21rocsparse_complex_numIfEEEvi20rocsparse_direction_NS_24const_host_device_scalarIT2_EEPKiS8_PKS5_SA_S6_PS5_21rocsparse_index_base_b ; -- Begin function _ZN9rocsparseL19gebsrmvn_2xn_kernelILj128ELj3ELj32E21rocsparse_complex_numIfEEEvi20rocsparse_direction_NS_24const_host_device_scalarIT2_EEPKiS8_PKS5_SA_S6_PS5_21rocsparse_index_base_b
	.p2align	8
	.type	_ZN9rocsparseL19gebsrmvn_2xn_kernelILj128ELj3ELj32E21rocsparse_complex_numIfEEEvi20rocsparse_direction_NS_24const_host_device_scalarIT2_EEPKiS8_PKS5_SA_S6_PS5_21rocsparse_index_base_b,@function
_ZN9rocsparseL19gebsrmvn_2xn_kernelILj128ELj3ELj32E21rocsparse_complex_numIfEEEvi20rocsparse_direction_NS_24const_host_device_scalarIT2_EEPKiS8_PKS5_SA_S6_PS5_21rocsparse_index_base_b: ; @_ZN9rocsparseL19gebsrmvn_2xn_kernelILj128ELj3ELj32E21rocsparse_complex_numIfEEEvi20rocsparse_direction_NS_24const_host_device_scalarIT2_EEPKiS8_PKS5_SA_S6_PS5_21rocsparse_index_base_b
; %bb.0:
	s_clause 0x2
	s_load_dwordx2 s[2:3], s[4:5], 0x40
	s_load_dwordx2 s[0:1], s[4:5], 0x8
	;; [unrolled: 1-line block ×3, first 2 shown]
	s_add_u32 s7, s4, 8
	s_addc_u32 s10, s5, 0
	s_add_u32 s11, s4, 48
	s_addc_u32 s12, s5, 0
	s_waitcnt lgkmcnt(0)
	s_bitcmp1_b32 s3, 0
	s_cselect_b32 s0, s7, s0
	s_cselect_b32 s1, s10, s1
	v_mov_b32_e32 v1, s0
	v_mov_b32_e32 v2, s1
	s_cselect_b32 s0, s11, s8
	s_cselect_b32 s1, s12, s9
	v_mov_b32_e32 v3, s0
	v_mov_b32_e32 v4, s1
	flat_load_dwordx2 v[1:2], v[1:2]
	flat_load_dwordx2 v[3:4], v[3:4]
	s_waitcnt vmcnt(1) lgkmcnt(1)
	v_cmp_eq_f32_e32 vcc_lo, 0, v1
	v_cmp_eq_f32_e64 s0, 0, v2
	s_and_b32 s3, vcc_lo, s0
	s_mov_b32 s0, -1
	s_and_saveexec_b32 s1, s3
	s_cbranch_execz .LBB160_2
; %bb.1:
	s_waitcnt vmcnt(0) lgkmcnt(0)
	v_cmp_neq_f32_e32 vcc_lo, 1.0, v3
	v_cmp_neq_f32_e64 s0, 0, v4
	s_or_b32 s0, vcc_lo, s0
	s_orn2_b32 s0, s0, exec_lo
.LBB160_2:
	s_or_b32 exec_lo, exec_lo, s1
	s_and_saveexec_b32 s1, s0
	s_cbranch_execz .LBB160_21
; %bb.3:
	s_load_dwordx2 s[0:1], s[4:5], 0x0
	v_lshrrev_b32_e32 v5, 5, v0
	v_lshl_or_b32 v5, s6, 2, v5
	s_waitcnt lgkmcnt(0)
	v_cmp_gt_i32_e32 vcc_lo, s0, v5
	s_and_b32 exec_lo, exec_lo, vcc_lo
	s_cbranch_execz .LBB160_21
; %bb.4:
	s_load_dwordx8 s[8:15], s[4:5], 0x10
	v_ashrrev_i32_e32 v6, 31, v5
	v_and_b32_e32 v0, 31, v0
	s_cmp_lg_u32 s1, 0
	v_lshlrev_b64 v[6:7], 2, v[5:6]
	s_waitcnt lgkmcnt(0)
	v_add_co_u32 v6, vcc_lo, s8, v6
	v_add_co_ci_u32_e64 v7, null, s9, v7, vcc_lo
	global_load_dwordx2 v[6:7], v[6:7], off
	s_waitcnt vmcnt(0)
	v_subrev_nc_u32_e32 v6, s2, v6
	v_subrev_nc_u32_e32 v14, s2, v7
	v_add_nc_u32_e32 v6, v6, v0
	v_cmp_lt_i32_e64 s0, v6, v14
	s_cbranch_scc0 .LBB160_10
; %bb.5:
	v_mov_b32_e32 v12, 0
	v_mov_b32_e32 v15, 0
	;; [unrolled: 1-line block ×4, first 2 shown]
	s_and_saveexec_b32 s1, s0
	s_cbranch_execz .LBB160_9
; %bb.6:
	v_mov_b32_e32 v8, 0
	v_mul_lo_u32 v7, v6, 6
	v_mov_b32_e32 v9, v6
	s_mov_b32 s3, 0
	v_mov_b32_e32 v12, v8
	v_mov_b32_e32 v15, v8
	;; [unrolled: 1-line block ×4, first 2 shown]
.LBB160_7:                              ; =>This Inner Loop Header: Depth=1
	v_ashrrev_i32_e32 v10, 31, v9
	v_add_nc_u32_e32 v17, 2, v7
	v_mov_b32_e32 v18, v8
	v_add_nc_u32_e32 v19, 4, v7
	v_mov_b32_e32 v20, v8
	v_lshlrev_b64 v[10:11], 2, v[9:10]
	v_mov_b32_e32 v26, v8
	v_lshlrev_b64 v[21:22], 3, v[17:18]
	;; [unrolled: 2-line block ×3, first 2 shown]
	v_mov_b32_e32 v30, v8
	v_add_co_u32 v10, vcc_lo, s10, v10
	v_add_co_ci_u32_e64 v11, null, s11, v11, vcc_lo
	v_add_nc_u32_e32 v9, 32, v9
	global_load_dword v25, v[10:11], off
	v_lshlrev_b64 v[10:11], 3, v[7:8]
	v_add_nc_u32_e32 v7, 0xc0, v7
	v_add_co_u32 v10, vcc_lo, s12, v10
	v_add_co_ci_u32_e64 v11, null, s13, v11, vcc_lo
	global_load_dwordx4 v[17:20], v[10:11], off
	v_add_co_u32 v10, vcc_lo, s12, v21
	v_add_co_ci_u32_e64 v11, null, s13, v22, vcc_lo
	v_add_co_u32 v31, vcc_lo, s12, v23
	v_add_co_ci_u32_e64 v32, null, s13, v24, vcc_lo
	global_load_dwordx4 v[21:24], v[10:11], off
	s_waitcnt vmcnt(2)
	v_subrev_nc_u32_e32 v10, s2, v25
	v_lshl_add_u32 v25, v10, 1, v10
	v_lshlrev_b64 v[10:11], 3, v[25:26]
	v_add_nc_u32_e32 v27, 1, v25
	v_add_nc_u32_e32 v29, 2, v25
	v_lshlrev_b64 v[25:26], 3, v[27:28]
	v_add_co_u32 v10, vcc_lo, s14, v10
	v_add_co_ci_u32_e64 v11, null, s15, v11, vcc_lo
	v_lshlrev_b64 v[27:28], 3, v[29:30]
	v_add_co_u32 v25, vcc_lo, s14, v25
	global_load_dwordx2 v[10:11], v[10:11], off
	v_add_co_ci_u32_e64 v26, null, s15, v26, vcc_lo
	v_add_co_u32 v29, vcc_lo, s14, v27
	v_add_co_ci_u32_e64 v30, null, s15, v28, vcc_lo
	global_load_dwordx2 v[33:34], v[25:26], off
	global_load_dwordx4 v[25:28], v[31:32], off
	global_load_dwordx2 v[29:30], v[29:30], off
	v_cmp_ge_i32_e32 vcc_lo, v9, v14
	s_or_b32 s3, vcc_lo, s3
	s_waitcnt vmcnt(3)
	v_fmac_f32_e32 v15, v17, v10
	v_fmac_f32_e32 v12, v18, v10
	v_fmac_f32_e32 v16, v19, v10
	v_fmac_f32_e32 v13, v20, v10
	v_fma_f32 v10, -v18, v11, v15
	v_fmac_f32_e32 v12, v17, v11
	v_fma_f32 v15, -v20, v11, v16
	v_fmac_f32_e32 v13, v19, v11
	s_waitcnt vmcnt(2)
	v_fmac_f32_e32 v10, v21, v33
	v_fmac_f32_e32 v12, v22, v33
	v_fmac_f32_e32 v15, v23, v33
	v_fmac_f32_e32 v13, v24, v33
	v_fma_f32 v10, -v22, v34, v10
	v_fmac_f32_e32 v12, v21, v34
	v_fma_f32 v11, -v24, v34, v15
	v_fmac_f32_e32 v13, v23, v34
	;; [unrolled: 9-line block ×3, first 2 shown]
	s_andn2_b32 exec_lo, exec_lo, s3
	s_cbranch_execnz .LBB160_7
; %bb.8:
	s_or_b32 exec_lo, exec_lo, s3
.LBB160_9:
	s_or_b32 exec_lo, exec_lo, s1
	s_cbranch_execz .LBB160_11
	s_branch .LBB160_16
.LBB160_10:
                                        ; implicit-def: $vgpr12
                                        ; implicit-def: $vgpr15
                                        ; implicit-def: $vgpr16
                                        ; implicit-def: $vgpr13
.LBB160_11:
	v_mov_b32_e32 v12, 0
	v_mov_b32_e32 v15, 0
	;; [unrolled: 1-line block ×4, first 2 shown]
	s_and_saveexec_b32 s1, s0
	s_cbranch_execz .LBB160_15
; %bb.12:
	v_mad_u64_u32 v[8:9], null, v6, 6, 5
	v_mov_b32_e32 v11, 0
	v_mov_b32_e32 v12, 0
	;; [unrolled: 1-line block ×5, first 2 shown]
	s_mov_b32 s0, 0
.LBB160_13:                             ; =>This Inner Loop Header: Depth=1
	v_ashrrev_i32_e32 v7, 31, v6
	v_add_nc_u32_e32 v17, -2, v8
	v_mov_b32_e32 v18, v11
	v_mov_b32_e32 v22, v11
	v_lshlrev_b64 v[9:10], 2, v[6:7]
	v_add_nc_u32_e32 v6, 32, v6
	v_lshlrev_b64 v[17:18], 3, v[17:18]
	v_add_co_u32 v9, vcc_lo, s10, v9
	v_add_co_ci_u32_e64 v10, null, s11, v10, vcc_lo
	global_load_dword v7, v[9:10], off
	v_add_nc_u32_e32 v10, -5, v8
	v_mov_b32_e32 v9, v11
	v_lshlrev_b64 v[19:20], 3, v[10:11]
	v_lshlrev_b64 v[9:10], 3, v[8:9]
	v_add_co_u32 v19, vcc_lo, s12, v19
	v_add_co_ci_u32_e64 v20, null, s13, v20, vcc_lo
	v_add_co_u32 v23, vcc_lo, s12, v17
	v_add_co_ci_u32_e64 v24, null, s13, v18, vcc_lo
	;; [unrolled: 2-line block ×3, first 2 shown]
	s_clause 0x2
	global_load_dwordx4 v[17:20], v[19:20], off
	global_load_dwordx2 v[23:24], v[23:24], off
	global_load_dwordx2 v[25:26], v[9:10], off
	s_waitcnt vmcnt(3)
	v_subrev_nc_u32_e32 v7, s2, v7
	v_lshl_add_u32 v21, v7, 1, v7
	v_add_nc_u32_e32 v10, 1, v21
	v_lshlrev_b64 v[27:28], 3, v[21:22]
	v_lshlrev_b64 v[29:30], 3, v[10:11]
	v_add_nc_u32_e32 v10, -1, v8
	v_add_co_u32 v27, vcc_lo, s14, v27
	v_add_co_ci_u32_e64 v28, null, s15, v28, vcc_lo
	v_lshlrev_b64 v[31:32], 3, v[10:11]
	v_add_nc_u32_e32 v10, -3, v8
	v_add_co_u32 v29, vcc_lo, s14, v29
	global_load_dwordx2 v[27:28], v[27:28], off
	v_add_co_ci_u32_e64 v30, null, s15, v30, vcc_lo
	v_lshlrev_b64 v[33:34], 3, v[10:11]
	v_add_nc_u32_e32 v10, 2, v21
	v_add_co_u32 v21, vcc_lo, s12, v31
	v_add_co_ci_u32_e64 v22, null, s13, v32, vcc_lo
	v_lshlrev_b64 v[9:10], 3, v[10:11]
	global_load_dwordx2 v[29:30], v[29:30], off
	v_add_co_u32 v31, vcc_lo, s12, v33
	global_load_dwordx2 v[21:22], v[21:22], off
	v_add_co_ci_u32_e64 v32, null, s13, v34, vcc_lo
	v_add_co_u32 v9, vcc_lo, s14, v9
	v_add_co_ci_u32_e64 v10, null, s15, v10, vcc_lo
	global_load_dwordx2 v[31:32], v[31:32], off
	global_load_dwordx2 v[9:10], v[9:10], off
	v_cmp_ge_i32_e32 vcc_lo, v6, v14
	v_add_nc_u32_e32 v8, 0xc0, v8
	s_or_b32 s0, vcc_lo, s0
	s_waitcnt vmcnt(4)
	v_fmac_f32_e32 v15, v17, v27
	v_fmac_f32_e32 v12, v18, v27
	;; [unrolled: 1-line block ×4, first 2 shown]
	v_fma_f32 v7, -v18, v28, v15
	v_fmac_f32_e32 v12, v17, v28
	v_fma_f32 v15, -v24, v28, v16
	v_fmac_f32_e32 v13, v23, v28
	s_waitcnt vmcnt(3)
	v_fmac_f32_e32 v7, v19, v29
	v_fmac_f32_e32 v12, v20, v29
	s_waitcnt vmcnt(2)
	v_fmac_f32_e32 v15, v21, v29
	v_fmac_f32_e32 v13, v22, v29
	v_fma_f32 v7, -v20, v30, v7
	v_fmac_f32_e32 v12, v19, v30
	v_fma_f32 v16, -v22, v30, v15
	v_fmac_f32_e32 v13, v21, v30
	s_waitcnt vmcnt(0)
	v_fmac_f32_e32 v7, v31, v9
	v_fmac_f32_e32 v12, v32, v9
	;; [unrolled: 1-line block ×4, first 2 shown]
	v_fma_f32 v15, -v32, v10, v7
	v_fmac_f32_e32 v12, v31, v10
	v_fma_f32 v16, -v26, v10, v16
	v_fmac_f32_e32 v13, v25, v10
	s_andn2_b32 exec_lo, exec_lo, s0
	s_cbranch_execnz .LBB160_13
; %bb.14:
	s_or_b32 exec_lo, exec_lo, s0
.LBB160_15:
	s_or_b32 exec_lo, exec_lo, s1
.LBB160_16:
	v_mbcnt_lo_u32_b32 v6, -1, 0
	v_xor_b32_e32 v7, 16, v6
	v_xor_b32_e32 v11, 8, v6
	v_cmp_gt_i32_e32 vcc_lo, 32, v7
	v_cndmask_b32_e32 v7, v6, v7, vcc_lo
	v_cmp_gt_i32_e32 vcc_lo, 32, v11
	v_lshlrev_b32_e32 v7, 2, v7
	v_cndmask_b32_e32 v11, v6, v11, vcc_lo
	ds_bpermute_b32 v8, v7, v15
	ds_bpermute_b32 v9, v7, v12
	;; [unrolled: 1-line block ×4, first 2 shown]
	v_lshlrev_b32_e32 v11, 2, v11
	s_waitcnt lgkmcnt(3)
	v_add_f32_e32 v8, v15, v8
	s_waitcnt lgkmcnt(2)
	v_add_f32_e32 v9, v12, v9
	;; [unrolled: 2-line block ×4, first 2 shown]
	v_xor_b32_e32 v15, 4, v6
	ds_bpermute_b32 v12, v11, v8
	ds_bpermute_b32 v13, v11, v9
	;; [unrolled: 1-line block ×4, first 2 shown]
	v_cmp_gt_i32_e32 vcc_lo, 32, v15
	v_cndmask_b32_e32 v15, v6, v15, vcc_lo
	v_lshlrev_b32_e32 v15, 2, v15
	s_waitcnt lgkmcnt(3)
	v_add_f32_e32 v8, v8, v12
	s_waitcnt lgkmcnt(2)
	v_add_f32_e32 v9, v9, v13
	s_waitcnt lgkmcnt(1)
	v_add_f32_e32 v10, v10, v14
	s_waitcnt lgkmcnt(0)
	v_add_f32_e32 v7, v7, v11
	ds_bpermute_b32 v11, v15, v8
	ds_bpermute_b32 v12, v15, v9
	;; [unrolled: 1-line block ×4, first 2 shown]
	v_xor_b32_e32 v15, 2, v6
	v_cmp_gt_i32_e32 vcc_lo, 32, v15
	v_cndmask_b32_e32 v15, v6, v15, vcc_lo
	v_lshlrev_b32_e32 v15, 2, v15
	s_waitcnt lgkmcnt(3)
	v_add_f32_e32 v8, v8, v11
	s_waitcnt lgkmcnt(2)
	v_add_f32_e32 v9, v9, v12
	;; [unrolled: 2-line block ×4, first 2 shown]
	ds_bpermute_b32 v11, v15, v8
	ds_bpermute_b32 v12, v15, v9
	;; [unrolled: 1-line block ×4, first 2 shown]
	v_xor_b32_e32 v15, 1, v6
	v_cmp_gt_i32_e32 vcc_lo, 32, v15
	v_cndmask_b32_e32 v6, v6, v15, vcc_lo
	v_cmp_eq_u32_e32 vcc_lo, 31, v0
	v_lshlrev_b32_e32 v15, 2, v6
	s_waitcnt lgkmcnt(3)
	v_add_f32_e32 v8, v8, v11
	s_waitcnt lgkmcnt(2)
	v_add_f32_e32 v9, v9, v12
	;; [unrolled: 2-line block ×4, first 2 shown]
	ds_bpermute_b32 v12, v15, v8
	ds_bpermute_b32 v13, v15, v9
	;; [unrolled: 1-line block ×4, first 2 shown]
	s_and_b32 exec_lo, exec_lo, vcc_lo
	s_cbranch_execz .LBB160_21
; %bb.17:
	s_load_dwordx2 s[2:3], s[4:5], 0x38
	v_cmp_eq_f32_e32 vcc_lo, 0, v3
	v_cmp_eq_f32_e64 s0, 0, v4
	s_waitcnt lgkmcnt(0)
	v_add_f32_e32 v0, v8, v12
	v_add_f32_e32 v8, v9, v13
	;; [unrolled: 1-line block ×4, first 2 shown]
	s_and_b32 s0, vcc_lo, s0
	s_and_saveexec_b32 s1, s0
	s_xor_b32 s0, exec_lo, s1
	s_cbranch_execz .LBB160_19
; %bb.18:
	v_lshlrev_b32_e32 v3, 1, v5
	v_mul_f32_e64 v9, v8, -v2
	v_mul_f32_e32 v10, v1, v8
	v_mul_f32_e64 v11, v7, -v2
	v_mul_f32_e32 v12, v1, v7
	v_ashrrev_i32_e32 v4, 31, v3
	v_fmac_f32_e32 v9, v1, v0
	v_fmac_f32_e32 v10, v2, v0
	;; [unrolled: 1-line block ×4, first 2 shown]
	v_lshlrev_b64 v[3:4], 3, v[3:4]
                                        ; implicit-def: $vgpr5
                                        ; implicit-def: $vgpr8
                                        ; implicit-def: $vgpr7
                                        ; implicit-def: $vgpr6
	v_add_co_u32 v0, vcc_lo, s2, v3
	v_add_co_ci_u32_e64 v1, null, s3, v4, vcc_lo
                                        ; implicit-def: $vgpr3_vgpr4
	global_store_dwordx4 v[0:1], v[9:12], off
                                        ; implicit-def: $vgpr1_vgpr2
                                        ; implicit-def: $vgpr0
.LBB160_19:
	s_andn2_saveexec_b32 s0, s0
	s_cbranch_execz .LBB160_21
; %bb.20:
	v_lshlrev_b32_e32 v9, 1, v5
	v_mul_f32_e64 v5, v8, -v2
	v_mul_f32_e32 v14, v1, v8
	v_mul_f32_e64 v8, v7, -v2
	v_mul_f32_e32 v16, v1, v7
	v_ashrrev_i32_e32 v10, 31, v9
	v_fmac_f32_e32 v5, v1, v0
	v_fmac_f32_e32 v14, v2, v0
	;; [unrolled: 1-line block ×4, first 2 shown]
	v_lshlrev_b64 v[9:10], 3, v[9:10]
	v_add_co_u32 v17, vcc_lo, s2, v9
	v_add_co_ci_u32_e64 v18, null, s3, v10, vcc_lo
	global_load_dwordx4 v[9:12], v[17:18], off
	s_waitcnt vmcnt(0)
	v_fmac_f32_e32 v5, v3, v9
	v_fmac_f32_e32 v14, v4, v9
	;; [unrolled: 1-line block ×4, first 2 shown]
	v_fma_f32 v13, -v4, v10, v5
	v_fmac_f32_e32 v14, v3, v10
	v_fma_f32 v15, -v4, v12, v8
	v_fmac_f32_e32 v16, v3, v12
	global_store_dwordx4 v[17:18], v[13:16], off
.LBB160_21:
	s_endpgm
	.section	.rodata,"a",@progbits
	.p2align	6, 0x0
	.amdhsa_kernel _ZN9rocsparseL19gebsrmvn_2xn_kernelILj128ELj3ELj32E21rocsparse_complex_numIfEEEvi20rocsparse_direction_NS_24const_host_device_scalarIT2_EEPKiS8_PKS5_SA_S6_PS5_21rocsparse_index_base_b
		.amdhsa_group_segment_fixed_size 0
		.amdhsa_private_segment_fixed_size 0
		.amdhsa_kernarg_size 72
		.amdhsa_user_sgpr_count 6
		.amdhsa_user_sgpr_private_segment_buffer 1
		.amdhsa_user_sgpr_dispatch_ptr 0
		.amdhsa_user_sgpr_queue_ptr 0
		.amdhsa_user_sgpr_kernarg_segment_ptr 1
		.amdhsa_user_sgpr_dispatch_id 0
		.amdhsa_user_sgpr_flat_scratch_init 0
		.amdhsa_user_sgpr_private_segment_size 0
		.amdhsa_wavefront_size32 1
		.amdhsa_uses_dynamic_stack 0
		.amdhsa_system_sgpr_private_segment_wavefront_offset 0
		.amdhsa_system_sgpr_workgroup_id_x 1
		.amdhsa_system_sgpr_workgroup_id_y 0
		.amdhsa_system_sgpr_workgroup_id_z 0
		.amdhsa_system_sgpr_workgroup_info 0
		.amdhsa_system_vgpr_workitem_id 0
		.amdhsa_next_free_vgpr 35
		.amdhsa_next_free_sgpr 16
		.amdhsa_reserve_vcc 1
		.amdhsa_reserve_flat_scratch 0
		.amdhsa_float_round_mode_32 0
		.amdhsa_float_round_mode_16_64 0
		.amdhsa_float_denorm_mode_32 3
		.amdhsa_float_denorm_mode_16_64 3
		.amdhsa_dx10_clamp 1
		.amdhsa_ieee_mode 1
		.amdhsa_fp16_overflow 0
		.amdhsa_workgroup_processor_mode 1
		.amdhsa_memory_ordered 1
		.amdhsa_forward_progress 1
		.amdhsa_shared_vgpr_count 0
		.amdhsa_exception_fp_ieee_invalid_op 0
		.amdhsa_exception_fp_denorm_src 0
		.amdhsa_exception_fp_ieee_div_zero 0
		.amdhsa_exception_fp_ieee_overflow 0
		.amdhsa_exception_fp_ieee_underflow 0
		.amdhsa_exception_fp_ieee_inexact 0
		.amdhsa_exception_int_div_zero 0
	.end_amdhsa_kernel
	.section	.text._ZN9rocsparseL19gebsrmvn_2xn_kernelILj128ELj3ELj32E21rocsparse_complex_numIfEEEvi20rocsparse_direction_NS_24const_host_device_scalarIT2_EEPKiS8_PKS5_SA_S6_PS5_21rocsparse_index_base_b,"axG",@progbits,_ZN9rocsparseL19gebsrmvn_2xn_kernelILj128ELj3ELj32E21rocsparse_complex_numIfEEEvi20rocsparse_direction_NS_24const_host_device_scalarIT2_EEPKiS8_PKS5_SA_S6_PS5_21rocsparse_index_base_b,comdat
.Lfunc_end160:
	.size	_ZN9rocsparseL19gebsrmvn_2xn_kernelILj128ELj3ELj32E21rocsparse_complex_numIfEEEvi20rocsparse_direction_NS_24const_host_device_scalarIT2_EEPKiS8_PKS5_SA_S6_PS5_21rocsparse_index_base_b, .Lfunc_end160-_ZN9rocsparseL19gebsrmvn_2xn_kernelILj128ELj3ELj32E21rocsparse_complex_numIfEEEvi20rocsparse_direction_NS_24const_host_device_scalarIT2_EEPKiS8_PKS5_SA_S6_PS5_21rocsparse_index_base_b
                                        ; -- End function
	.set _ZN9rocsparseL19gebsrmvn_2xn_kernelILj128ELj3ELj32E21rocsparse_complex_numIfEEEvi20rocsparse_direction_NS_24const_host_device_scalarIT2_EEPKiS8_PKS5_SA_S6_PS5_21rocsparse_index_base_b.num_vgpr, 35
	.set _ZN9rocsparseL19gebsrmvn_2xn_kernelILj128ELj3ELj32E21rocsparse_complex_numIfEEEvi20rocsparse_direction_NS_24const_host_device_scalarIT2_EEPKiS8_PKS5_SA_S6_PS5_21rocsparse_index_base_b.num_agpr, 0
	.set _ZN9rocsparseL19gebsrmvn_2xn_kernelILj128ELj3ELj32E21rocsparse_complex_numIfEEEvi20rocsparse_direction_NS_24const_host_device_scalarIT2_EEPKiS8_PKS5_SA_S6_PS5_21rocsparse_index_base_b.numbered_sgpr, 16
	.set _ZN9rocsparseL19gebsrmvn_2xn_kernelILj128ELj3ELj32E21rocsparse_complex_numIfEEEvi20rocsparse_direction_NS_24const_host_device_scalarIT2_EEPKiS8_PKS5_SA_S6_PS5_21rocsparse_index_base_b.num_named_barrier, 0
	.set _ZN9rocsparseL19gebsrmvn_2xn_kernelILj128ELj3ELj32E21rocsparse_complex_numIfEEEvi20rocsparse_direction_NS_24const_host_device_scalarIT2_EEPKiS8_PKS5_SA_S6_PS5_21rocsparse_index_base_b.private_seg_size, 0
	.set _ZN9rocsparseL19gebsrmvn_2xn_kernelILj128ELj3ELj32E21rocsparse_complex_numIfEEEvi20rocsparse_direction_NS_24const_host_device_scalarIT2_EEPKiS8_PKS5_SA_S6_PS5_21rocsparse_index_base_b.uses_vcc, 1
	.set _ZN9rocsparseL19gebsrmvn_2xn_kernelILj128ELj3ELj32E21rocsparse_complex_numIfEEEvi20rocsparse_direction_NS_24const_host_device_scalarIT2_EEPKiS8_PKS5_SA_S6_PS5_21rocsparse_index_base_b.uses_flat_scratch, 0
	.set _ZN9rocsparseL19gebsrmvn_2xn_kernelILj128ELj3ELj32E21rocsparse_complex_numIfEEEvi20rocsparse_direction_NS_24const_host_device_scalarIT2_EEPKiS8_PKS5_SA_S6_PS5_21rocsparse_index_base_b.has_dyn_sized_stack, 0
	.set _ZN9rocsparseL19gebsrmvn_2xn_kernelILj128ELj3ELj32E21rocsparse_complex_numIfEEEvi20rocsparse_direction_NS_24const_host_device_scalarIT2_EEPKiS8_PKS5_SA_S6_PS5_21rocsparse_index_base_b.has_recursion, 0
	.set _ZN9rocsparseL19gebsrmvn_2xn_kernelILj128ELj3ELj32E21rocsparse_complex_numIfEEEvi20rocsparse_direction_NS_24const_host_device_scalarIT2_EEPKiS8_PKS5_SA_S6_PS5_21rocsparse_index_base_b.has_indirect_call, 0
	.section	.AMDGPU.csdata,"",@progbits
; Kernel info:
; codeLenInByte = 2048
; TotalNumSgprs: 18
; NumVgprs: 35
; ScratchSize: 0
; MemoryBound: 0
; FloatMode: 240
; IeeeMode: 1
; LDSByteSize: 0 bytes/workgroup (compile time only)
; SGPRBlocks: 0
; VGPRBlocks: 4
; NumSGPRsForWavesPerEU: 18
; NumVGPRsForWavesPerEU: 35
; Occupancy: 16
; WaveLimiterHint : 1
; COMPUTE_PGM_RSRC2:SCRATCH_EN: 0
; COMPUTE_PGM_RSRC2:USER_SGPR: 6
; COMPUTE_PGM_RSRC2:TRAP_HANDLER: 0
; COMPUTE_PGM_RSRC2:TGID_X_EN: 1
; COMPUTE_PGM_RSRC2:TGID_Y_EN: 0
; COMPUTE_PGM_RSRC2:TGID_Z_EN: 0
; COMPUTE_PGM_RSRC2:TIDIG_COMP_CNT: 0
	.section	.text._ZN9rocsparseL19gebsrmvn_2xn_kernelILj128ELj3ELj64E21rocsparse_complex_numIfEEEvi20rocsparse_direction_NS_24const_host_device_scalarIT2_EEPKiS8_PKS5_SA_S6_PS5_21rocsparse_index_base_b,"axG",@progbits,_ZN9rocsparseL19gebsrmvn_2xn_kernelILj128ELj3ELj64E21rocsparse_complex_numIfEEEvi20rocsparse_direction_NS_24const_host_device_scalarIT2_EEPKiS8_PKS5_SA_S6_PS5_21rocsparse_index_base_b,comdat
	.globl	_ZN9rocsparseL19gebsrmvn_2xn_kernelILj128ELj3ELj64E21rocsparse_complex_numIfEEEvi20rocsparse_direction_NS_24const_host_device_scalarIT2_EEPKiS8_PKS5_SA_S6_PS5_21rocsparse_index_base_b ; -- Begin function _ZN9rocsparseL19gebsrmvn_2xn_kernelILj128ELj3ELj64E21rocsparse_complex_numIfEEEvi20rocsparse_direction_NS_24const_host_device_scalarIT2_EEPKiS8_PKS5_SA_S6_PS5_21rocsparse_index_base_b
	.p2align	8
	.type	_ZN9rocsparseL19gebsrmvn_2xn_kernelILj128ELj3ELj64E21rocsparse_complex_numIfEEEvi20rocsparse_direction_NS_24const_host_device_scalarIT2_EEPKiS8_PKS5_SA_S6_PS5_21rocsparse_index_base_b,@function
_ZN9rocsparseL19gebsrmvn_2xn_kernelILj128ELj3ELj64E21rocsparse_complex_numIfEEEvi20rocsparse_direction_NS_24const_host_device_scalarIT2_EEPKiS8_PKS5_SA_S6_PS5_21rocsparse_index_base_b: ; @_ZN9rocsparseL19gebsrmvn_2xn_kernelILj128ELj3ELj64E21rocsparse_complex_numIfEEEvi20rocsparse_direction_NS_24const_host_device_scalarIT2_EEPKiS8_PKS5_SA_S6_PS5_21rocsparse_index_base_b
; %bb.0:
	s_clause 0x2
	s_load_dwordx2 s[2:3], s[4:5], 0x40
	s_load_dwordx2 s[0:1], s[4:5], 0x8
	;; [unrolled: 1-line block ×3, first 2 shown]
	s_add_u32 s7, s4, 8
	s_addc_u32 s10, s5, 0
	s_add_u32 s11, s4, 48
	s_addc_u32 s12, s5, 0
	s_waitcnt lgkmcnt(0)
	s_bitcmp1_b32 s3, 0
	s_cselect_b32 s0, s7, s0
	s_cselect_b32 s1, s10, s1
	v_mov_b32_e32 v1, s0
	v_mov_b32_e32 v2, s1
	s_cselect_b32 s0, s11, s8
	s_cselect_b32 s1, s12, s9
	v_mov_b32_e32 v3, s0
	v_mov_b32_e32 v4, s1
	flat_load_dwordx2 v[1:2], v[1:2]
	flat_load_dwordx2 v[3:4], v[3:4]
	s_waitcnt vmcnt(1) lgkmcnt(1)
	v_cmp_eq_f32_e32 vcc_lo, 0, v1
	v_cmp_eq_f32_e64 s0, 0, v2
	s_and_b32 s3, vcc_lo, s0
	s_mov_b32 s0, -1
	s_and_saveexec_b32 s1, s3
	s_cbranch_execz .LBB161_2
; %bb.1:
	s_waitcnt vmcnt(0) lgkmcnt(0)
	v_cmp_neq_f32_e32 vcc_lo, 1.0, v3
	v_cmp_neq_f32_e64 s0, 0, v4
	s_or_b32 s0, vcc_lo, s0
	s_orn2_b32 s0, s0, exec_lo
.LBB161_2:
	s_or_b32 exec_lo, exec_lo, s1
	s_and_saveexec_b32 s1, s0
	s_cbranch_execz .LBB161_21
; %bb.3:
	s_load_dwordx2 s[0:1], s[4:5], 0x0
	v_lshrrev_b32_e32 v5, 6, v0
	v_lshl_or_b32 v5, s6, 1, v5
	s_waitcnt lgkmcnt(0)
	v_cmp_gt_i32_e32 vcc_lo, s0, v5
	s_and_b32 exec_lo, exec_lo, vcc_lo
	s_cbranch_execz .LBB161_21
; %bb.4:
	s_load_dwordx8 s[8:15], s[4:5], 0x10
	v_ashrrev_i32_e32 v6, 31, v5
	v_and_b32_e32 v0, 63, v0
	s_cmp_lg_u32 s1, 0
	v_lshlrev_b64 v[6:7], 2, v[5:6]
	s_waitcnt lgkmcnt(0)
	v_add_co_u32 v6, vcc_lo, s8, v6
	v_add_co_ci_u32_e64 v7, null, s9, v7, vcc_lo
	global_load_dwordx2 v[6:7], v[6:7], off
	s_waitcnt vmcnt(0)
	v_subrev_nc_u32_e32 v6, s2, v6
	v_subrev_nc_u32_e32 v14, s2, v7
	v_add_nc_u32_e32 v6, v6, v0
	v_cmp_lt_i32_e64 s0, v6, v14
	s_cbranch_scc0 .LBB161_10
; %bb.5:
	v_mov_b32_e32 v12, 0
	v_mov_b32_e32 v15, 0
	;; [unrolled: 1-line block ×4, first 2 shown]
	s_and_saveexec_b32 s1, s0
	s_cbranch_execz .LBB161_9
; %bb.6:
	v_mov_b32_e32 v8, 0
	v_mul_lo_u32 v7, v6, 6
	v_mov_b32_e32 v9, v6
	s_mov_b32 s3, 0
	v_mov_b32_e32 v12, v8
	v_mov_b32_e32 v15, v8
	;; [unrolled: 1-line block ×4, first 2 shown]
.LBB161_7:                              ; =>This Inner Loop Header: Depth=1
	v_ashrrev_i32_e32 v10, 31, v9
	v_add_nc_u32_e32 v17, 2, v7
	v_mov_b32_e32 v18, v8
	v_add_nc_u32_e32 v19, 4, v7
	v_mov_b32_e32 v20, v8
	v_lshlrev_b64 v[10:11], 2, v[9:10]
	v_mov_b32_e32 v26, v8
	v_lshlrev_b64 v[21:22], 3, v[17:18]
	;; [unrolled: 2-line block ×3, first 2 shown]
	v_mov_b32_e32 v30, v8
	v_add_co_u32 v10, vcc_lo, s10, v10
	v_add_co_ci_u32_e64 v11, null, s11, v11, vcc_lo
	v_add_nc_u32_e32 v9, 64, v9
	global_load_dword v25, v[10:11], off
	v_lshlrev_b64 v[10:11], 3, v[7:8]
	v_add_nc_u32_e32 v7, 0x180, v7
	v_add_co_u32 v10, vcc_lo, s12, v10
	v_add_co_ci_u32_e64 v11, null, s13, v11, vcc_lo
	global_load_dwordx4 v[17:20], v[10:11], off
	v_add_co_u32 v10, vcc_lo, s12, v21
	v_add_co_ci_u32_e64 v11, null, s13, v22, vcc_lo
	v_add_co_u32 v31, vcc_lo, s12, v23
	v_add_co_ci_u32_e64 v32, null, s13, v24, vcc_lo
	global_load_dwordx4 v[21:24], v[10:11], off
	s_waitcnt vmcnt(2)
	v_subrev_nc_u32_e32 v10, s2, v25
	v_lshl_add_u32 v25, v10, 1, v10
	v_lshlrev_b64 v[10:11], 3, v[25:26]
	v_add_nc_u32_e32 v27, 1, v25
	v_add_nc_u32_e32 v29, 2, v25
	v_lshlrev_b64 v[25:26], 3, v[27:28]
	v_add_co_u32 v10, vcc_lo, s14, v10
	v_add_co_ci_u32_e64 v11, null, s15, v11, vcc_lo
	v_lshlrev_b64 v[27:28], 3, v[29:30]
	v_add_co_u32 v25, vcc_lo, s14, v25
	global_load_dwordx2 v[10:11], v[10:11], off
	v_add_co_ci_u32_e64 v26, null, s15, v26, vcc_lo
	v_add_co_u32 v29, vcc_lo, s14, v27
	v_add_co_ci_u32_e64 v30, null, s15, v28, vcc_lo
	global_load_dwordx2 v[33:34], v[25:26], off
	global_load_dwordx4 v[25:28], v[31:32], off
	global_load_dwordx2 v[29:30], v[29:30], off
	v_cmp_ge_i32_e32 vcc_lo, v9, v14
	s_or_b32 s3, vcc_lo, s3
	s_waitcnt vmcnt(3)
	v_fmac_f32_e32 v15, v17, v10
	v_fmac_f32_e32 v12, v18, v10
	v_fmac_f32_e32 v16, v19, v10
	v_fmac_f32_e32 v13, v20, v10
	v_fma_f32 v10, -v18, v11, v15
	v_fmac_f32_e32 v12, v17, v11
	v_fma_f32 v15, -v20, v11, v16
	v_fmac_f32_e32 v13, v19, v11
	s_waitcnt vmcnt(2)
	v_fmac_f32_e32 v10, v21, v33
	v_fmac_f32_e32 v12, v22, v33
	v_fmac_f32_e32 v15, v23, v33
	v_fmac_f32_e32 v13, v24, v33
	v_fma_f32 v10, -v22, v34, v10
	v_fmac_f32_e32 v12, v21, v34
	v_fma_f32 v11, -v24, v34, v15
	v_fmac_f32_e32 v13, v23, v34
	s_waitcnt vmcnt(0)
	v_fmac_f32_e32 v10, v25, v29
	v_fmac_f32_e32 v12, v26, v29
	v_fmac_f32_e32 v11, v27, v29
	v_fmac_f32_e32 v13, v28, v29
	v_fma_f32 v15, -v26, v30, v10
	v_fmac_f32_e32 v12, v25, v30
	v_fma_f32 v16, -v28, v30, v11
	v_fmac_f32_e32 v13, v27, v30
	s_andn2_b32 exec_lo, exec_lo, s3
	s_cbranch_execnz .LBB161_7
; %bb.8:
	s_or_b32 exec_lo, exec_lo, s3
.LBB161_9:
	s_or_b32 exec_lo, exec_lo, s1
	s_cbranch_execz .LBB161_11
	s_branch .LBB161_16
.LBB161_10:
                                        ; implicit-def: $vgpr12
                                        ; implicit-def: $vgpr15
                                        ; implicit-def: $vgpr16
                                        ; implicit-def: $vgpr13
.LBB161_11:
	v_mov_b32_e32 v12, 0
	v_mov_b32_e32 v15, 0
	;; [unrolled: 1-line block ×4, first 2 shown]
	s_and_saveexec_b32 s1, s0
	s_cbranch_execz .LBB161_15
; %bb.12:
	v_mad_u64_u32 v[8:9], null, v6, 6, 5
	v_mov_b32_e32 v11, 0
	v_mov_b32_e32 v12, 0
	;; [unrolled: 1-line block ×5, first 2 shown]
	s_mov_b32 s0, 0
.LBB161_13:                             ; =>This Inner Loop Header: Depth=1
	v_ashrrev_i32_e32 v7, 31, v6
	v_add_nc_u32_e32 v17, -2, v8
	v_mov_b32_e32 v18, v11
	v_mov_b32_e32 v22, v11
	v_lshlrev_b64 v[9:10], 2, v[6:7]
	v_add_nc_u32_e32 v6, 64, v6
	v_lshlrev_b64 v[17:18], 3, v[17:18]
	v_add_co_u32 v9, vcc_lo, s10, v9
	v_add_co_ci_u32_e64 v10, null, s11, v10, vcc_lo
	global_load_dword v7, v[9:10], off
	v_add_nc_u32_e32 v10, -5, v8
	v_mov_b32_e32 v9, v11
	v_lshlrev_b64 v[19:20], 3, v[10:11]
	v_lshlrev_b64 v[9:10], 3, v[8:9]
	v_add_co_u32 v19, vcc_lo, s12, v19
	v_add_co_ci_u32_e64 v20, null, s13, v20, vcc_lo
	v_add_co_u32 v23, vcc_lo, s12, v17
	v_add_co_ci_u32_e64 v24, null, s13, v18, vcc_lo
	;; [unrolled: 2-line block ×3, first 2 shown]
	s_clause 0x2
	global_load_dwordx4 v[17:20], v[19:20], off
	global_load_dwordx2 v[23:24], v[23:24], off
	global_load_dwordx2 v[25:26], v[9:10], off
	s_waitcnt vmcnt(3)
	v_subrev_nc_u32_e32 v7, s2, v7
	v_lshl_add_u32 v21, v7, 1, v7
	v_add_nc_u32_e32 v10, 1, v21
	v_lshlrev_b64 v[27:28], 3, v[21:22]
	v_lshlrev_b64 v[29:30], 3, v[10:11]
	v_add_nc_u32_e32 v10, -1, v8
	v_add_co_u32 v27, vcc_lo, s14, v27
	v_add_co_ci_u32_e64 v28, null, s15, v28, vcc_lo
	v_lshlrev_b64 v[31:32], 3, v[10:11]
	v_add_nc_u32_e32 v10, -3, v8
	v_add_co_u32 v29, vcc_lo, s14, v29
	global_load_dwordx2 v[27:28], v[27:28], off
	v_add_co_ci_u32_e64 v30, null, s15, v30, vcc_lo
	v_lshlrev_b64 v[33:34], 3, v[10:11]
	v_add_nc_u32_e32 v10, 2, v21
	v_add_co_u32 v21, vcc_lo, s12, v31
	v_add_co_ci_u32_e64 v22, null, s13, v32, vcc_lo
	v_lshlrev_b64 v[9:10], 3, v[10:11]
	global_load_dwordx2 v[29:30], v[29:30], off
	v_add_co_u32 v31, vcc_lo, s12, v33
	global_load_dwordx2 v[21:22], v[21:22], off
	v_add_co_ci_u32_e64 v32, null, s13, v34, vcc_lo
	v_add_co_u32 v9, vcc_lo, s14, v9
	v_add_co_ci_u32_e64 v10, null, s15, v10, vcc_lo
	global_load_dwordx2 v[31:32], v[31:32], off
	global_load_dwordx2 v[9:10], v[9:10], off
	v_cmp_ge_i32_e32 vcc_lo, v6, v14
	v_add_nc_u32_e32 v8, 0x180, v8
	s_or_b32 s0, vcc_lo, s0
	s_waitcnt vmcnt(4)
	v_fmac_f32_e32 v15, v17, v27
	v_fmac_f32_e32 v12, v18, v27
	;; [unrolled: 1-line block ×4, first 2 shown]
	v_fma_f32 v7, -v18, v28, v15
	v_fmac_f32_e32 v12, v17, v28
	v_fma_f32 v15, -v24, v28, v16
	v_fmac_f32_e32 v13, v23, v28
	s_waitcnt vmcnt(3)
	v_fmac_f32_e32 v7, v19, v29
	v_fmac_f32_e32 v12, v20, v29
	s_waitcnt vmcnt(2)
	v_fmac_f32_e32 v15, v21, v29
	v_fmac_f32_e32 v13, v22, v29
	v_fma_f32 v7, -v20, v30, v7
	v_fmac_f32_e32 v12, v19, v30
	v_fma_f32 v16, -v22, v30, v15
	v_fmac_f32_e32 v13, v21, v30
	s_waitcnt vmcnt(0)
	v_fmac_f32_e32 v7, v31, v9
	v_fmac_f32_e32 v12, v32, v9
	v_fmac_f32_e32 v16, v25, v9
	v_fmac_f32_e32 v13, v26, v9
	v_fma_f32 v15, -v32, v10, v7
	v_fmac_f32_e32 v12, v31, v10
	v_fma_f32 v16, -v26, v10, v16
	v_fmac_f32_e32 v13, v25, v10
	s_andn2_b32 exec_lo, exec_lo, s0
	s_cbranch_execnz .LBB161_13
; %bb.14:
	s_or_b32 exec_lo, exec_lo, s0
.LBB161_15:
	s_or_b32 exec_lo, exec_lo, s1
.LBB161_16:
	v_mbcnt_lo_u32_b32 v6, -1, 0
	v_or_b32_e32 v7, 32, v6
	v_xor_b32_e32 v11, 16, v6
	v_cmp_gt_i32_e32 vcc_lo, 32, v7
	v_cndmask_b32_e32 v7, v6, v7, vcc_lo
	v_cmp_gt_i32_e32 vcc_lo, 32, v11
	v_lshlrev_b32_e32 v7, 2, v7
	v_cndmask_b32_e32 v11, v6, v11, vcc_lo
	ds_bpermute_b32 v8, v7, v15
	ds_bpermute_b32 v9, v7, v12
	;; [unrolled: 1-line block ×4, first 2 shown]
	v_lshlrev_b32_e32 v11, 2, v11
	s_waitcnt lgkmcnt(3)
	v_add_f32_e32 v8, v15, v8
	s_waitcnt lgkmcnt(2)
	v_add_f32_e32 v9, v12, v9
	;; [unrolled: 2-line block ×4, first 2 shown]
	v_xor_b32_e32 v15, 8, v6
	ds_bpermute_b32 v12, v11, v8
	ds_bpermute_b32 v13, v11, v9
	;; [unrolled: 1-line block ×4, first 2 shown]
	v_cmp_gt_i32_e32 vcc_lo, 32, v15
	v_cndmask_b32_e32 v15, v6, v15, vcc_lo
	v_lshlrev_b32_e32 v15, 2, v15
	s_waitcnt lgkmcnt(3)
	v_add_f32_e32 v8, v8, v12
	s_waitcnt lgkmcnt(2)
	v_add_f32_e32 v9, v9, v13
	s_waitcnt lgkmcnt(1)
	v_add_f32_e32 v10, v10, v14
	s_waitcnt lgkmcnt(0)
	v_add_f32_e32 v7, v7, v11
	ds_bpermute_b32 v11, v15, v8
	ds_bpermute_b32 v12, v15, v9
	ds_bpermute_b32 v13, v15, v10
	ds_bpermute_b32 v14, v15, v7
	v_xor_b32_e32 v15, 4, v6
	v_cmp_gt_i32_e32 vcc_lo, 32, v15
	v_cndmask_b32_e32 v15, v6, v15, vcc_lo
	v_lshlrev_b32_e32 v15, 2, v15
	s_waitcnt lgkmcnt(3)
	v_add_f32_e32 v8, v8, v11
	s_waitcnt lgkmcnt(2)
	v_add_f32_e32 v9, v9, v12
	s_waitcnt lgkmcnt(1)
	v_add_f32_e32 v10, v10, v13
	s_waitcnt lgkmcnt(0)
	v_add_f32_e32 v7, v7, v14
	ds_bpermute_b32 v11, v15, v8
	ds_bpermute_b32 v12, v15, v9
	ds_bpermute_b32 v13, v15, v10
	ds_bpermute_b32 v14, v15, v7
	v_xor_b32_e32 v15, 2, v6
	;; [unrolled: 16-line block ×3, first 2 shown]
	v_cmp_gt_i32_e32 vcc_lo, 32, v15
	v_cndmask_b32_e32 v6, v6, v15, vcc_lo
	v_cmp_eq_u32_e32 vcc_lo, 63, v0
	v_lshlrev_b32_e32 v15, 2, v6
	s_waitcnt lgkmcnt(3)
	v_add_f32_e32 v8, v8, v11
	s_waitcnt lgkmcnt(2)
	v_add_f32_e32 v9, v9, v12
	;; [unrolled: 2-line block ×4, first 2 shown]
	ds_bpermute_b32 v12, v15, v8
	ds_bpermute_b32 v13, v15, v9
	;; [unrolled: 1-line block ×4, first 2 shown]
	s_and_b32 exec_lo, exec_lo, vcc_lo
	s_cbranch_execz .LBB161_21
; %bb.17:
	s_load_dwordx2 s[2:3], s[4:5], 0x38
	v_cmp_eq_f32_e32 vcc_lo, 0, v3
	v_cmp_eq_f32_e64 s0, 0, v4
	s_waitcnt lgkmcnt(0)
	v_add_f32_e32 v0, v8, v12
	v_add_f32_e32 v8, v9, v13
	;; [unrolled: 1-line block ×4, first 2 shown]
	s_and_b32 s0, vcc_lo, s0
	s_and_saveexec_b32 s1, s0
	s_xor_b32 s0, exec_lo, s1
	s_cbranch_execz .LBB161_19
; %bb.18:
	v_lshlrev_b32_e32 v3, 1, v5
	v_mul_f32_e64 v9, v8, -v2
	v_mul_f32_e32 v10, v1, v8
	v_mul_f32_e64 v11, v7, -v2
	v_mul_f32_e32 v12, v1, v7
	v_ashrrev_i32_e32 v4, 31, v3
	v_fmac_f32_e32 v9, v1, v0
	v_fmac_f32_e32 v10, v2, v0
	;; [unrolled: 1-line block ×4, first 2 shown]
	v_lshlrev_b64 v[3:4], 3, v[3:4]
                                        ; implicit-def: $vgpr5
                                        ; implicit-def: $vgpr8
                                        ; implicit-def: $vgpr7
                                        ; implicit-def: $vgpr6
	v_add_co_u32 v0, vcc_lo, s2, v3
	v_add_co_ci_u32_e64 v1, null, s3, v4, vcc_lo
                                        ; implicit-def: $vgpr3_vgpr4
	global_store_dwordx4 v[0:1], v[9:12], off
                                        ; implicit-def: $vgpr1_vgpr2
                                        ; implicit-def: $vgpr0
.LBB161_19:
	s_andn2_saveexec_b32 s0, s0
	s_cbranch_execz .LBB161_21
; %bb.20:
	v_lshlrev_b32_e32 v9, 1, v5
	v_mul_f32_e64 v5, v8, -v2
	v_mul_f32_e32 v14, v1, v8
	v_mul_f32_e64 v8, v7, -v2
	v_mul_f32_e32 v16, v1, v7
	v_ashrrev_i32_e32 v10, 31, v9
	v_fmac_f32_e32 v5, v1, v0
	v_fmac_f32_e32 v14, v2, v0
	;; [unrolled: 1-line block ×4, first 2 shown]
	v_lshlrev_b64 v[9:10], 3, v[9:10]
	v_add_co_u32 v17, vcc_lo, s2, v9
	v_add_co_ci_u32_e64 v18, null, s3, v10, vcc_lo
	global_load_dwordx4 v[9:12], v[17:18], off
	s_waitcnt vmcnt(0)
	v_fmac_f32_e32 v5, v3, v9
	v_fmac_f32_e32 v14, v4, v9
	;; [unrolled: 1-line block ×4, first 2 shown]
	v_fma_f32 v13, -v4, v10, v5
	v_fmac_f32_e32 v14, v3, v10
	v_fma_f32 v15, -v4, v12, v8
	v_fmac_f32_e32 v16, v3, v12
	global_store_dwordx4 v[17:18], v[13:16], off
.LBB161_21:
	s_endpgm
	.section	.rodata,"a",@progbits
	.p2align	6, 0x0
	.amdhsa_kernel _ZN9rocsparseL19gebsrmvn_2xn_kernelILj128ELj3ELj64E21rocsparse_complex_numIfEEEvi20rocsparse_direction_NS_24const_host_device_scalarIT2_EEPKiS8_PKS5_SA_S6_PS5_21rocsparse_index_base_b
		.amdhsa_group_segment_fixed_size 0
		.amdhsa_private_segment_fixed_size 0
		.amdhsa_kernarg_size 72
		.amdhsa_user_sgpr_count 6
		.amdhsa_user_sgpr_private_segment_buffer 1
		.amdhsa_user_sgpr_dispatch_ptr 0
		.amdhsa_user_sgpr_queue_ptr 0
		.amdhsa_user_sgpr_kernarg_segment_ptr 1
		.amdhsa_user_sgpr_dispatch_id 0
		.amdhsa_user_sgpr_flat_scratch_init 0
		.amdhsa_user_sgpr_private_segment_size 0
		.amdhsa_wavefront_size32 1
		.amdhsa_uses_dynamic_stack 0
		.amdhsa_system_sgpr_private_segment_wavefront_offset 0
		.amdhsa_system_sgpr_workgroup_id_x 1
		.amdhsa_system_sgpr_workgroup_id_y 0
		.amdhsa_system_sgpr_workgroup_id_z 0
		.amdhsa_system_sgpr_workgroup_info 0
		.amdhsa_system_vgpr_workitem_id 0
		.amdhsa_next_free_vgpr 35
		.amdhsa_next_free_sgpr 16
		.amdhsa_reserve_vcc 1
		.amdhsa_reserve_flat_scratch 0
		.amdhsa_float_round_mode_32 0
		.amdhsa_float_round_mode_16_64 0
		.amdhsa_float_denorm_mode_32 3
		.amdhsa_float_denorm_mode_16_64 3
		.amdhsa_dx10_clamp 1
		.amdhsa_ieee_mode 1
		.amdhsa_fp16_overflow 0
		.amdhsa_workgroup_processor_mode 1
		.amdhsa_memory_ordered 1
		.amdhsa_forward_progress 1
		.amdhsa_shared_vgpr_count 0
		.amdhsa_exception_fp_ieee_invalid_op 0
		.amdhsa_exception_fp_denorm_src 0
		.amdhsa_exception_fp_ieee_div_zero 0
		.amdhsa_exception_fp_ieee_overflow 0
		.amdhsa_exception_fp_ieee_underflow 0
		.amdhsa_exception_fp_ieee_inexact 0
		.amdhsa_exception_int_div_zero 0
	.end_amdhsa_kernel
	.section	.text._ZN9rocsparseL19gebsrmvn_2xn_kernelILj128ELj3ELj64E21rocsparse_complex_numIfEEEvi20rocsparse_direction_NS_24const_host_device_scalarIT2_EEPKiS8_PKS5_SA_S6_PS5_21rocsparse_index_base_b,"axG",@progbits,_ZN9rocsparseL19gebsrmvn_2xn_kernelILj128ELj3ELj64E21rocsparse_complex_numIfEEEvi20rocsparse_direction_NS_24const_host_device_scalarIT2_EEPKiS8_PKS5_SA_S6_PS5_21rocsparse_index_base_b,comdat
.Lfunc_end161:
	.size	_ZN9rocsparseL19gebsrmvn_2xn_kernelILj128ELj3ELj64E21rocsparse_complex_numIfEEEvi20rocsparse_direction_NS_24const_host_device_scalarIT2_EEPKiS8_PKS5_SA_S6_PS5_21rocsparse_index_base_b, .Lfunc_end161-_ZN9rocsparseL19gebsrmvn_2xn_kernelILj128ELj3ELj64E21rocsparse_complex_numIfEEEvi20rocsparse_direction_NS_24const_host_device_scalarIT2_EEPKiS8_PKS5_SA_S6_PS5_21rocsparse_index_base_b
                                        ; -- End function
	.set _ZN9rocsparseL19gebsrmvn_2xn_kernelILj128ELj3ELj64E21rocsparse_complex_numIfEEEvi20rocsparse_direction_NS_24const_host_device_scalarIT2_EEPKiS8_PKS5_SA_S6_PS5_21rocsparse_index_base_b.num_vgpr, 35
	.set _ZN9rocsparseL19gebsrmvn_2xn_kernelILj128ELj3ELj64E21rocsparse_complex_numIfEEEvi20rocsparse_direction_NS_24const_host_device_scalarIT2_EEPKiS8_PKS5_SA_S6_PS5_21rocsparse_index_base_b.num_agpr, 0
	.set _ZN9rocsparseL19gebsrmvn_2xn_kernelILj128ELj3ELj64E21rocsparse_complex_numIfEEEvi20rocsparse_direction_NS_24const_host_device_scalarIT2_EEPKiS8_PKS5_SA_S6_PS5_21rocsparse_index_base_b.numbered_sgpr, 16
	.set _ZN9rocsparseL19gebsrmvn_2xn_kernelILj128ELj3ELj64E21rocsparse_complex_numIfEEEvi20rocsparse_direction_NS_24const_host_device_scalarIT2_EEPKiS8_PKS5_SA_S6_PS5_21rocsparse_index_base_b.num_named_barrier, 0
	.set _ZN9rocsparseL19gebsrmvn_2xn_kernelILj128ELj3ELj64E21rocsparse_complex_numIfEEEvi20rocsparse_direction_NS_24const_host_device_scalarIT2_EEPKiS8_PKS5_SA_S6_PS5_21rocsparse_index_base_b.private_seg_size, 0
	.set _ZN9rocsparseL19gebsrmvn_2xn_kernelILj128ELj3ELj64E21rocsparse_complex_numIfEEEvi20rocsparse_direction_NS_24const_host_device_scalarIT2_EEPKiS8_PKS5_SA_S6_PS5_21rocsparse_index_base_b.uses_vcc, 1
	.set _ZN9rocsparseL19gebsrmvn_2xn_kernelILj128ELj3ELj64E21rocsparse_complex_numIfEEEvi20rocsparse_direction_NS_24const_host_device_scalarIT2_EEPKiS8_PKS5_SA_S6_PS5_21rocsparse_index_base_b.uses_flat_scratch, 0
	.set _ZN9rocsparseL19gebsrmvn_2xn_kernelILj128ELj3ELj64E21rocsparse_complex_numIfEEEvi20rocsparse_direction_NS_24const_host_device_scalarIT2_EEPKiS8_PKS5_SA_S6_PS5_21rocsparse_index_base_b.has_dyn_sized_stack, 0
	.set _ZN9rocsparseL19gebsrmvn_2xn_kernelILj128ELj3ELj64E21rocsparse_complex_numIfEEEvi20rocsparse_direction_NS_24const_host_device_scalarIT2_EEPKiS8_PKS5_SA_S6_PS5_21rocsparse_index_base_b.has_recursion, 0
	.set _ZN9rocsparseL19gebsrmvn_2xn_kernelILj128ELj3ELj64E21rocsparse_complex_numIfEEEvi20rocsparse_direction_NS_24const_host_device_scalarIT2_EEPKiS8_PKS5_SA_S6_PS5_21rocsparse_index_base_b.has_indirect_call, 0
	.section	.AMDGPU.csdata,"",@progbits
; Kernel info:
; codeLenInByte = 2128
; TotalNumSgprs: 18
; NumVgprs: 35
; ScratchSize: 0
; MemoryBound: 0
; FloatMode: 240
; IeeeMode: 1
; LDSByteSize: 0 bytes/workgroup (compile time only)
; SGPRBlocks: 0
; VGPRBlocks: 4
; NumSGPRsForWavesPerEU: 18
; NumVGPRsForWavesPerEU: 35
; Occupancy: 16
; WaveLimiterHint : 1
; COMPUTE_PGM_RSRC2:SCRATCH_EN: 0
; COMPUTE_PGM_RSRC2:USER_SGPR: 6
; COMPUTE_PGM_RSRC2:TRAP_HANDLER: 0
; COMPUTE_PGM_RSRC2:TGID_X_EN: 1
; COMPUTE_PGM_RSRC2:TGID_Y_EN: 0
; COMPUTE_PGM_RSRC2:TGID_Z_EN: 0
; COMPUTE_PGM_RSRC2:TIDIG_COMP_CNT: 0
	.section	.text._ZN9rocsparseL19gebsrmvn_2xn_kernelILj128ELj4ELj4E21rocsparse_complex_numIfEEEvi20rocsparse_direction_NS_24const_host_device_scalarIT2_EEPKiS8_PKS5_SA_S6_PS5_21rocsparse_index_base_b,"axG",@progbits,_ZN9rocsparseL19gebsrmvn_2xn_kernelILj128ELj4ELj4E21rocsparse_complex_numIfEEEvi20rocsparse_direction_NS_24const_host_device_scalarIT2_EEPKiS8_PKS5_SA_S6_PS5_21rocsparse_index_base_b,comdat
	.globl	_ZN9rocsparseL19gebsrmvn_2xn_kernelILj128ELj4ELj4E21rocsparse_complex_numIfEEEvi20rocsparse_direction_NS_24const_host_device_scalarIT2_EEPKiS8_PKS5_SA_S6_PS5_21rocsparse_index_base_b ; -- Begin function _ZN9rocsparseL19gebsrmvn_2xn_kernelILj128ELj4ELj4E21rocsparse_complex_numIfEEEvi20rocsparse_direction_NS_24const_host_device_scalarIT2_EEPKiS8_PKS5_SA_S6_PS5_21rocsparse_index_base_b
	.p2align	8
	.type	_ZN9rocsparseL19gebsrmvn_2xn_kernelILj128ELj4ELj4E21rocsparse_complex_numIfEEEvi20rocsparse_direction_NS_24const_host_device_scalarIT2_EEPKiS8_PKS5_SA_S6_PS5_21rocsparse_index_base_b,@function
_ZN9rocsparseL19gebsrmvn_2xn_kernelILj128ELj4ELj4E21rocsparse_complex_numIfEEEvi20rocsparse_direction_NS_24const_host_device_scalarIT2_EEPKiS8_PKS5_SA_S6_PS5_21rocsparse_index_base_b: ; @_ZN9rocsparseL19gebsrmvn_2xn_kernelILj128ELj4ELj4E21rocsparse_complex_numIfEEEvi20rocsparse_direction_NS_24const_host_device_scalarIT2_EEPKiS8_PKS5_SA_S6_PS5_21rocsparse_index_base_b
; %bb.0:
	s_clause 0x2
	s_load_dwordx2 s[2:3], s[4:5], 0x40
	s_load_dwordx2 s[0:1], s[4:5], 0x8
	s_load_dwordx2 s[8:9], s[4:5], 0x30
	s_add_u32 s7, s4, 8
	s_addc_u32 s10, s5, 0
	s_add_u32 s11, s4, 48
	s_addc_u32 s12, s5, 0
	s_waitcnt lgkmcnt(0)
	s_bitcmp1_b32 s3, 0
	s_cselect_b32 s0, s7, s0
	s_cselect_b32 s1, s10, s1
	v_mov_b32_e32 v1, s0
	v_mov_b32_e32 v2, s1
	s_cselect_b32 s0, s11, s8
	s_cselect_b32 s1, s12, s9
	v_mov_b32_e32 v3, s0
	v_mov_b32_e32 v4, s1
	flat_load_dwordx2 v[1:2], v[1:2]
	flat_load_dwordx2 v[3:4], v[3:4]
	s_waitcnt vmcnt(1) lgkmcnt(1)
	v_cmp_eq_f32_e32 vcc_lo, 0, v1
	v_cmp_eq_f32_e64 s0, 0, v2
	s_and_b32 s3, vcc_lo, s0
	s_mov_b32 s0, -1
	s_and_saveexec_b32 s1, s3
	s_cbranch_execz .LBB162_2
; %bb.1:
	s_waitcnt vmcnt(0) lgkmcnt(0)
	v_cmp_neq_f32_e32 vcc_lo, 1.0, v3
	v_cmp_neq_f32_e64 s0, 0, v4
	s_or_b32 s0, vcc_lo, s0
	s_orn2_b32 s0, s0, exec_lo
.LBB162_2:
	s_or_b32 exec_lo, exec_lo, s1
	s_and_saveexec_b32 s1, s0
	s_cbranch_execz .LBB162_21
; %bb.3:
	s_load_dwordx2 s[0:1], s[4:5], 0x0
	v_lshrrev_b32_e32 v5, 2, v0
	v_lshl_or_b32 v5, s6, 5, v5
	s_waitcnt lgkmcnt(0)
	v_cmp_gt_i32_e32 vcc_lo, s0, v5
	s_and_b32 exec_lo, exec_lo, vcc_lo
	s_cbranch_execz .LBB162_21
; %bb.4:
	s_load_dwordx8 s[8:15], s[4:5], 0x10
	v_ashrrev_i32_e32 v6, 31, v5
	v_and_b32_e32 v0, 3, v0
	s_cmp_lg_u32 s1, 0
	v_lshlrev_b64 v[6:7], 2, v[5:6]
	s_waitcnt lgkmcnt(0)
	v_add_co_u32 v6, vcc_lo, s8, v6
	v_add_co_ci_u32_e64 v7, null, s9, v7, vcc_lo
	global_load_dwordx2 v[6:7], v[6:7], off
	s_waitcnt vmcnt(0)
	v_subrev_nc_u32_e32 v6, s2, v6
	v_subrev_nc_u32_e32 v13, s2, v7
	v_add_nc_u32_e32 v6, v6, v0
	v_cmp_lt_i32_e64 s0, v6, v13
	s_cbranch_scc0 .LBB162_10
; %bb.5:
	v_mov_b32_e32 v11, 0
	v_mov_b32_e32 v14, 0
	;; [unrolled: 1-line block ×4, first 2 shown]
	s_and_saveexec_b32 s1, s0
	s_cbranch_execz .LBB162_9
; %bb.6:
	v_mov_b32_e32 v8, 0
	v_lshlrev_b32_e32 v7, 3, v6
	v_mov_b32_e32 v9, v6
	s_mov_b32 s3, 0
	v_mov_b32_e32 v11, v8
	v_mov_b32_e32 v14, v8
	;; [unrolled: 1-line block ×4, first 2 shown]
.LBB162_7:                              ; =>This Inner Loop Header: Depth=1
	v_ashrrev_i32_e32 v10, 31, v9
	v_mov_b32_e32 v21, v8
	v_lshlrev_b64 v[16:17], 2, v[9:10]
	v_add_nc_u32_e32 v9, 4, v9
	v_add_co_u32 v16, vcc_lo, s10, v16
	v_add_co_ci_u32_e64 v17, null, s11, v17, vcc_lo
	global_load_dword v10, v[16:17], off
	v_lshlrev_b64 v[16:17], 3, v[7:8]
	v_add_nc_u32_e32 v7, 32, v7
	v_add_co_u32 v36, vcc_lo, s12, v16
	v_add_co_ci_u32_e64 v37, null, s13, v17, vcc_lo
	global_load_dwordx4 v[16:19], v[36:37], off offset:16
	s_waitcnt vmcnt(1)
	v_subrev_nc_u32_e32 v10, s2, v10
	v_lshlrev_b32_e32 v20, 2, v10
	v_lshlrev_b64 v[20:21], 3, v[20:21]
	v_add_co_u32 v28, vcc_lo, s14, v20
	v_add_co_ci_u32_e64 v29, null, s15, v21, vcc_lo
	v_cmp_ge_i32_e32 vcc_lo, v9, v13
	global_load_dwordx4 v[20:23], v[36:37], off
	s_clause 0x1
	global_load_dwordx4 v[24:27], v[28:29], off
	global_load_dwordx4 v[28:31], v[28:29], off offset:16
	s_clause 0x1
	global_load_dwordx4 v[32:35], v[36:37], off offset:32
	global_load_dwordx4 v[36:39], v[36:37], off offset:48
	s_or_b32 s3, vcc_lo, s3
	s_waitcnt vmcnt(3)
	v_fmac_f32_e32 v14, v20, v24
	v_fmac_f32_e32 v11, v21, v24
	;; [unrolled: 1-line block ×4, first 2 shown]
	v_fma_f32 v10, -v21, v25, v14
	v_fmac_f32_e32 v11, v20, v25
	v_fma_f32 v14, -v23, v25, v15
	v_fmac_f32_e32 v12, v22, v25
	v_fmac_f32_e32 v10, v16, v26
	;; [unrolled: 1-line block ×5, first 2 shown]
	v_fma_f32 v10, -v17, v27, v10
	v_fmac_f32_e32 v11, v16, v27
	v_fma_f32 v14, -v19, v27, v14
	v_fmac_f32_e32 v12, v18, v27
	s_waitcnt vmcnt(1)
	v_fmac_f32_e32 v10, v32, v28
	v_fmac_f32_e32 v11, v33, v28
	;; [unrolled: 1-line block ×4, first 2 shown]
	v_fma_f32 v10, -v33, v29, v10
	v_fmac_f32_e32 v11, v32, v29
	v_fma_f32 v15, -v35, v29, v14
	v_fmac_f32_e32 v12, v34, v29
	s_waitcnt vmcnt(0)
	v_fmac_f32_e32 v10, v36, v30
	v_fmac_f32_e32 v11, v37, v30
	;; [unrolled: 1-line block ×4, first 2 shown]
	v_fma_f32 v14, -v37, v31, v10
	v_fmac_f32_e32 v11, v36, v31
	v_fma_f32 v15, -v39, v31, v15
	v_fmac_f32_e32 v12, v38, v31
	s_andn2_b32 exec_lo, exec_lo, s3
	s_cbranch_execnz .LBB162_7
; %bb.8:
	s_or_b32 exec_lo, exec_lo, s3
.LBB162_9:
	s_or_b32 exec_lo, exec_lo, s1
	s_cbranch_execz .LBB162_11
	s_branch .LBB162_16
.LBB162_10:
                                        ; implicit-def: $vgpr11
                                        ; implicit-def: $vgpr14
                                        ; implicit-def: $vgpr15
                                        ; implicit-def: $vgpr12
.LBB162_11:
	v_mov_b32_e32 v11, 0
	v_mov_b32_e32 v14, 0
	;; [unrolled: 1-line block ×4, first 2 shown]
	s_and_saveexec_b32 s1, s0
	s_cbranch_execz .LBB162_15
; %bb.12:
	v_mov_b32_e32 v9, 0
	v_lshlrev_b32_e32 v8, 3, v6
	s_mov_b32 s0, 0
	v_mov_b32_e32 v11, v9
	v_mov_b32_e32 v14, v9
	;; [unrolled: 1-line block ×4, first 2 shown]
.LBB162_13:                             ; =>This Inner Loop Header: Depth=1
	v_ashrrev_i32_e32 v7, 31, v6
	v_mov_b32_e32 v29, v9
	v_lshlrev_b64 v[16:17], 2, v[6:7]
	v_add_nc_u32_e32 v6, 4, v6
	v_add_co_u32 v16, vcc_lo, s10, v16
	v_add_co_ci_u32_e64 v17, null, s11, v17, vcc_lo
	global_load_dword v7, v[16:17], off
	v_lshlrev_b64 v[16:17], 3, v[8:9]
	v_add_nc_u32_e32 v8, 32, v8
	v_add_co_u32 v30, vcc_lo, s12, v16
	v_add_co_ci_u32_e64 v31, null, s13, v17, vcc_lo
	s_clause 0x2
	global_load_dwordx4 v[16:19], v[30:31], off offset:16
	global_load_dwordx4 v[20:23], v[30:31], off offset:48
	global_load_dwordx4 v[24:27], v[30:31], off offset:32
	s_waitcnt vmcnt(3)
	v_subrev_nc_u32_e32 v7, s2, v7
	v_lshlrev_b32_e32 v28, 2, v7
	v_lshlrev_b64 v[28:29], 3, v[28:29]
	v_add_co_u32 v36, vcc_lo, s14, v28
	v_add_co_ci_u32_e64 v37, null, s15, v29, vcc_lo
	v_cmp_ge_i32_e32 vcc_lo, v6, v13
	global_load_dwordx4 v[28:31], v[30:31], off
	s_clause 0x1
	global_load_dwordx4 v[32:35], v[36:37], off
	global_load_dwordx4 v[36:39], v[36:37], off offset:16
	s_or_b32 s0, vcc_lo, s0
	s_waitcnt vmcnt(1)
	v_fmac_f32_e32 v14, v28, v32
	v_fmac_f32_e32 v11, v29, v32
	;; [unrolled: 1-line block ×4, first 2 shown]
	v_fma_f32 v7, -v29, v33, v14
	v_fmac_f32_e32 v11, v28, v33
	v_fma_f32 v10, -v25, v33, v15
	v_fmac_f32_e32 v12, v24, v33
	v_fmac_f32_e32 v7, v30, v34
	;; [unrolled: 1-line block ×5, first 2 shown]
	v_fma_f32 v7, -v31, v35, v7
	v_fmac_f32_e32 v11, v30, v35
	v_fma_f32 v10, -v27, v35, v10
	v_fmac_f32_e32 v12, v26, v35
	s_waitcnt vmcnt(0)
	v_fmac_f32_e32 v7, v16, v36
	v_fmac_f32_e32 v11, v17, v36
	;; [unrolled: 1-line block ×4, first 2 shown]
	v_fma_f32 v7, -v17, v37, v7
	v_fmac_f32_e32 v11, v16, v37
	v_fma_f32 v10, -v21, v37, v10
	v_fmac_f32_e32 v12, v20, v37
	v_fmac_f32_e32 v7, v18, v38
	;; [unrolled: 1-line block ×5, first 2 shown]
	v_fma_f32 v14, -v19, v39, v7
	v_fmac_f32_e32 v11, v18, v39
	v_fma_f32 v15, -v23, v39, v10
	v_fmac_f32_e32 v12, v22, v39
	s_andn2_b32 exec_lo, exec_lo, s0
	s_cbranch_execnz .LBB162_13
; %bb.14:
	s_or_b32 exec_lo, exec_lo, s0
.LBB162_15:
	s_or_b32 exec_lo, exec_lo, s1
.LBB162_16:
	v_mbcnt_lo_u32_b32 v6, -1, 0
	v_xor_b32_e32 v7, 2, v6
	v_xor_b32_e32 v13, 1, v6
	v_cmp_gt_i32_e32 vcc_lo, 32, v7
	v_cndmask_b32_e32 v7, v6, v7, vcc_lo
	v_cmp_gt_i32_e32 vcc_lo, 32, v13
	v_lshlrev_b32_e32 v7, 2, v7
	v_cndmask_b32_e32 v6, v6, v13, vcc_lo
	v_cmp_eq_u32_e32 vcc_lo, 3, v0
	ds_bpermute_b32 v8, v7, v14
	ds_bpermute_b32 v9, v7, v11
	ds_bpermute_b32 v10, v7, v15
	ds_bpermute_b32 v7, v7, v12
	v_lshlrev_b32_e32 v16, 2, v6
	s_waitcnt lgkmcnt(3)
	v_add_f32_e32 v8, v14, v8
	s_waitcnt lgkmcnt(2)
	v_add_f32_e32 v9, v11, v9
	;; [unrolled: 2-line block ×4, first 2 shown]
	ds_bpermute_b32 v12, v16, v8
	ds_bpermute_b32 v13, v16, v9
	;; [unrolled: 1-line block ×4, first 2 shown]
	s_and_b32 exec_lo, exec_lo, vcc_lo
	s_cbranch_execz .LBB162_21
; %bb.17:
	s_load_dwordx2 s[2:3], s[4:5], 0x38
	v_cmp_eq_f32_e32 vcc_lo, 0, v3
	v_cmp_eq_f32_e64 s0, 0, v4
	s_waitcnt lgkmcnt(0)
	v_add_f32_e32 v0, v8, v12
	v_add_f32_e32 v8, v9, v13
	;; [unrolled: 1-line block ×4, first 2 shown]
	s_and_b32 s0, vcc_lo, s0
	s_and_saveexec_b32 s1, s0
	s_xor_b32 s0, exec_lo, s1
	s_cbranch_execz .LBB162_19
; %bb.18:
	v_lshlrev_b32_e32 v3, 1, v5
	v_mul_f32_e64 v9, v8, -v2
	v_mul_f32_e32 v10, v1, v8
	v_mul_f32_e64 v11, v7, -v2
	v_mul_f32_e32 v12, v1, v7
	v_ashrrev_i32_e32 v4, 31, v3
	v_fmac_f32_e32 v9, v1, v0
	v_fmac_f32_e32 v10, v2, v0
	;; [unrolled: 1-line block ×4, first 2 shown]
	v_lshlrev_b64 v[3:4], 3, v[3:4]
                                        ; implicit-def: $vgpr5
                                        ; implicit-def: $vgpr8
                                        ; implicit-def: $vgpr7
                                        ; implicit-def: $vgpr6
	v_add_co_u32 v0, vcc_lo, s2, v3
	v_add_co_ci_u32_e64 v1, null, s3, v4, vcc_lo
                                        ; implicit-def: $vgpr3_vgpr4
	global_store_dwordx4 v[0:1], v[9:12], off
                                        ; implicit-def: $vgpr1_vgpr2
                                        ; implicit-def: $vgpr0
.LBB162_19:
	s_andn2_saveexec_b32 s0, s0
	s_cbranch_execz .LBB162_21
; %bb.20:
	v_lshlrev_b32_e32 v9, 1, v5
	v_mul_f32_e64 v5, v8, -v2
	v_mul_f32_e32 v14, v1, v8
	v_mul_f32_e64 v8, v7, -v2
	v_mul_f32_e32 v16, v1, v7
	v_ashrrev_i32_e32 v10, 31, v9
	v_fmac_f32_e32 v5, v1, v0
	v_fmac_f32_e32 v14, v2, v0
	;; [unrolled: 1-line block ×4, first 2 shown]
	v_lshlrev_b64 v[9:10], 3, v[9:10]
	v_add_co_u32 v17, vcc_lo, s2, v9
	v_add_co_ci_u32_e64 v18, null, s3, v10, vcc_lo
	global_load_dwordx4 v[9:12], v[17:18], off
	s_waitcnt vmcnt(0)
	v_fmac_f32_e32 v5, v3, v9
	v_fmac_f32_e32 v14, v4, v9
	;; [unrolled: 1-line block ×4, first 2 shown]
	v_fma_f32 v13, -v4, v10, v5
	v_fmac_f32_e32 v14, v3, v10
	v_fma_f32 v15, -v4, v12, v8
	v_fmac_f32_e32 v16, v3, v12
	global_store_dwordx4 v[17:18], v[13:16], off
.LBB162_21:
	s_endpgm
	.section	.rodata,"a",@progbits
	.p2align	6, 0x0
	.amdhsa_kernel _ZN9rocsparseL19gebsrmvn_2xn_kernelILj128ELj4ELj4E21rocsparse_complex_numIfEEEvi20rocsparse_direction_NS_24const_host_device_scalarIT2_EEPKiS8_PKS5_SA_S6_PS5_21rocsparse_index_base_b
		.amdhsa_group_segment_fixed_size 0
		.amdhsa_private_segment_fixed_size 0
		.amdhsa_kernarg_size 72
		.amdhsa_user_sgpr_count 6
		.amdhsa_user_sgpr_private_segment_buffer 1
		.amdhsa_user_sgpr_dispatch_ptr 0
		.amdhsa_user_sgpr_queue_ptr 0
		.amdhsa_user_sgpr_kernarg_segment_ptr 1
		.amdhsa_user_sgpr_dispatch_id 0
		.amdhsa_user_sgpr_flat_scratch_init 0
		.amdhsa_user_sgpr_private_segment_size 0
		.amdhsa_wavefront_size32 1
		.amdhsa_uses_dynamic_stack 0
		.amdhsa_system_sgpr_private_segment_wavefront_offset 0
		.amdhsa_system_sgpr_workgroup_id_x 1
		.amdhsa_system_sgpr_workgroup_id_y 0
		.amdhsa_system_sgpr_workgroup_id_z 0
		.amdhsa_system_sgpr_workgroup_info 0
		.amdhsa_system_vgpr_workitem_id 0
		.amdhsa_next_free_vgpr 40
		.amdhsa_next_free_sgpr 16
		.amdhsa_reserve_vcc 1
		.amdhsa_reserve_flat_scratch 0
		.amdhsa_float_round_mode_32 0
		.amdhsa_float_round_mode_16_64 0
		.amdhsa_float_denorm_mode_32 3
		.amdhsa_float_denorm_mode_16_64 3
		.amdhsa_dx10_clamp 1
		.amdhsa_ieee_mode 1
		.amdhsa_fp16_overflow 0
		.amdhsa_workgroup_processor_mode 1
		.amdhsa_memory_ordered 1
		.amdhsa_forward_progress 1
		.amdhsa_shared_vgpr_count 0
		.amdhsa_exception_fp_ieee_invalid_op 0
		.amdhsa_exception_fp_denorm_src 0
		.amdhsa_exception_fp_ieee_div_zero 0
		.amdhsa_exception_fp_ieee_overflow 0
		.amdhsa_exception_fp_ieee_underflow 0
		.amdhsa_exception_fp_ieee_inexact 0
		.amdhsa_exception_int_div_zero 0
	.end_amdhsa_kernel
	.section	.text._ZN9rocsparseL19gebsrmvn_2xn_kernelILj128ELj4ELj4E21rocsparse_complex_numIfEEEvi20rocsparse_direction_NS_24const_host_device_scalarIT2_EEPKiS8_PKS5_SA_S6_PS5_21rocsparse_index_base_b,"axG",@progbits,_ZN9rocsparseL19gebsrmvn_2xn_kernelILj128ELj4ELj4E21rocsparse_complex_numIfEEEvi20rocsparse_direction_NS_24const_host_device_scalarIT2_EEPKiS8_PKS5_SA_S6_PS5_21rocsparse_index_base_b,comdat
.Lfunc_end162:
	.size	_ZN9rocsparseL19gebsrmvn_2xn_kernelILj128ELj4ELj4E21rocsparse_complex_numIfEEEvi20rocsparse_direction_NS_24const_host_device_scalarIT2_EEPKiS8_PKS5_SA_S6_PS5_21rocsparse_index_base_b, .Lfunc_end162-_ZN9rocsparseL19gebsrmvn_2xn_kernelILj128ELj4ELj4E21rocsparse_complex_numIfEEEvi20rocsparse_direction_NS_24const_host_device_scalarIT2_EEPKiS8_PKS5_SA_S6_PS5_21rocsparse_index_base_b
                                        ; -- End function
	.set _ZN9rocsparseL19gebsrmvn_2xn_kernelILj128ELj4ELj4E21rocsparse_complex_numIfEEEvi20rocsparse_direction_NS_24const_host_device_scalarIT2_EEPKiS8_PKS5_SA_S6_PS5_21rocsparse_index_base_b.num_vgpr, 40
	.set _ZN9rocsparseL19gebsrmvn_2xn_kernelILj128ELj4ELj4E21rocsparse_complex_numIfEEEvi20rocsparse_direction_NS_24const_host_device_scalarIT2_EEPKiS8_PKS5_SA_S6_PS5_21rocsparse_index_base_b.num_agpr, 0
	.set _ZN9rocsparseL19gebsrmvn_2xn_kernelILj128ELj4ELj4E21rocsparse_complex_numIfEEEvi20rocsparse_direction_NS_24const_host_device_scalarIT2_EEPKiS8_PKS5_SA_S6_PS5_21rocsparse_index_base_b.numbered_sgpr, 16
	.set _ZN9rocsparseL19gebsrmvn_2xn_kernelILj128ELj4ELj4E21rocsparse_complex_numIfEEEvi20rocsparse_direction_NS_24const_host_device_scalarIT2_EEPKiS8_PKS5_SA_S6_PS5_21rocsparse_index_base_b.num_named_barrier, 0
	.set _ZN9rocsparseL19gebsrmvn_2xn_kernelILj128ELj4ELj4E21rocsparse_complex_numIfEEEvi20rocsparse_direction_NS_24const_host_device_scalarIT2_EEPKiS8_PKS5_SA_S6_PS5_21rocsparse_index_base_b.private_seg_size, 0
	.set _ZN9rocsparseL19gebsrmvn_2xn_kernelILj128ELj4ELj4E21rocsparse_complex_numIfEEEvi20rocsparse_direction_NS_24const_host_device_scalarIT2_EEPKiS8_PKS5_SA_S6_PS5_21rocsparse_index_base_b.uses_vcc, 1
	.set _ZN9rocsparseL19gebsrmvn_2xn_kernelILj128ELj4ELj4E21rocsparse_complex_numIfEEEvi20rocsparse_direction_NS_24const_host_device_scalarIT2_EEPKiS8_PKS5_SA_S6_PS5_21rocsparse_index_base_b.uses_flat_scratch, 0
	.set _ZN9rocsparseL19gebsrmvn_2xn_kernelILj128ELj4ELj4E21rocsparse_complex_numIfEEEvi20rocsparse_direction_NS_24const_host_device_scalarIT2_EEPKiS8_PKS5_SA_S6_PS5_21rocsparse_index_base_b.has_dyn_sized_stack, 0
	.set _ZN9rocsparseL19gebsrmvn_2xn_kernelILj128ELj4ELj4E21rocsparse_complex_numIfEEEvi20rocsparse_direction_NS_24const_host_device_scalarIT2_EEPKiS8_PKS5_SA_S6_PS5_21rocsparse_index_base_b.has_recursion, 0
	.set _ZN9rocsparseL19gebsrmvn_2xn_kernelILj128ELj4ELj4E21rocsparse_complex_numIfEEEvi20rocsparse_direction_NS_24const_host_device_scalarIT2_EEPKiS8_PKS5_SA_S6_PS5_21rocsparse_index_base_b.has_indirect_call, 0
	.section	.AMDGPU.csdata,"",@progbits
; Kernel info:
; codeLenInByte = 1548
; TotalNumSgprs: 18
; NumVgprs: 40
; ScratchSize: 0
; MemoryBound: 0
; FloatMode: 240
; IeeeMode: 1
; LDSByteSize: 0 bytes/workgroup (compile time only)
; SGPRBlocks: 0
; VGPRBlocks: 4
; NumSGPRsForWavesPerEU: 18
; NumVGPRsForWavesPerEU: 40
; Occupancy: 16
; WaveLimiterHint : 1
; COMPUTE_PGM_RSRC2:SCRATCH_EN: 0
; COMPUTE_PGM_RSRC2:USER_SGPR: 6
; COMPUTE_PGM_RSRC2:TRAP_HANDLER: 0
; COMPUTE_PGM_RSRC2:TGID_X_EN: 1
; COMPUTE_PGM_RSRC2:TGID_Y_EN: 0
; COMPUTE_PGM_RSRC2:TGID_Z_EN: 0
; COMPUTE_PGM_RSRC2:TIDIG_COMP_CNT: 0
	.section	.text._ZN9rocsparseL19gebsrmvn_2xn_kernelILj128ELj4ELj8E21rocsparse_complex_numIfEEEvi20rocsparse_direction_NS_24const_host_device_scalarIT2_EEPKiS8_PKS5_SA_S6_PS5_21rocsparse_index_base_b,"axG",@progbits,_ZN9rocsparseL19gebsrmvn_2xn_kernelILj128ELj4ELj8E21rocsparse_complex_numIfEEEvi20rocsparse_direction_NS_24const_host_device_scalarIT2_EEPKiS8_PKS5_SA_S6_PS5_21rocsparse_index_base_b,comdat
	.globl	_ZN9rocsparseL19gebsrmvn_2xn_kernelILj128ELj4ELj8E21rocsparse_complex_numIfEEEvi20rocsparse_direction_NS_24const_host_device_scalarIT2_EEPKiS8_PKS5_SA_S6_PS5_21rocsparse_index_base_b ; -- Begin function _ZN9rocsparseL19gebsrmvn_2xn_kernelILj128ELj4ELj8E21rocsparse_complex_numIfEEEvi20rocsparse_direction_NS_24const_host_device_scalarIT2_EEPKiS8_PKS5_SA_S6_PS5_21rocsparse_index_base_b
	.p2align	8
	.type	_ZN9rocsparseL19gebsrmvn_2xn_kernelILj128ELj4ELj8E21rocsparse_complex_numIfEEEvi20rocsparse_direction_NS_24const_host_device_scalarIT2_EEPKiS8_PKS5_SA_S6_PS5_21rocsparse_index_base_b,@function
_ZN9rocsparseL19gebsrmvn_2xn_kernelILj128ELj4ELj8E21rocsparse_complex_numIfEEEvi20rocsparse_direction_NS_24const_host_device_scalarIT2_EEPKiS8_PKS5_SA_S6_PS5_21rocsparse_index_base_b: ; @_ZN9rocsparseL19gebsrmvn_2xn_kernelILj128ELj4ELj8E21rocsparse_complex_numIfEEEvi20rocsparse_direction_NS_24const_host_device_scalarIT2_EEPKiS8_PKS5_SA_S6_PS5_21rocsparse_index_base_b
; %bb.0:
	s_clause 0x2
	s_load_dwordx2 s[2:3], s[4:5], 0x40
	s_load_dwordx2 s[0:1], s[4:5], 0x8
	;; [unrolled: 1-line block ×3, first 2 shown]
	s_add_u32 s7, s4, 8
	s_addc_u32 s10, s5, 0
	s_add_u32 s11, s4, 48
	s_addc_u32 s12, s5, 0
	s_waitcnt lgkmcnt(0)
	s_bitcmp1_b32 s3, 0
	s_cselect_b32 s0, s7, s0
	s_cselect_b32 s1, s10, s1
	v_mov_b32_e32 v1, s0
	v_mov_b32_e32 v2, s1
	s_cselect_b32 s0, s11, s8
	s_cselect_b32 s1, s12, s9
	v_mov_b32_e32 v3, s0
	v_mov_b32_e32 v4, s1
	flat_load_dwordx2 v[1:2], v[1:2]
	flat_load_dwordx2 v[3:4], v[3:4]
	s_waitcnt vmcnt(1) lgkmcnt(1)
	v_cmp_eq_f32_e32 vcc_lo, 0, v1
	v_cmp_eq_f32_e64 s0, 0, v2
	s_and_b32 s3, vcc_lo, s0
	s_mov_b32 s0, -1
	s_and_saveexec_b32 s1, s3
	s_cbranch_execz .LBB163_2
; %bb.1:
	s_waitcnt vmcnt(0) lgkmcnt(0)
	v_cmp_neq_f32_e32 vcc_lo, 1.0, v3
	v_cmp_neq_f32_e64 s0, 0, v4
	s_or_b32 s0, vcc_lo, s0
	s_orn2_b32 s0, s0, exec_lo
.LBB163_2:
	s_or_b32 exec_lo, exec_lo, s1
	s_and_saveexec_b32 s1, s0
	s_cbranch_execz .LBB163_21
; %bb.3:
	s_load_dwordx2 s[0:1], s[4:5], 0x0
	v_lshrrev_b32_e32 v5, 3, v0
	v_lshl_or_b32 v5, s6, 4, v5
	s_waitcnt lgkmcnt(0)
	v_cmp_gt_i32_e32 vcc_lo, s0, v5
	s_and_b32 exec_lo, exec_lo, vcc_lo
	s_cbranch_execz .LBB163_21
; %bb.4:
	s_load_dwordx8 s[8:15], s[4:5], 0x10
	v_ashrrev_i32_e32 v6, 31, v5
	v_and_b32_e32 v0, 7, v0
	s_cmp_lg_u32 s1, 0
	v_lshlrev_b64 v[6:7], 2, v[5:6]
	s_waitcnt lgkmcnt(0)
	v_add_co_u32 v6, vcc_lo, s8, v6
	v_add_co_ci_u32_e64 v7, null, s9, v7, vcc_lo
	global_load_dwordx2 v[6:7], v[6:7], off
	s_waitcnt vmcnt(0)
	v_subrev_nc_u32_e32 v6, s2, v6
	v_subrev_nc_u32_e32 v13, s2, v7
	v_add_nc_u32_e32 v6, v6, v0
	v_cmp_lt_i32_e64 s0, v6, v13
	s_cbranch_scc0 .LBB163_10
; %bb.5:
	v_mov_b32_e32 v11, 0
	v_mov_b32_e32 v14, 0
	;; [unrolled: 1-line block ×4, first 2 shown]
	s_and_saveexec_b32 s1, s0
	s_cbranch_execz .LBB163_9
; %bb.6:
	v_mov_b32_e32 v8, 0
	v_lshlrev_b32_e32 v7, 3, v6
	v_mov_b32_e32 v9, v6
	s_mov_b32 s3, 0
	v_mov_b32_e32 v11, v8
	v_mov_b32_e32 v14, v8
	;; [unrolled: 1-line block ×4, first 2 shown]
.LBB163_7:                              ; =>This Inner Loop Header: Depth=1
	v_ashrrev_i32_e32 v10, 31, v9
	v_mov_b32_e32 v21, v8
	v_lshlrev_b64 v[16:17], 2, v[9:10]
	v_add_nc_u32_e32 v9, 8, v9
	v_add_co_u32 v16, vcc_lo, s10, v16
	v_add_co_ci_u32_e64 v17, null, s11, v17, vcc_lo
	global_load_dword v10, v[16:17], off
	v_lshlrev_b64 v[16:17], 3, v[7:8]
	v_add_nc_u32_e32 v7, 64, v7
	v_add_co_u32 v36, vcc_lo, s12, v16
	v_add_co_ci_u32_e64 v37, null, s13, v17, vcc_lo
	global_load_dwordx4 v[16:19], v[36:37], off offset:16
	s_waitcnt vmcnt(1)
	v_subrev_nc_u32_e32 v10, s2, v10
	v_lshlrev_b32_e32 v20, 2, v10
	v_lshlrev_b64 v[20:21], 3, v[20:21]
	v_add_co_u32 v28, vcc_lo, s14, v20
	v_add_co_ci_u32_e64 v29, null, s15, v21, vcc_lo
	v_cmp_ge_i32_e32 vcc_lo, v9, v13
	global_load_dwordx4 v[20:23], v[36:37], off
	s_clause 0x1
	global_load_dwordx4 v[24:27], v[28:29], off
	global_load_dwordx4 v[28:31], v[28:29], off offset:16
	s_clause 0x1
	global_load_dwordx4 v[32:35], v[36:37], off offset:32
	global_load_dwordx4 v[36:39], v[36:37], off offset:48
	s_or_b32 s3, vcc_lo, s3
	s_waitcnt vmcnt(3)
	v_fmac_f32_e32 v14, v20, v24
	v_fmac_f32_e32 v11, v21, v24
	;; [unrolled: 1-line block ×4, first 2 shown]
	v_fma_f32 v10, -v21, v25, v14
	v_fmac_f32_e32 v11, v20, v25
	v_fma_f32 v14, -v23, v25, v15
	v_fmac_f32_e32 v12, v22, v25
	v_fmac_f32_e32 v10, v16, v26
	;; [unrolled: 1-line block ×5, first 2 shown]
	v_fma_f32 v10, -v17, v27, v10
	v_fmac_f32_e32 v11, v16, v27
	v_fma_f32 v14, -v19, v27, v14
	v_fmac_f32_e32 v12, v18, v27
	s_waitcnt vmcnt(1)
	v_fmac_f32_e32 v10, v32, v28
	v_fmac_f32_e32 v11, v33, v28
	;; [unrolled: 1-line block ×4, first 2 shown]
	v_fma_f32 v10, -v33, v29, v10
	v_fmac_f32_e32 v11, v32, v29
	v_fma_f32 v15, -v35, v29, v14
	v_fmac_f32_e32 v12, v34, v29
	s_waitcnt vmcnt(0)
	v_fmac_f32_e32 v10, v36, v30
	v_fmac_f32_e32 v11, v37, v30
	;; [unrolled: 1-line block ×4, first 2 shown]
	v_fma_f32 v14, -v37, v31, v10
	v_fmac_f32_e32 v11, v36, v31
	v_fma_f32 v15, -v39, v31, v15
	v_fmac_f32_e32 v12, v38, v31
	s_andn2_b32 exec_lo, exec_lo, s3
	s_cbranch_execnz .LBB163_7
; %bb.8:
	s_or_b32 exec_lo, exec_lo, s3
.LBB163_9:
	s_or_b32 exec_lo, exec_lo, s1
	s_cbranch_execz .LBB163_11
	s_branch .LBB163_16
.LBB163_10:
                                        ; implicit-def: $vgpr11
                                        ; implicit-def: $vgpr14
                                        ; implicit-def: $vgpr15
                                        ; implicit-def: $vgpr12
.LBB163_11:
	v_mov_b32_e32 v11, 0
	v_mov_b32_e32 v14, 0
	;; [unrolled: 1-line block ×4, first 2 shown]
	s_and_saveexec_b32 s1, s0
	s_cbranch_execz .LBB163_15
; %bb.12:
	v_mov_b32_e32 v9, 0
	v_lshlrev_b32_e32 v8, 3, v6
	s_mov_b32 s0, 0
	v_mov_b32_e32 v11, v9
	v_mov_b32_e32 v14, v9
	;; [unrolled: 1-line block ×4, first 2 shown]
.LBB163_13:                             ; =>This Inner Loop Header: Depth=1
	v_ashrrev_i32_e32 v7, 31, v6
	v_mov_b32_e32 v29, v9
	v_lshlrev_b64 v[16:17], 2, v[6:7]
	v_add_nc_u32_e32 v6, 8, v6
	v_add_co_u32 v16, vcc_lo, s10, v16
	v_add_co_ci_u32_e64 v17, null, s11, v17, vcc_lo
	global_load_dword v7, v[16:17], off
	v_lshlrev_b64 v[16:17], 3, v[8:9]
	v_add_nc_u32_e32 v8, 64, v8
	v_add_co_u32 v30, vcc_lo, s12, v16
	v_add_co_ci_u32_e64 v31, null, s13, v17, vcc_lo
	s_clause 0x2
	global_load_dwordx4 v[16:19], v[30:31], off offset:16
	global_load_dwordx4 v[20:23], v[30:31], off offset:48
	global_load_dwordx4 v[24:27], v[30:31], off offset:32
	s_waitcnt vmcnt(3)
	v_subrev_nc_u32_e32 v7, s2, v7
	v_lshlrev_b32_e32 v28, 2, v7
	v_lshlrev_b64 v[28:29], 3, v[28:29]
	v_add_co_u32 v36, vcc_lo, s14, v28
	v_add_co_ci_u32_e64 v37, null, s15, v29, vcc_lo
	v_cmp_ge_i32_e32 vcc_lo, v6, v13
	global_load_dwordx4 v[28:31], v[30:31], off
	s_clause 0x1
	global_load_dwordx4 v[32:35], v[36:37], off
	global_load_dwordx4 v[36:39], v[36:37], off offset:16
	s_or_b32 s0, vcc_lo, s0
	s_waitcnt vmcnt(1)
	v_fmac_f32_e32 v14, v28, v32
	v_fmac_f32_e32 v11, v29, v32
	;; [unrolled: 1-line block ×4, first 2 shown]
	v_fma_f32 v7, -v29, v33, v14
	v_fmac_f32_e32 v11, v28, v33
	v_fma_f32 v10, -v25, v33, v15
	v_fmac_f32_e32 v12, v24, v33
	v_fmac_f32_e32 v7, v30, v34
	;; [unrolled: 1-line block ×5, first 2 shown]
	v_fma_f32 v7, -v31, v35, v7
	v_fmac_f32_e32 v11, v30, v35
	v_fma_f32 v10, -v27, v35, v10
	v_fmac_f32_e32 v12, v26, v35
	s_waitcnt vmcnt(0)
	v_fmac_f32_e32 v7, v16, v36
	v_fmac_f32_e32 v11, v17, v36
	;; [unrolled: 1-line block ×4, first 2 shown]
	v_fma_f32 v7, -v17, v37, v7
	v_fmac_f32_e32 v11, v16, v37
	v_fma_f32 v10, -v21, v37, v10
	v_fmac_f32_e32 v12, v20, v37
	v_fmac_f32_e32 v7, v18, v38
	;; [unrolled: 1-line block ×5, first 2 shown]
	v_fma_f32 v14, -v19, v39, v7
	v_fmac_f32_e32 v11, v18, v39
	v_fma_f32 v15, -v23, v39, v10
	v_fmac_f32_e32 v12, v22, v39
	s_andn2_b32 exec_lo, exec_lo, s0
	s_cbranch_execnz .LBB163_13
; %bb.14:
	s_or_b32 exec_lo, exec_lo, s0
.LBB163_15:
	s_or_b32 exec_lo, exec_lo, s1
.LBB163_16:
	v_mbcnt_lo_u32_b32 v6, -1, 0
	v_xor_b32_e32 v7, 4, v6
	v_xor_b32_e32 v13, 2, v6
	v_cmp_gt_i32_e32 vcc_lo, 32, v7
	v_cndmask_b32_e32 v7, v6, v7, vcc_lo
	v_cmp_gt_i32_e32 vcc_lo, 32, v13
	v_lshlrev_b32_e32 v7, 2, v7
	v_cndmask_b32_e32 v13, v6, v13, vcc_lo
	ds_bpermute_b32 v8, v7, v14
	ds_bpermute_b32 v9, v7, v11
	;; [unrolled: 1-line block ×4, first 2 shown]
	v_lshlrev_b32_e32 v13, 2, v13
	s_waitcnt lgkmcnt(3)
	v_add_f32_e32 v8, v14, v8
	s_waitcnt lgkmcnt(2)
	v_add_f32_e32 v9, v11, v9
	;; [unrolled: 2-line block ×4, first 2 shown]
	v_xor_b32_e32 v15, 1, v6
	ds_bpermute_b32 v11, v13, v8
	ds_bpermute_b32 v12, v13, v9
	;; [unrolled: 1-line block ×4, first 2 shown]
	v_cmp_gt_i32_e32 vcc_lo, 32, v15
	v_cndmask_b32_e32 v6, v6, v15, vcc_lo
	v_cmp_eq_u32_e32 vcc_lo, 7, v0
	v_lshlrev_b32_e32 v15, 2, v6
	s_waitcnt lgkmcnt(3)
	v_add_f32_e32 v8, v8, v11
	s_waitcnt lgkmcnt(2)
	v_add_f32_e32 v9, v9, v12
	;; [unrolled: 2-line block ×4, first 2 shown]
	ds_bpermute_b32 v12, v15, v8
	ds_bpermute_b32 v13, v15, v9
	;; [unrolled: 1-line block ×4, first 2 shown]
	s_and_b32 exec_lo, exec_lo, vcc_lo
	s_cbranch_execz .LBB163_21
; %bb.17:
	s_load_dwordx2 s[2:3], s[4:5], 0x38
	v_cmp_eq_f32_e32 vcc_lo, 0, v3
	v_cmp_eq_f32_e64 s0, 0, v4
	s_waitcnt lgkmcnt(0)
	v_add_f32_e32 v0, v8, v12
	v_add_f32_e32 v8, v9, v13
	;; [unrolled: 1-line block ×4, first 2 shown]
	s_and_b32 s0, vcc_lo, s0
	s_and_saveexec_b32 s1, s0
	s_xor_b32 s0, exec_lo, s1
	s_cbranch_execz .LBB163_19
; %bb.18:
	v_lshlrev_b32_e32 v3, 1, v5
	v_mul_f32_e64 v9, v8, -v2
	v_mul_f32_e32 v10, v1, v8
	v_mul_f32_e64 v11, v7, -v2
	v_mul_f32_e32 v12, v1, v7
	v_ashrrev_i32_e32 v4, 31, v3
	v_fmac_f32_e32 v9, v1, v0
	v_fmac_f32_e32 v10, v2, v0
	;; [unrolled: 1-line block ×4, first 2 shown]
	v_lshlrev_b64 v[3:4], 3, v[3:4]
                                        ; implicit-def: $vgpr5
                                        ; implicit-def: $vgpr8
                                        ; implicit-def: $vgpr7
                                        ; implicit-def: $vgpr6
	v_add_co_u32 v0, vcc_lo, s2, v3
	v_add_co_ci_u32_e64 v1, null, s3, v4, vcc_lo
                                        ; implicit-def: $vgpr3_vgpr4
	global_store_dwordx4 v[0:1], v[9:12], off
                                        ; implicit-def: $vgpr1_vgpr2
                                        ; implicit-def: $vgpr0
.LBB163_19:
	s_andn2_saveexec_b32 s0, s0
	s_cbranch_execz .LBB163_21
; %bb.20:
	v_lshlrev_b32_e32 v9, 1, v5
	v_mul_f32_e64 v5, v8, -v2
	v_mul_f32_e32 v14, v1, v8
	v_mul_f32_e64 v8, v7, -v2
	v_mul_f32_e32 v16, v1, v7
	v_ashrrev_i32_e32 v10, 31, v9
	v_fmac_f32_e32 v5, v1, v0
	v_fmac_f32_e32 v14, v2, v0
	;; [unrolled: 1-line block ×4, first 2 shown]
	v_lshlrev_b64 v[9:10], 3, v[9:10]
	v_add_co_u32 v17, vcc_lo, s2, v9
	v_add_co_ci_u32_e64 v18, null, s3, v10, vcc_lo
	global_load_dwordx4 v[9:12], v[17:18], off
	s_waitcnt vmcnt(0)
	v_fmac_f32_e32 v5, v3, v9
	v_fmac_f32_e32 v14, v4, v9
	v_fmac_f32_e32 v8, v3, v11
	v_fmac_f32_e32 v16, v4, v11
	v_fma_f32 v13, -v4, v10, v5
	v_fmac_f32_e32 v14, v3, v10
	v_fma_f32 v15, -v4, v12, v8
	v_fmac_f32_e32 v16, v3, v12
	global_store_dwordx4 v[17:18], v[13:16], off
.LBB163_21:
	s_endpgm
	.section	.rodata,"a",@progbits
	.p2align	6, 0x0
	.amdhsa_kernel _ZN9rocsparseL19gebsrmvn_2xn_kernelILj128ELj4ELj8E21rocsparse_complex_numIfEEEvi20rocsparse_direction_NS_24const_host_device_scalarIT2_EEPKiS8_PKS5_SA_S6_PS5_21rocsparse_index_base_b
		.amdhsa_group_segment_fixed_size 0
		.amdhsa_private_segment_fixed_size 0
		.amdhsa_kernarg_size 72
		.amdhsa_user_sgpr_count 6
		.amdhsa_user_sgpr_private_segment_buffer 1
		.amdhsa_user_sgpr_dispatch_ptr 0
		.amdhsa_user_sgpr_queue_ptr 0
		.amdhsa_user_sgpr_kernarg_segment_ptr 1
		.amdhsa_user_sgpr_dispatch_id 0
		.amdhsa_user_sgpr_flat_scratch_init 0
		.amdhsa_user_sgpr_private_segment_size 0
		.amdhsa_wavefront_size32 1
		.amdhsa_uses_dynamic_stack 0
		.amdhsa_system_sgpr_private_segment_wavefront_offset 0
		.amdhsa_system_sgpr_workgroup_id_x 1
		.amdhsa_system_sgpr_workgroup_id_y 0
		.amdhsa_system_sgpr_workgroup_id_z 0
		.amdhsa_system_sgpr_workgroup_info 0
		.amdhsa_system_vgpr_workitem_id 0
		.amdhsa_next_free_vgpr 40
		.amdhsa_next_free_sgpr 16
		.amdhsa_reserve_vcc 1
		.amdhsa_reserve_flat_scratch 0
		.amdhsa_float_round_mode_32 0
		.amdhsa_float_round_mode_16_64 0
		.amdhsa_float_denorm_mode_32 3
		.amdhsa_float_denorm_mode_16_64 3
		.amdhsa_dx10_clamp 1
		.amdhsa_ieee_mode 1
		.amdhsa_fp16_overflow 0
		.amdhsa_workgroup_processor_mode 1
		.amdhsa_memory_ordered 1
		.amdhsa_forward_progress 1
		.amdhsa_shared_vgpr_count 0
		.amdhsa_exception_fp_ieee_invalid_op 0
		.amdhsa_exception_fp_denorm_src 0
		.amdhsa_exception_fp_ieee_div_zero 0
		.amdhsa_exception_fp_ieee_overflow 0
		.amdhsa_exception_fp_ieee_underflow 0
		.amdhsa_exception_fp_ieee_inexact 0
		.amdhsa_exception_int_div_zero 0
	.end_amdhsa_kernel
	.section	.text._ZN9rocsparseL19gebsrmvn_2xn_kernelILj128ELj4ELj8E21rocsparse_complex_numIfEEEvi20rocsparse_direction_NS_24const_host_device_scalarIT2_EEPKiS8_PKS5_SA_S6_PS5_21rocsparse_index_base_b,"axG",@progbits,_ZN9rocsparseL19gebsrmvn_2xn_kernelILj128ELj4ELj8E21rocsparse_complex_numIfEEEvi20rocsparse_direction_NS_24const_host_device_scalarIT2_EEPKiS8_PKS5_SA_S6_PS5_21rocsparse_index_base_b,comdat
.Lfunc_end163:
	.size	_ZN9rocsparseL19gebsrmvn_2xn_kernelILj128ELj4ELj8E21rocsparse_complex_numIfEEEvi20rocsparse_direction_NS_24const_host_device_scalarIT2_EEPKiS8_PKS5_SA_S6_PS5_21rocsparse_index_base_b, .Lfunc_end163-_ZN9rocsparseL19gebsrmvn_2xn_kernelILj128ELj4ELj8E21rocsparse_complex_numIfEEEvi20rocsparse_direction_NS_24const_host_device_scalarIT2_EEPKiS8_PKS5_SA_S6_PS5_21rocsparse_index_base_b
                                        ; -- End function
	.set _ZN9rocsparseL19gebsrmvn_2xn_kernelILj128ELj4ELj8E21rocsparse_complex_numIfEEEvi20rocsparse_direction_NS_24const_host_device_scalarIT2_EEPKiS8_PKS5_SA_S6_PS5_21rocsparse_index_base_b.num_vgpr, 40
	.set _ZN9rocsparseL19gebsrmvn_2xn_kernelILj128ELj4ELj8E21rocsparse_complex_numIfEEEvi20rocsparse_direction_NS_24const_host_device_scalarIT2_EEPKiS8_PKS5_SA_S6_PS5_21rocsparse_index_base_b.num_agpr, 0
	.set _ZN9rocsparseL19gebsrmvn_2xn_kernelILj128ELj4ELj8E21rocsparse_complex_numIfEEEvi20rocsparse_direction_NS_24const_host_device_scalarIT2_EEPKiS8_PKS5_SA_S6_PS5_21rocsparse_index_base_b.numbered_sgpr, 16
	.set _ZN9rocsparseL19gebsrmvn_2xn_kernelILj128ELj4ELj8E21rocsparse_complex_numIfEEEvi20rocsparse_direction_NS_24const_host_device_scalarIT2_EEPKiS8_PKS5_SA_S6_PS5_21rocsparse_index_base_b.num_named_barrier, 0
	.set _ZN9rocsparseL19gebsrmvn_2xn_kernelILj128ELj4ELj8E21rocsparse_complex_numIfEEEvi20rocsparse_direction_NS_24const_host_device_scalarIT2_EEPKiS8_PKS5_SA_S6_PS5_21rocsparse_index_base_b.private_seg_size, 0
	.set _ZN9rocsparseL19gebsrmvn_2xn_kernelILj128ELj4ELj8E21rocsparse_complex_numIfEEEvi20rocsparse_direction_NS_24const_host_device_scalarIT2_EEPKiS8_PKS5_SA_S6_PS5_21rocsparse_index_base_b.uses_vcc, 1
	.set _ZN9rocsparseL19gebsrmvn_2xn_kernelILj128ELj4ELj8E21rocsparse_complex_numIfEEEvi20rocsparse_direction_NS_24const_host_device_scalarIT2_EEPKiS8_PKS5_SA_S6_PS5_21rocsparse_index_base_b.uses_flat_scratch, 0
	.set _ZN9rocsparseL19gebsrmvn_2xn_kernelILj128ELj4ELj8E21rocsparse_complex_numIfEEEvi20rocsparse_direction_NS_24const_host_device_scalarIT2_EEPKiS8_PKS5_SA_S6_PS5_21rocsparse_index_base_b.has_dyn_sized_stack, 0
	.set _ZN9rocsparseL19gebsrmvn_2xn_kernelILj128ELj4ELj8E21rocsparse_complex_numIfEEEvi20rocsparse_direction_NS_24const_host_device_scalarIT2_EEPKiS8_PKS5_SA_S6_PS5_21rocsparse_index_base_b.has_recursion, 0
	.set _ZN9rocsparseL19gebsrmvn_2xn_kernelILj128ELj4ELj8E21rocsparse_complex_numIfEEEvi20rocsparse_direction_NS_24const_host_device_scalarIT2_EEPKiS8_PKS5_SA_S6_PS5_21rocsparse_index_base_b.has_indirect_call, 0
	.section	.AMDGPU.csdata,"",@progbits
; Kernel info:
; codeLenInByte = 1628
; TotalNumSgprs: 18
; NumVgprs: 40
; ScratchSize: 0
; MemoryBound: 0
; FloatMode: 240
; IeeeMode: 1
; LDSByteSize: 0 bytes/workgroup (compile time only)
; SGPRBlocks: 0
; VGPRBlocks: 4
; NumSGPRsForWavesPerEU: 18
; NumVGPRsForWavesPerEU: 40
; Occupancy: 16
; WaveLimiterHint : 1
; COMPUTE_PGM_RSRC2:SCRATCH_EN: 0
; COMPUTE_PGM_RSRC2:USER_SGPR: 6
; COMPUTE_PGM_RSRC2:TRAP_HANDLER: 0
; COMPUTE_PGM_RSRC2:TGID_X_EN: 1
; COMPUTE_PGM_RSRC2:TGID_Y_EN: 0
; COMPUTE_PGM_RSRC2:TGID_Z_EN: 0
; COMPUTE_PGM_RSRC2:TIDIG_COMP_CNT: 0
	.section	.text._ZN9rocsparseL19gebsrmvn_2xn_kernelILj128ELj4ELj16E21rocsparse_complex_numIfEEEvi20rocsparse_direction_NS_24const_host_device_scalarIT2_EEPKiS8_PKS5_SA_S6_PS5_21rocsparse_index_base_b,"axG",@progbits,_ZN9rocsparseL19gebsrmvn_2xn_kernelILj128ELj4ELj16E21rocsparse_complex_numIfEEEvi20rocsparse_direction_NS_24const_host_device_scalarIT2_EEPKiS8_PKS5_SA_S6_PS5_21rocsparse_index_base_b,comdat
	.globl	_ZN9rocsparseL19gebsrmvn_2xn_kernelILj128ELj4ELj16E21rocsparse_complex_numIfEEEvi20rocsparse_direction_NS_24const_host_device_scalarIT2_EEPKiS8_PKS5_SA_S6_PS5_21rocsparse_index_base_b ; -- Begin function _ZN9rocsparseL19gebsrmvn_2xn_kernelILj128ELj4ELj16E21rocsparse_complex_numIfEEEvi20rocsparse_direction_NS_24const_host_device_scalarIT2_EEPKiS8_PKS5_SA_S6_PS5_21rocsparse_index_base_b
	.p2align	8
	.type	_ZN9rocsparseL19gebsrmvn_2xn_kernelILj128ELj4ELj16E21rocsparse_complex_numIfEEEvi20rocsparse_direction_NS_24const_host_device_scalarIT2_EEPKiS8_PKS5_SA_S6_PS5_21rocsparse_index_base_b,@function
_ZN9rocsparseL19gebsrmvn_2xn_kernelILj128ELj4ELj16E21rocsparse_complex_numIfEEEvi20rocsparse_direction_NS_24const_host_device_scalarIT2_EEPKiS8_PKS5_SA_S6_PS5_21rocsparse_index_base_b: ; @_ZN9rocsparseL19gebsrmvn_2xn_kernelILj128ELj4ELj16E21rocsparse_complex_numIfEEEvi20rocsparse_direction_NS_24const_host_device_scalarIT2_EEPKiS8_PKS5_SA_S6_PS5_21rocsparse_index_base_b
; %bb.0:
	s_clause 0x2
	s_load_dwordx2 s[2:3], s[4:5], 0x40
	s_load_dwordx2 s[0:1], s[4:5], 0x8
	s_load_dwordx2 s[8:9], s[4:5], 0x30
	s_add_u32 s7, s4, 8
	s_addc_u32 s10, s5, 0
	s_add_u32 s11, s4, 48
	s_addc_u32 s12, s5, 0
	s_waitcnt lgkmcnt(0)
	s_bitcmp1_b32 s3, 0
	s_cselect_b32 s0, s7, s0
	s_cselect_b32 s1, s10, s1
	v_mov_b32_e32 v1, s0
	v_mov_b32_e32 v2, s1
	s_cselect_b32 s0, s11, s8
	s_cselect_b32 s1, s12, s9
	v_mov_b32_e32 v3, s0
	v_mov_b32_e32 v4, s1
	flat_load_dwordx2 v[1:2], v[1:2]
	flat_load_dwordx2 v[3:4], v[3:4]
	s_waitcnt vmcnt(1) lgkmcnt(1)
	v_cmp_eq_f32_e32 vcc_lo, 0, v1
	v_cmp_eq_f32_e64 s0, 0, v2
	s_and_b32 s3, vcc_lo, s0
	s_mov_b32 s0, -1
	s_and_saveexec_b32 s1, s3
	s_cbranch_execz .LBB164_2
; %bb.1:
	s_waitcnt vmcnt(0) lgkmcnt(0)
	v_cmp_neq_f32_e32 vcc_lo, 1.0, v3
	v_cmp_neq_f32_e64 s0, 0, v4
	s_or_b32 s0, vcc_lo, s0
	s_orn2_b32 s0, s0, exec_lo
.LBB164_2:
	s_or_b32 exec_lo, exec_lo, s1
	s_and_saveexec_b32 s1, s0
	s_cbranch_execz .LBB164_21
; %bb.3:
	s_load_dwordx2 s[0:1], s[4:5], 0x0
	v_lshrrev_b32_e32 v5, 4, v0
	v_lshl_or_b32 v5, s6, 3, v5
	s_waitcnt lgkmcnt(0)
	v_cmp_gt_i32_e32 vcc_lo, s0, v5
	s_and_b32 exec_lo, exec_lo, vcc_lo
	s_cbranch_execz .LBB164_21
; %bb.4:
	s_load_dwordx8 s[8:15], s[4:5], 0x10
	v_ashrrev_i32_e32 v6, 31, v5
	v_and_b32_e32 v0, 15, v0
	s_cmp_lg_u32 s1, 0
	v_lshlrev_b64 v[6:7], 2, v[5:6]
	s_waitcnt lgkmcnt(0)
	v_add_co_u32 v6, vcc_lo, s8, v6
	v_add_co_ci_u32_e64 v7, null, s9, v7, vcc_lo
	global_load_dwordx2 v[6:7], v[6:7], off
	s_waitcnt vmcnt(0)
	v_subrev_nc_u32_e32 v6, s2, v6
	v_subrev_nc_u32_e32 v13, s2, v7
	v_add_nc_u32_e32 v6, v6, v0
	v_cmp_lt_i32_e64 s0, v6, v13
	s_cbranch_scc0 .LBB164_10
; %bb.5:
	v_mov_b32_e32 v11, 0
	v_mov_b32_e32 v14, 0
	;; [unrolled: 1-line block ×4, first 2 shown]
	s_and_saveexec_b32 s1, s0
	s_cbranch_execz .LBB164_9
; %bb.6:
	v_mov_b32_e32 v8, 0
	v_lshlrev_b32_e32 v7, 3, v6
	v_mov_b32_e32 v9, v6
	s_mov_b32 s3, 0
	v_mov_b32_e32 v11, v8
	v_mov_b32_e32 v14, v8
	;; [unrolled: 1-line block ×4, first 2 shown]
.LBB164_7:                              ; =>This Inner Loop Header: Depth=1
	v_ashrrev_i32_e32 v10, 31, v9
	v_mov_b32_e32 v21, v8
	v_lshlrev_b64 v[16:17], 2, v[9:10]
	v_add_nc_u32_e32 v9, 16, v9
	v_add_co_u32 v16, vcc_lo, s10, v16
	v_add_co_ci_u32_e64 v17, null, s11, v17, vcc_lo
	global_load_dword v10, v[16:17], off
	v_lshlrev_b64 v[16:17], 3, v[7:8]
	v_add_nc_u32_e32 v7, 0x80, v7
	v_add_co_u32 v36, vcc_lo, s12, v16
	v_add_co_ci_u32_e64 v37, null, s13, v17, vcc_lo
	global_load_dwordx4 v[16:19], v[36:37], off offset:16
	s_waitcnt vmcnt(1)
	v_subrev_nc_u32_e32 v10, s2, v10
	v_lshlrev_b32_e32 v20, 2, v10
	v_lshlrev_b64 v[20:21], 3, v[20:21]
	v_add_co_u32 v28, vcc_lo, s14, v20
	v_add_co_ci_u32_e64 v29, null, s15, v21, vcc_lo
	v_cmp_ge_i32_e32 vcc_lo, v9, v13
	global_load_dwordx4 v[20:23], v[36:37], off
	s_clause 0x1
	global_load_dwordx4 v[24:27], v[28:29], off
	global_load_dwordx4 v[28:31], v[28:29], off offset:16
	s_clause 0x1
	global_load_dwordx4 v[32:35], v[36:37], off offset:32
	global_load_dwordx4 v[36:39], v[36:37], off offset:48
	s_or_b32 s3, vcc_lo, s3
	s_waitcnt vmcnt(3)
	v_fmac_f32_e32 v14, v20, v24
	v_fmac_f32_e32 v11, v21, v24
	;; [unrolled: 1-line block ×4, first 2 shown]
	v_fma_f32 v10, -v21, v25, v14
	v_fmac_f32_e32 v11, v20, v25
	v_fma_f32 v14, -v23, v25, v15
	v_fmac_f32_e32 v12, v22, v25
	v_fmac_f32_e32 v10, v16, v26
	;; [unrolled: 1-line block ×5, first 2 shown]
	v_fma_f32 v10, -v17, v27, v10
	v_fmac_f32_e32 v11, v16, v27
	v_fma_f32 v14, -v19, v27, v14
	v_fmac_f32_e32 v12, v18, v27
	s_waitcnt vmcnt(1)
	v_fmac_f32_e32 v10, v32, v28
	v_fmac_f32_e32 v11, v33, v28
	;; [unrolled: 1-line block ×4, first 2 shown]
	v_fma_f32 v10, -v33, v29, v10
	v_fmac_f32_e32 v11, v32, v29
	v_fma_f32 v15, -v35, v29, v14
	v_fmac_f32_e32 v12, v34, v29
	s_waitcnt vmcnt(0)
	v_fmac_f32_e32 v10, v36, v30
	v_fmac_f32_e32 v11, v37, v30
	;; [unrolled: 1-line block ×4, first 2 shown]
	v_fma_f32 v14, -v37, v31, v10
	v_fmac_f32_e32 v11, v36, v31
	v_fma_f32 v15, -v39, v31, v15
	v_fmac_f32_e32 v12, v38, v31
	s_andn2_b32 exec_lo, exec_lo, s3
	s_cbranch_execnz .LBB164_7
; %bb.8:
	s_or_b32 exec_lo, exec_lo, s3
.LBB164_9:
	s_or_b32 exec_lo, exec_lo, s1
	s_cbranch_execz .LBB164_11
	s_branch .LBB164_16
.LBB164_10:
                                        ; implicit-def: $vgpr11
                                        ; implicit-def: $vgpr14
                                        ; implicit-def: $vgpr15
                                        ; implicit-def: $vgpr12
.LBB164_11:
	v_mov_b32_e32 v11, 0
	v_mov_b32_e32 v14, 0
	v_mov_b32_e32 v15, 0
	v_mov_b32_e32 v12, 0
	s_and_saveexec_b32 s1, s0
	s_cbranch_execz .LBB164_15
; %bb.12:
	v_mov_b32_e32 v9, 0
	v_lshlrev_b32_e32 v8, 3, v6
	s_mov_b32 s0, 0
	v_mov_b32_e32 v11, v9
	v_mov_b32_e32 v14, v9
	;; [unrolled: 1-line block ×4, first 2 shown]
.LBB164_13:                             ; =>This Inner Loop Header: Depth=1
	v_ashrrev_i32_e32 v7, 31, v6
	v_mov_b32_e32 v29, v9
	v_lshlrev_b64 v[16:17], 2, v[6:7]
	v_add_nc_u32_e32 v6, 16, v6
	v_add_co_u32 v16, vcc_lo, s10, v16
	v_add_co_ci_u32_e64 v17, null, s11, v17, vcc_lo
	global_load_dword v7, v[16:17], off
	v_lshlrev_b64 v[16:17], 3, v[8:9]
	v_add_nc_u32_e32 v8, 0x80, v8
	v_add_co_u32 v30, vcc_lo, s12, v16
	v_add_co_ci_u32_e64 v31, null, s13, v17, vcc_lo
	s_clause 0x2
	global_load_dwordx4 v[16:19], v[30:31], off offset:16
	global_load_dwordx4 v[20:23], v[30:31], off offset:48
	;; [unrolled: 1-line block ×3, first 2 shown]
	s_waitcnt vmcnt(3)
	v_subrev_nc_u32_e32 v7, s2, v7
	v_lshlrev_b32_e32 v28, 2, v7
	v_lshlrev_b64 v[28:29], 3, v[28:29]
	v_add_co_u32 v36, vcc_lo, s14, v28
	v_add_co_ci_u32_e64 v37, null, s15, v29, vcc_lo
	v_cmp_ge_i32_e32 vcc_lo, v6, v13
	global_load_dwordx4 v[28:31], v[30:31], off
	s_clause 0x1
	global_load_dwordx4 v[32:35], v[36:37], off
	global_load_dwordx4 v[36:39], v[36:37], off offset:16
	s_or_b32 s0, vcc_lo, s0
	s_waitcnt vmcnt(1)
	v_fmac_f32_e32 v14, v28, v32
	v_fmac_f32_e32 v11, v29, v32
	v_fmac_f32_e32 v15, v24, v32
	v_fmac_f32_e32 v12, v25, v32
	v_fma_f32 v7, -v29, v33, v14
	v_fmac_f32_e32 v11, v28, v33
	v_fma_f32 v10, -v25, v33, v15
	v_fmac_f32_e32 v12, v24, v33
	v_fmac_f32_e32 v7, v30, v34
	;; [unrolled: 1-line block ×5, first 2 shown]
	v_fma_f32 v7, -v31, v35, v7
	v_fmac_f32_e32 v11, v30, v35
	v_fma_f32 v10, -v27, v35, v10
	v_fmac_f32_e32 v12, v26, v35
	s_waitcnt vmcnt(0)
	v_fmac_f32_e32 v7, v16, v36
	v_fmac_f32_e32 v11, v17, v36
	;; [unrolled: 1-line block ×4, first 2 shown]
	v_fma_f32 v7, -v17, v37, v7
	v_fmac_f32_e32 v11, v16, v37
	v_fma_f32 v10, -v21, v37, v10
	v_fmac_f32_e32 v12, v20, v37
	v_fmac_f32_e32 v7, v18, v38
	;; [unrolled: 1-line block ×5, first 2 shown]
	v_fma_f32 v14, -v19, v39, v7
	v_fmac_f32_e32 v11, v18, v39
	v_fma_f32 v15, -v23, v39, v10
	v_fmac_f32_e32 v12, v22, v39
	s_andn2_b32 exec_lo, exec_lo, s0
	s_cbranch_execnz .LBB164_13
; %bb.14:
	s_or_b32 exec_lo, exec_lo, s0
.LBB164_15:
	s_or_b32 exec_lo, exec_lo, s1
.LBB164_16:
	v_mbcnt_lo_u32_b32 v6, -1, 0
	v_xor_b32_e32 v7, 8, v6
	v_xor_b32_e32 v13, 4, v6
	v_cmp_gt_i32_e32 vcc_lo, 32, v7
	v_cndmask_b32_e32 v7, v6, v7, vcc_lo
	v_cmp_gt_i32_e32 vcc_lo, 32, v13
	v_lshlrev_b32_e32 v7, 2, v7
	v_cndmask_b32_e32 v13, v6, v13, vcc_lo
	ds_bpermute_b32 v8, v7, v14
	ds_bpermute_b32 v9, v7, v11
	;; [unrolled: 1-line block ×4, first 2 shown]
	v_lshlrev_b32_e32 v13, 2, v13
	s_waitcnt lgkmcnt(3)
	v_add_f32_e32 v8, v14, v8
	s_waitcnt lgkmcnt(2)
	v_add_f32_e32 v9, v11, v9
	;; [unrolled: 2-line block ×4, first 2 shown]
	v_xor_b32_e32 v15, 2, v6
	ds_bpermute_b32 v11, v13, v8
	ds_bpermute_b32 v12, v13, v9
	;; [unrolled: 1-line block ×4, first 2 shown]
	v_cmp_gt_i32_e32 vcc_lo, 32, v15
	v_cndmask_b32_e32 v15, v6, v15, vcc_lo
	v_lshlrev_b32_e32 v15, 2, v15
	s_waitcnt lgkmcnt(3)
	v_add_f32_e32 v8, v8, v11
	s_waitcnt lgkmcnt(2)
	v_add_f32_e32 v9, v9, v12
	;; [unrolled: 2-line block ×4, first 2 shown]
	ds_bpermute_b32 v11, v15, v8
	ds_bpermute_b32 v12, v15, v9
	;; [unrolled: 1-line block ×4, first 2 shown]
	v_xor_b32_e32 v15, 1, v6
	v_cmp_gt_i32_e32 vcc_lo, 32, v15
	v_cndmask_b32_e32 v6, v6, v15, vcc_lo
	v_cmp_eq_u32_e32 vcc_lo, 15, v0
	v_lshlrev_b32_e32 v15, 2, v6
	s_waitcnt lgkmcnt(3)
	v_add_f32_e32 v8, v8, v11
	s_waitcnt lgkmcnt(2)
	v_add_f32_e32 v9, v9, v12
	;; [unrolled: 2-line block ×4, first 2 shown]
	ds_bpermute_b32 v12, v15, v8
	ds_bpermute_b32 v13, v15, v9
	;; [unrolled: 1-line block ×4, first 2 shown]
	s_and_b32 exec_lo, exec_lo, vcc_lo
	s_cbranch_execz .LBB164_21
; %bb.17:
	s_load_dwordx2 s[2:3], s[4:5], 0x38
	v_cmp_eq_f32_e32 vcc_lo, 0, v3
	v_cmp_eq_f32_e64 s0, 0, v4
	s_waitcnt lgkmcnt(0)
	v_add_f32_e32 v0, v8, v12
	v_add_f32_e32 v8, v9, v13
	;; [unrolled: 1-line block ×4, first 2 shown]
	s_and_b32 s0, vcc_lo, s0
	s_and_saveexec_b32 s1, s0
	s_xor_b32 s0, exec_lo, s1
	s_cbranch_execz .LBB164_19
; %bb.18:
	v_lshlrev_b32_e32 v3, 1, v5
	v_mul_f32_e64 v9, v8, -v2
	v_mul_f32_e32 v10, v1, v8
	v_mul_f32_e64 v11, v7, -v2
	v_mul_f32_e32 v12, v1, v7
	v_ashrrev_i32_e32 v4, 31, v3
	v_fmac_f32_e32 v9, v1, v0
	v_fmac_f32_e32 v10, v2, v0
	v_fmac_f32_e32 v11, v1, v6
	v_fmac_f32_e32 v12, v2, v6
	v_lshlrev_b64 v[3:4], 3, v[3:4]
                                        ; implicit-def: $vgpr5
                                        ; implicit-def: $vgpr8
                                        ; implicit-def: $vgpr7
                                        ; implicit-def: $vgpr6
	v_add_co_u32 v0, vcc_lo, s2, v3
	v_add_co_ci_u32_e64 v1, null, s3, v4, vcc_lo
                                        ; implicit-def: $vgpr3_vgpr4
	global_store_dwordx4 v[0:1], v[9:12], off
                                        ; implicit-def: $vgpr1_vgpr2
                                        ; implicit-def: $vgpr0
.LBB164_19:
	s_andn2_saveexec_b32 s0, s0
	s_cbranch_execz .LBB164_21
; %bb.20:
	v_lshlrev_b32_e32 v9, 1, v5
	v_mul_f32_e64 v5, v8, -v2
	v_mul_f32_e32 v14, v1, v8
	v_mul_f32_e64 v8, v7, -v2
	v_mul_f32_e32 v16, v1, v7
	v_ashrrev_i32_e32 v10, 31, v9
	v_fmac_f32_e32 v5, v1, v0
	v_fmac_f32_e32 v14, v2, v0
	;; [unrolled: 1-line block ×4, first 2 shown]
	v_lshlrev_b64 v[9:10], 3, v[9:10]
	v_add_co_u32 v17, vcc_lo, s2, v9
	v_add_co_ci_u32_e64 v18, null, s3, v10, vcc_lo
	global_load_dwordx4 v[9:12], v[17:18], off
	s_waitcnt vmcnt(0)
	v_fmac_f32_e32 v5, v3, v9
	v_fmac_f32_e32 v14, v4, v9
	;; [unrolled: 1-line block ×4, first 2 shown]
	v_fma_f32 v13, -v4, v10, v5
	v_fmac_f32_e32 v14, v3, v10
	v_fma_f32 v15, -v4, v12, v8
	v_fmac_f32_e32 v16, v3, v12
	global_store_dwordx4 v[17:18], v[13:16], off
.LBB164_21:
	s_endpgm
	.section	.rodata,"a",@progbits
	.p2align	6, 0x0
	.amdhsa_kernel _ZN9rocsparseL19gebsrmvn_2xn_kernelILj128ELj4ELj16E21rocsparse_complex_numIfEEEvi20rocsparse_direction_NS_24const_host_device_scalarIT2_EEPKiS8_PKS5_SA_S6_PS5_21rocsparse_index_base_b
		.amdhsa_group_segment_fixed_size 0
		.amdhsa_private_segment_fixed_size 0
		.amdhsa_kernarg_size 72
		.amdhsa_user_sgpr_count 6
		.amdhsa_user_sgpr_private_segment_buffer 1
		.amdhsa_user_sgpr_dispatch_ptr 0
		.amdhsa_user_sgpr_queue_ptr 0
		.amdhsa_user_sgpr_kernarg_segment_ptr 1
		.amdhsa_user_sgpr_dispatch_id 0
		.amdhsa_user_sgpr_flat_scratch_init 0
		.amdhsa_user_sgpr_private_segment_size 0
		.amdhsa_wavefront_size32 1
		.amdhsa_uses_dynamic_stack 0
		.amdhsa_system_sgpr_private_segment_wavefront_offset 0
		.amdhsa_system_sgpr_workgroup_id_x 1
		.amdhsa_system_sgpr_workgroup_id_y 0
		.amdhsa_system_sgpr_workgroup_id_z 0
		.amdhsa_system_sgpr_workgroup_info 0
		.amdhsa_system_vgpr_workitem_id 0
		.amdhsa_next_free_vgpr 40
		.amdhsa_next_free_sgpr 16
		.amdhsa_reserve_vcc 1
		.amdhsa_reserve_flat_scratch 0
		.amdhsa_float_round_mode_32 0
		.amdhsa_float_round_mode_16_64 0
		.amdhsa_float_denorm_mode_32 3
		.amdhsa_float_denorm_mode_16_64 3
		.amdhsa_dx10_clamp 1
		.amdhsa_ieee_mode 1
		.amdhsa_fp16_overflow 0
		.amdhsa_workgroup_processor_mode 1
		.amdhsa_memory_ordered 1
		.amdhsa_forward_progress 1
		.amdhsa_shared_vgpr_count 0
		.amdhsa_exception_fp_ieee_invalid_op 0
		.amdhsa_exception_fp_denorm_src 0
		.amdhsa_exception_fp_ieee_div_zero 0
		.amdhsa_exception_fp_ieee_overflow 0
		.amdhsa_exception_fp_ieee_underflow 0
		.amdhsa_exception_fp_ieee_inexact 0
		.amdhsa_exception_int_div_zero 0
	.end_amdhsa_kernel
	.section	.text._ZN9rocsparseL19gebsrmvn_2xn_kernelILj128ELj4ELj16E21rocsparse_complex_numIfEEEvi20rocsparse_direction_NS_24const_host_device_scalarIT2_EEPKiS8_PKS5_SA_S6_PS5_21rocsparse_index_base_b,"axG",@progbits,_ZN9rocsparseL19gebsrmvn_2xn_kernelILj128ELj4ELj16E21rocsparse_complex_numIfEEEvi20rocsparse_direction_NS_24const_host_device_scalarIT2_EEPKiS8_PKS5_SA_S6_PS5_21rocsparse_index_base_b,comdat
.Lfunc_end164:
	.size	_ZN9rocsparseL19gebsrmvn_2xn_kernelILj128ELj4ELj16E21rocsparse_complex_numIfEEEvi20rocsparse_direction_NS_24const_host_device_scalarIT2_EEPKiS8_PKS5_SA_S6_PS5_21rocsparse_index_base_b, .Lfunc_end164-_ZN9rocsparseL19gebsrmvn_2xn_kernelILj128ELj4ELj16E21rocsparse_complex_numIfEEEvi20rocsparse_direction_NS_24const_host_device_scalarIT2_EEPKiS8_PKS5_SA_S6_PS5_21rocsparse_index_base_b
                                        ; -- End function
	.set _ZN9rocsparseL19gebsrmvn_2xn_kernelILj128ELj4ELj16E21rocsparse_complex_numIfEEEvi20rocsparse_direction_NS_24const_host_device_scalarIT2_EEPKiS8_PKS5_SA_S6_PS5_21rocsparse_index_base_b.num_vgpr, 40
	.set _ZN9rocsparseL19gebsrmvn_2xn_kernelILj128ELj4ELj16E21rocsparse_complex_numIfEEEvi20rocsparse_direction_NS_24const_host_device_scalarIT2_EEPKiS8_PKS5_SA_S6_PS5_21rocsparse_index_base_b.num_agpr, 0
	.set _ZN9rocsparseL19gebsrmvn_2xn_kernelILj128ELj4ELj16E21rocsparse_complex_numIfEEEvi20rocsparse_direction_NS_24const_host_device_scalarIT2_EEPKiS8_PKS5_SA_S6_PS5_21rocsparse_index_base_b.numbered_sgpr, 16
	.set _ZN9rocsparseL19gebsrmvn_2xn_kernelILj128ELj4ELj16E21rocsparse_complex_numIfEEEvi20rocsparse_direction_NS_24const_host_device_scalarIT2_EEPKiS8_PKS5_SA_S6_PS5_21rocsparse_index_base_b.num_named_barrier, 0
	.set _ZN9rocsparseL19gebsrmvn_2xn_kernelILj128ELj4ELj16E21rocsparse_complex_numIfEEEvi20rocsparse_direction_NS_24const_host_device_scalarIT2_EEPKiS8_PKS5_SA_S6_PS5_21rocsparse_index_base_b.private_seg_size, 0
	.set _ZN9rocsparseL19gebsrmvn_2xn_kernelILj128ELj4ELj16E21rocsparse_complex_numIfEEEvi20rocsparse_direction_NS_24const_host_device_scalarIT2_EEPKiS8_PKS5_SA_S6_PS5_21rocsparse_index_base_b.uses_vcc, 1
	.set _ZN9rocsparseL19gebsrmvn_2xn_kernelILj128ELj4ELj16E21rocsparse_complex_numIfEEEvi20rocsparse_direction_NS_24const_host_device_scalarIT2_EEPKiS8_PKS5_SA_S6_PS5_21rocsparse_index_base_b.uses_flat_scratch, 0
	.set _ZN9rocsparseL19gebsrmvn_2xn_kernelILj128ELj4ELj16E21rocsparse_complex_numIfEEEvi20rocsparse_direction_NS_24const_host_device_scalarIT2_EEPKiS8_PKS5_SA_S6_PS5_21rocsparse_index_base_b.has_dyn_sized_stack, 0
	.set _ZN9rocsparseL19gebsrmvn_2xn_kernelILj128ELj4ELj16E21rocsparse_complex_numIfEEEvi20rocsparse_direction_NS_24const_host_device_scalarIT2_EEPKiS8_PKS5_SA_S6_PS5_21rocsparse_index_base_b.has_recursion, 0
	.set _ZN9rocsparseL19gebsrmvn_2xn_kernelILj128ELj4ELj16E21rocsparse_complex_numIfEEEvi20rocsparse_direction_NS_24const_host_device_scalarIT2_EEPKiS8_PKS5_SA_S6_PS5_21rocsparse_index_base_b.has_indirect_call, 0
	.section	.AMDGPU.csdata,"",@progbits
; Kernel info:
; codeLenInByte = 1716
; TotalNumSgprs: 18
; NumVgprs: 40
; ScratchSize: 0
; MemoryBound: 0
; FloatMode: 240
; IeeeMode: 1
; LDSByteSize: 0 bytes/workgroup (compile time only)
; SGPRBlocks: 0
; VGPRBlocks: 4
; NumSGPRsForWavesPerEU: 18
; NumVGPRsForWavesPerEU: 40
; Occupancy: 16
; WaveLimiterHint : 1
; COMPUTE_PGM_RSRC2:SCRATCH_EN: 0
; COMPUTE_PGM_RSRC2:USER_SGPR: 6
; COMPUTE_PGM_RSRC2:TRAP_HANDLER: 0
; COMPUTE_PGM_RSRC2:TGID_X_EN: 1
; COMPUTE_PGM_RSRC2:TGID_Y_EN: 0
; COMPUTE_PGM_RSRC2:TGID_Z_EN: 0
; COMPUTE_PGM_RSRC2:TIDIG_COMP_CNT: 0
	.section	.text._ZN9rocsparseL19gebsrmvn_2xn_kernelILj128ELj4ELj32E21rocsparse_complex_numIfEEEvi20rocsparse_direction_NS_24const_host_device_scalarIT2_EEPKiS8_PKS5_SA_S6_PS5_21rocsparse_index_base_b,"axG",@progbits,_ZN9rocsparseL19gebsrmvn_2xn_kernelILj128ELj4ELj32E21rocsparse_complex_numIfEEEvi20rocsparse_direction_NS_24const_host_device_scalarIT2_EEPKiS8_PKS5_SA_S6_PS5_21rocsparse_index_base_b,comdat
	.globl	_ZN9rocsparseL19gebsrmvn_2xn_kernelILj128ELj4ELj32E21rocsparse_complex_numIfEEEvi20rocsparse_direction_NS_24const_host_device_scalarIT2_EEPKiS8_PKS5_SA_S6_PS5_21rocsparse_index_base_b ; -- Begin function _ZN9rocsparseL19gebsrmvn_2xn_kernelILj128ELj4ELj32E21rocsparse_complex_numIfEEEvi20rocsparse_direction_NS_24const_host_device_scalarIT2_EEPKiS8_PKS5_SA_S6_PS5_21rocsparse_index_base_b
	.p2align	8
	.type	_ZN9rocsparseL19gebsrmvn_2xn_kernelILj128ELj4ELj32E21rocsparse_complex_numIfEEEvi20rocsparse_direction_NS_24const_host_device_scalarIT2_EEPKiS8_PKS5_SA_S6_PS5_21rocsparse_index_base_b,@function
_ZN9rocsparseL19gebsrmvn_2xn_kernelILj128ELj4ELj32E21rocsparse_complex_numIfEEEvi20rocsparse_direction_NS_24const_host_device_scalarIT2_EEPKiS8_PKS5_SA_S6_PS5_21rocsparse_index_base_b: ; @_ZN9rocsparseL19gebsrmvn_2xn_kernelILj128ELj4ELj32E21rocsparse_complex_numIfEEEvi20rocsparse_direction_NS_24const_host_device_scalarIT2_EEPKiS8_PKS5_SA_S6_PS5_21rocsparse_index_base_b
; %bb.0:
	s_clause 0x2
	s_load_dwordx2 s[2:3], s[4:5], 0x40
	s_load_dwordx2 s[0:1], s[4:5], 0x8
	;; [unrolled: 1-line block ×3, first 2 shown]
	s_add_u32 s7, s4, 8
	s_addc_u32 s10, s5, 0
	s_add_u32 s11, s4, 48
	s_addc_u32 s12, s5, 0
	s_waitcnt lgkmcnt(0)
	s_bitcmp1_b32 s3, 0
	s_cselect_b32 s0, s7, s0
	s_cselect_b32 s1, s10, s1
	v_mov_b32_e32 v1, s0
	v_mov_b32_e32 v2, s1
	s_cselect_b32 s0, s11, s8
	s_cselect_b32 s1, s12, s9
	v_mov_b32_e32 v3, s0
	v_mov_b32_e32 v4, s1
	flat_load_dwordx2 v[1:2], v[1:2]
	flat_load_dwordx2 v[3:4], v[3:4]
	s_waitcnt vmcnt(1) lgkmcnt(1)
	v_cmp_eq_f32_e32 vcc_lo, 0, v1
	v_cmp_eq_f32_e64 s0, 0, v2
	s_and_b32 s3, vcc_lo, s0
	s_mov_b32 s0, -1
	s_and_saveexec_b32 s1, s3
	s_cbranch_execz .LBB165_2
; %bb.1:
	s_waitcnt vmcnt(0) lgkmcnt(0)
	v_cmp_neq_f32_e32 vcc_lo, 1.0, v3
	v_cmp_neq_f32_e64 s0, 0, v4
	s_or_b32 s0, vcc_lo, s0
	s_orn2_b32 s0, s0, exec_lo
.LBB165_2:
	s_or_b32 exec_lo, exec_lo, s1
	s_and_saveexec_b32 s1, s0
	s_cbranch_execz .LBB165_21
; %bb.3:
	s_load_dwordx2 s[0:1], s[4:5], 0x0
	v_lshrrev_b32_e32 v5, 5, v0
	v_lshl_or_b32 v5, s6, 2, v5
	s_waitcnt lgkmcnt(0)
	v_cmp_gt_i32_e32 vcc_lo, s0, v5
	s_and_b32 exec_lo, exec_lo, vcc_lo
	s_cbranch_execz .LBB165_21
; %bb.4:
	s_load_dwordx8 s[8:15], s[4:5], 0x10
	v_ashrrev_i32_e32 v6, 31, v5
	v_and_b32_e32 v0, 31, v0
	s_cmp_lg_u32 s1, 0
	v_lshlrev_b64 v[6:7], 2, v[5:6]
	s_waitcnt lgkmcnt(0)
	v_add_co_u32 v6, vcc_lo, s8, v6
	v_add_co_ci_u32_e64 v7, null, s9, v7, vcc_lo
	global_load_dwordx2 v[6:7], v[6:7], off
	s_waitcnt vmcnt(0)
	v_subrev_nc_u32_e32 v6, s2, v6
	v_subrev_nc_u32_e32 v13, s2, v7
	v_add_nc_u32_e32 v6, v6, v0
	v_cmp_lt_i32_e64 s0, v6, v13
	s_cbranch_scc0 .LBB165_10
; %bb.5:
	v_mov_b32_e32 v11, 0
	v_mov_b32_e32 v14, 0
	;; [unrolled: 1-line block ×4, first 2 shown]
	s_and_saveexec_b32 s1, s0
	s_cbranch_execz .LBB165_9
; %bb.6:
	v_mov_b32_e32 v8, 0
	v_lshlrev_b32_e32 v7, 3, v6
	v_mov_b32_e32 v9, v6
	s_mov_b32 s3, 0
	v_mov_b32_e32 v11, v8
	v_mov_b32_e32 v14, v8
	;; [unrolled: 1-line block ×4, first 2 shown]
.LBB165_7:                              ; =>This Inner Loop Header: Depth=1
	v_ashrrev_i32_e32 v10, 31, v9
	v_mov_b32_e32 v21, v8
	v_lshlrev_b64 v[16:17], 2, v[9:10]
	v_add_nc_u32_e32 v9, 32, v9
	v_add_co_u32 v16, vcc_lo, s10, v16
	v_add_co_ci_u32_e64 v17, null, s11, v17, vcc_lo
	global_load_dword v10, v[16:17], off
	v_lshlrev_b64 v[16:17], 3, v[7:8]
	v_add_nc_u32_e32 v7, 0x100, v7
	v_add_co_u32 v36, vcc_lo, s12, v16
	v_add_co_ci_u32_e64 v37, null, s13, v17, vcc_lo
	global_load_dwordx4 v[16:19], v[36:37], off offset:16
	s_waitcnt vmcnt(1)
	v_subrev_nc_u32_e32 v10, s2, v10
	v_lshlrev_b32_e32 v20, 2, v10
	v_lshlrev_b64 v[20:21], 3, v[20:21]
	v_add_co_u32 v28, vcc_lo, s14, v20
	v_add_co_ci_u32_e64 v29, null, s15, v21, vcc_lo
	v_cmp_ge_i32_e32 vcc_lo, v9, v13
	global_load_dwordx4 v[20:23], v[36:37], off
	s_clause 0x1
	global_load_dwordx4 v[24:27], v[28:29], off
	global_load_dwordx4 v[28:31], v[28:29], off offset:16
	s_clause 0x1
	global_load_dwordx4 v[32:35], v[36:37], off offset:32
	global_load_dwordx4 v[36:39], v[36:37], off offset:48
	s_or_b32 s3, vcc_lo, s3
	s_waitcnt vmcnt(3)
	v_fmac_f32_e32 v14, v20, v24
	v_fmac_f32_e32 v11, v21, v24
	;; [unrolled: 1-line block ×4, first 2 shown]
	v_fma_f32 v10, -v21, v25, v14
	v_fmac_f32_e32 v11, v20, v25
	v_fma_f32 v14, -v23, v25, v15
	v_fmac_f32_e32 v12, v22, v25
	v_fmac_f32_e32 v10, v16, v26
	;; [unrolled: 1-line block ×5, first 2 shown]
	v_fma_f32 v10, -v17, v27, v10
	v_fmac_f32_e32 v11, v16, v27
	v_fma_f32 v14, -v19, v27, v14
	v_fmac_f32_e32 v12, v18, v27
	s_waitcnt vmcnt(1)
	v_fmac_f32_e32 v10, v32, v28
	v_fmac_f32_e32 v11, v33, v28
	;; [unrolled: 1-line block ×4, first 2 shown]
	v_fma_f32 v10, -v33, v29, v10
	v_fmac_f32_e32 v11, v32, v29
	v_fma_f32 v15, -v35, v29, v14
	v_fmac_f32_e32 v12, v34, v29
	s_waitcnt vmcnt(0)
	v_fmac_f32_e32 v10, v36, v30
	v_fmac_f32_e32 v11, v37, v30
	;; [unrolled: 1-line block ×4, first 2 shown]
	v_fma_f32 v14, -v37, v31, v10
	v_fmac_f32_e32 v11, v36, v31
	v_fma_f32 v15, -v39, v31, v15
	v_fmac_f32_e32 v12, v38, v31
	s_andn2_b32 exec_lo, exec_lo, s3
	s_cbranch_execnz .LBB165_7
; %bb.8:
	s_or_b32 exec_lo, exec_lo, s3
.LBB165_9:
	s_or_b32 exec_lo, exec_lo, s1
	s_cbranch_execz .LBB165_11
	s_branch .LBB165_16
.LBB165_10:
                                        ; implicit-def: $vgpr11
                                        ; implicit-def: $vgpr14
                                        ; implicit-def: $vgpr15
                                        ; implicit-def: $vgpr12
.LBB165_11:
	v_mov_b32_e32 v11, 0
	v_mov_b32_e32 v14, 0
	;; [unrolled: 1-line block ×4, first 2 shown]
	s_and_saveexec_b32 s1, s0
	s_cbranch_execz .LBB165_15
; %bb.12:
	v_mov_b32_e32 v9, 0
	v_lshlrev_b32_e32 v8, 3, v6
	s_mov_b32 s0, 0
	v_mov_b32_e32 v11, v9
	v_mov_b32_e32 v14, v9
	v_mov_b32_e32 v15, v9
	v_mov_b32_e32 v12, v9
.LBB165_13:                             ; =>This Inner Loop Header: Depth=1
	v_ashrrev_i32_e32 v7, 31, v6
	v_mov_b32_e32 v29, v9
	v_lshlrev_b64 v[16:17], 2, v[6:7]
	v_add_nc_u32_e32 v6, 32, v6
	v_add_co_u32 v16, vcc_lo, s10, v16
	v_add_co_ci_u32_e64 v17, null, s11, v17, vcc_lo
	global_load_dword v7, v[16:17], off
	v_lshlrev_b64 v[16:17], 3, v[8:9]
	v_add_nc_u32_e32 v8, 0x100, v8
	v_add_co_u32 v30, vcc_lo, s12, v16
	v_add_co_ci_u32_e64 v31, null, s13, v17, vcc_lo
	s_clause 0x2
	global_load_dwordx4 v[16:19], v[30:31], off offset:16
	global_load_dwordx4 v[20:23], v[30:31], off offset:48
	;; [unrolled: 1-line block ×3, first 2 shown]
	s_waitcnt vmcnt(3)
	v_subrev_nc_u32_e32 v7, s2, v7
	v_lshlrev_b32_e32 v28, 2, v7
	v_lshlrev_b64 v[28:29], 3, v[28:29]
	v_add_co_u32 v36, vcc_lo, s14, v28
	v_add_co_ci_u32_e64 v37, null, s15, v29, vcc_lo
	v_cmp_ge_i32_e32 vcc_lo, v6, v13
	global_load_dwordx4 v[28:31], v[30:31], off
	s_clause 0x1
	global_load_dwordx4 v[32:35], v[36:37], off
	global_load_dwordx4 v[36:39], v[36:37], off offset:16
	s_or_b32 s0, vcc_lo, s0
	s_waitcnt vmcnt(1)
	v_fmac_f32_e32 v14, v28, v32
	v_fmac_f32_e32 v11, v29, v32
	v_fmac_f32_e32 v15, v24, v32
	v_fmac_f32_e32 v12, v25, v32
	v_fma_f32 v7, -v29, v33, v14
	v_fmac_f32_e32 v11, v28, v33
	v_fma_f32 v10, -v25, v33, v15
	v_fmac_f32_e32 v12, v24, v33
	v_fmac_f32_e32 v7, v30, v34
	;; [unrolled: 1-line block ×5, first 2 shown]
	v_fma_f32 v7, -v31, v35, v7
	v_fmac_f32_e32 v11, v30, v35
	v_fma_f32 v10, -v27, v35, v10
	v_fmac_f32_e32 v12, v26, v35
	s_waitcnt vmcnt(0)
	v_fmac_f32_e32 v7, v16, v36
	v_fmac_f32_e32 v11, v17, v36
	;; [unrolled: 1-line block ×4, first 2 shown]
	v_fma_f32 v7, -v17, v37, v7
	v_fmac_f32_e32 v11, v16, v37
	v_fma_f32 v10, -v21, v37, v10
	v_fmac_f32_e32 v12, v20, v37
	v_fmac_f32_e32 v7, v18, v38
	;; [unrolled: 1-line block ×5, first 2 shown]
	v_fma_f32 v14, -v19, v39, v7
	v_fmac_f32_e32 v11, v18, v39
	v_fma_f32 v15, -v23, v39, v10
	v_fmac_f32_e32 v12, v22, v39
	s_andn2_b32 exec_lo, exec_lo, s0
	s_cbranch_execnz .LBB165_13
; %bb.14:
	s_or_b32 exec_lo, exec_lo, s0
.LBB165_15:
	s_or_b32 exec_lo, exec_lo, s1
.LBB165_16:
	v_mbcnt_lo_u32_b32 v6, -1, 0
	v_xor_b32_e32 v7, 16, v6
	v_xor_b32_e32 v13, 8, v6
	v_cmp_gt_i32_e32 vcc_lo, 32, v7
	v_cndmask_b32_e32 v7, v6, v7, vcc_lo
	v_cmp_gt_i32_e32 vcc_lo, 32, v13
	v_lshlrev_b32_e32 v7, 2, v7
	v_cndmask_b32_e32 v13, v6, v13, vcc_lo
	ds_bpermute_b32 v8, v7, v14
	ds_bpermute_b32 v9, v7, v11
	;; [unrolled: 1-line block ×4, first 2 shown]
	v_lshlrev_b32_e32 v13, 2, v13
	s_waitcnt lgkmcnt(3)
	v_add_f32_e32 v8, v14, v8
	s_waitcnt lgkmcnt(2)
	v_add_f32_e32 v9, v11, v9
	;; [unrolled: 2-line block ×4, first 2 shown]
	v_xor_b32_e32 v15, 4, v6
	ds_bpermute_b32 v11, v13, v8
	ds_bpermute_b32 v12, v13, v9
	;; [unrolled: 1-line block ×4, first 2 shown]
	v_cmp_gt_i32_e32 vcc_lo, 32, v15
	v_cndmask_b32_e32 v15, v6, v15, vcc_lo
	v_lshlrev_b32_e32 v15, 2, v15
	s_waitcnt lgkmcnt(3)
	v_add_f32_e32 v8, v8, v11
	s_waitcnt lgkmcnt(2)
	v_add_f32_e32 v9, v9, v12
	;; [unrolled: 2-line block ×4, first 2 shown]
	ds_bpermute_b32 v11, v15, v8
	ds_bpermute_b32 v12, v15, v9
	;; [unrolled: 1-line block ×4, first 2 shown]
	v_xor_b32_e32 v15, 2, v6
	v_cmp_gt_i32_e32 vcc_lo, 32, v15
	v_cndmask_b32_e32 v15, v6, v15, vcc_lo
	v_lshlrev_b32_e32 v15, 2, v15
	s_waitcnt lgkmcnt(3)
	v_add_f32_e32 v8, v8, v11
	s_waitcnt lgkmcnt(2)
	v_add_f32_e32 v9, v9, v12
	;; [unrolled: 2-line block ×4, first 2 shown]
	ds_bpermute_b32 v11, v15, v8
	ds_bpermute_b32 v12, v15, v9
	;; [unrolled: 1-line block ×4, first 2 shown]
	v_xor_b32_e32 v15, 1, v6
	v_cmp_gt_i32_e32 vcc_lo, 32, v15
	v_cndmask_b32_e32 v6, v6, v15, vcc_lo
	v_cmp_eq_u32_e32 vcc_lo, 31, v0
	v_lshlrev_b32_e32 v15, 2, v6
	s_waitcnt lgkmcnt(3)
	v_add_f32_e32 v8, v8, v11
	s_waitcnt lgkmcnt(2)
	v_add_f32_e32 v9, v9, v12
	s_waitcnt lgkmcnt(1)
	v_add_f32_e32 v6, v10, v13
	s_waitcnt lgkmcnt(0)
	v_add_f32_e32 v7, v7, v14
	ds_bpermute_b32 v12, v15, v8
	ds_bpermute_b32 v13, v15, v9
	;; [unrolled: 1-line block ×4, first 2 shown]
	s_and_b32 exec_lo, exec_lo, vcc_lo
	s_cbranch_execz .LBB165_21
; %bb.17:
	s_load_dwordx2 s[2:3], s[4:5], 0x38
	v_cmp_eq_f32_e32 vcc_lo, 0, v3
	v_cmp_eq_f32_e64 s0, 0, v4
	s_waitcnt lgkmcnt(0)
	v_add_f32_e32 v0, v8, v12
	v_add_f32_e32 v8, v9, v13
	;; [unrolled: 1-line block ×4, first 2 shown]
	s_and_b32 s0, vcc_lo, s0
	s_and_saveexec_b32 s1, s0
	s_xor_b32 s0, exec_lo, s1
	s_cbranch_execz .LBB165_19
; %bb.18:
	v_lshlrev_b32_e32 v3, 1, v5
	v_mul_f32_e64 v9, v8, -v2
	v_mul_f32_e32 v10, v1, v8
	v_mul_f32_e64 v11, v7, -v2
	v_mul_f32_e32 v12, v1, v7
	v_ashrrev_i32_e32 v4, 31, v3
	v_fmac_f32_e32 v9, v1, v0
	v_fmac_f32_e32 v10, v2, v0
	;; [unrolled: 1-line block ×4, first 2 shown]
	v_lshlrev_b64 v[3:4], 3, v[3:4]
                                        ; implicit-def: $vgpr5
                                        ; implicit-def: $vgpr8
                                        ; implicit-def: $vgpr7
                                        ; implicit-def: $vgpr6
	v_add_co_u32 v0, vcc_lo, s2, v3
	v_add_co_ci_u32_e64 v1, null, s3, v4, vcc_lo
                                        ; implicit-def: $vgpr3_vgpr4
	global_store_dwordx4 v[0:1], v[9:12], off
                                        ; implicit-def: $vgpr1_vgpr2
                                        ; implicit-def: $vgpr0
.LBB165_19:
	s_andn2_saveexec_b32 s0, s0
	s_cbranch_execz .LBB165_21
; %bb.20:
	v_lshlrev_b32_e32 v9, 1, v5
	v_mul_f32_e64 v5, v8, -v2
	v_mul_f32_e32 v14, v1, v8
	v_mul_f32_e64 v8, v7, -v2
	v_mul_f32_e32 v16, v1, v7
	v_ashrrev_i32_e32 v10, 31, v9
	v_fmac_f32_e32 v5, v1, v0
	v_fmac_f32_e32 v14, v2, v0
	;; [unrolled: 1-line block ×4, first 2 shown]
	v_lshlrev_b64 v[9:10], 3, v[9:10]
	v_add_co_u32 v17, vcc_lo, s2, v9
	v_add_co_ci_u32_e64 v18, null, s3, v10, vcc_lo
	global_load_dwordx4 v[9:12], v[17:18], off
	s_waitcnt vmcnt(0)
	v_fmac_f32_e32 v5, v3, v9
	v_fmac_f32_e32 v14, v4, v9
	;; [unrolled: 1-line block ×4, first 2 shown]
	v_fma_f32 v13, -v4, v10, v5
	v_fmac_f32_e32 v14, v3, v10
	v_fma_f32 v15, -v4, v12, v8
	v_fmac_f32_e32 v16, v3, v12
	global_store_dwordx4 v[17:18], v[13:16], off
.LBB165_21:
	s_endpgm
	.section	.rodata,"a",@progbits
	.p2align	6, 0x0
	.amdhsa_kernel _ZN9rocsparseL19gebsrmvn_2xn_kernelILj128ELj4ELj32E21rocsparse_complex_numIfEEEvi20rocsparse_direction_NS_24const_host_device_scalarIT2_EEPKiS8_PKS5_SA_S6_PS5_21rocsparse_index_base_b
		.amdhsa_group_segment_fixed_size 0
		.amdhsa_private_segment_fixed_size 0
		.amdhsa_kernarg_size 72
		.amdhsa_user_sgpr_count 6
		.amdhsa_user_sgpr_private_segment_buffer 1
		.amdhsa_user_sgpr_dispatch_ptr 0
		.amdhsa_user_sgpr_queue_ptr 0
		.amdhsa_user_sgpr_kernarg_segment_ptr 1
		.amdhsa_user_sgpr_dispatch_id 0
		.amdhsa_user_sgpr_flat_scratch_init 0
		.amdhsa_user_sgpr_private_segment_size 0
		.amdhsa_wavefront_size32 1
		.amdhsa_uses_dynamic_stack 0
		.amdhsa_system_sgpr_private_segment_wavefront_offset 0
		.amdhsa_system_sgpr_workgroup_id_x 1
		.amdhsa_system_sgpr_workgroup_id_y 0
		.amdhsa_system_sgpr_workgroup_id_z 0
		.amdhsa_system_sgpr_workgroup_info 0
		.amdhsa_system_vgpr_workitem_id 0
		.amdhsa_next_free_vgpr 40
		.amdhsa_next_free_sgpr 16
		.amdhsa_reserve_vcc 1
		.amdhsa_reserve_flat_scratch 0
		.amdhsa_float_round_mode_32 0
		.amdhsa_float_round_mode_16_64 0
		.amdhsa_float_denorm_mode_32 3
		.amdhsa_float_denorm_mode_16_64 3
		.amdhsa_dx10_clamp 1
		.amdhsa_ieee_mode 1
		.amdhsa_fp16_overflow 0
		.amdhsa_workgroup_processor_mode 1
		.amdhsa_memory_ordered 1
		.amdhsa_forward_progress 1
		.amdhsa_shared_vgpr_count 0
		.amdhsa_exception_fp_ieee_invalid_op 0
		.amdhsa_exception_fp_denorm_src 0
		.amdhsa_exception_fp_ieee_div_zero 0
		.amdhsa_exception_fp_ieee_overflow 0
		.amdhsa_exception_fp_ieee_underflow 0
		.amdhsa_exception_fp_ieee_inexact 0
		.amdhsa_exception_int_div_zero 0
	.end_amdhsa_kernel
	.section	.text._ZN9rocsparseL19gebsrmvn_2xn_kernelILj128ELj4ELj32E21rocsparse_complex_numIfEEEvi20rocsparse_direction_NS_24const_host_device_scalarIT2_EEPKiS8_PKS5_SA_S6_PS5_21rocsparse_index_base_b,"axG",@progbits,_ZN9rocsparseL19gebsrmvn_2xn_kernelILj128ELj4ELj32E21rocsparse_complex_numIfEEEvi20rocsparse_direction_NS_24const_host_device_scalarIT2_EEPKiS8_PKS5_SA_S6_PS5_21rocsparse_index_base_b,comdat
.Lfunc_end165:
	.size	_ZN9rocsparseL19gebsrmvn_2xn_kernelILj128ELj4ELj32E21rocsparse_complex_numIfEEEvi20rocsparse_direction_NS_24const_host_device_scalarIT2_EEPKiS8_PKS5_SA_S6_PS5_21rocsparse_index_base_b, .Lfunc_end165-_ZN9rocsparseL19gebsrmvn_2xn_kernelILj128ELj4ELj32E21rocsparse_complex_numIfEEEvi20rocsparse_direction_NS_24const_host_device_scalarIT2_EEPKiS8_PKS5_SA_S6_PS5_21rocsparse_index_base_b
                                        ; -- End function
	.set _ZN9rocsparseL19gebsrmvn_2xn_kernelILj128ELj4ELj32E21rocsparse_complex_numIfEEEvi20rocsparse_direction_NS_24const_host_device_scalarIT2_EEPKiS8_PKS5_SA_S6_PS5_21rocsparse_index_base_b.num_vgpr, 40
	.set _ZN9rocsparseL19gebsrmvn_2xn_kernelILj128ELj4ELj32E21rocsparse_complex_numIfEEEvi20rocsparse_direction_NS_24const_host_device_scalarIT2_EEPKiS8_PKS5_SA_S6_PS5_21rocsparse_index_base_b.num_agpr, 0
	.set _ZN9rocsparseL19gebsrmvn_2xn_kernelILj128ELj4ELj32E21rocsparse_complex_numIfEEEvi20rocsparse_direction_NS_24const_host_device_scalarIT2_EEPKiS8_PKS5_SA_S6_PS5_21rocsparse_index_base_b.numbered_sgpr, 16
	.set _ZN9rocsparseL19gebsrmvn_2xn_kernelILj128ELj4ELj32E21rocsparse_complex_numIfEEEvi20rocsparse_direction_NS_24const_host_device_scalarIT2_EEPKiS8_PKS5_SA_S6_PS5_21rocsparse_index_base_b.num_named_barrier, 0
	.set _ZN9rocsparseL19gebsrmvn_2xn_kernelILj128ELj4ELj32E21rocsparse_complex_numIfEEEvi20rocsparse_direction_NS_24const_host_device_scalarIT2_EEPKiS8_PKS5_SA_S6_PS5_21rocsparse_index_base_b.private_seg_size, 0
	.set _ZN9rocsparseL19gebsrmvn_2xn_kernelILj128ELj4ELj32E21rocsparse_complex_numIfEEEvi20rocsparse_direction_NS_24const_host_device_scalarIT2_EEPKiS8_PKS5_SA_S6_PS5_21rocsparse_index_base_b.uses_vcc, 1
	.set _ZN9rocsparseL19gebsrmvn_2xn_kernelILj128ELj4ELj32E21rocsparse_complex_numIfEEEvi20rocsparse_direction_NS_24const_host_device_scalarIT2_EEPKiS8_PKS5_SA_S6_PS5_21rocsparse_index_base_b.uses_flat_scratch, 0
	.set _ZN9rocsparseL19gebsrmvn_2xn_kernelILj128ELj4ELj32E21rocsparse_complex_numIfEEEvi20rocsparse_direction_NS_24const_host_device_scalarIT2_EEPKiS8_PKS5_SA_S6_PS5_21rocsparse_index_base_b.has_dyn_sized_stack, 0
	.set _ZN9rocsparseL19gebsrmvn_2xn_kernelILj128ELj4ELj32E21rocsparse_complex_numIfEEEvi20rocsparse_direction_NS_24const_host_device_scalarIT2_EEPKiS8_PKS5_SA_S6_PS5_21rocsparse_index_base_b.has_recursion, 0
	.set _ZN9rocsparseL19gebsrmvn_2xn_kernelILj128ELj4ELj32E21rocsparse_complex_numIfEEEvi20rocsparse_direction_NS_24const_host_device_scalarIT2_EEPKiS8_PKS5_SA_S6_PS5_21rocsparse_index_base_b.has_indirect_call, 0
	.section	.AMDGPU.csdata,"",@progbits
; Kernel info:
; codeLenInByte = 1796
; TotalNumSgprs: 18
; NumVgprs: 40
; ScratchSize: 0
; MemoryBound: 0
; FloatMode: 240
; IeeeMode: 1
; LDSByteSize: 0 bytes/workgroup (compile time only)
; SGPRBlocks: 0
; VGPRBlocks: 4
; NumSGPRsForWavesPerEU: 18
; NumVGPRsForWavesPerEU: 40
; Occupancy: 16
; WaveLimiterHint : 1
; COMPUTE_PGM_RSRC2:SCRATCH_EN: 0
; COMPUTE_PGM_RSRC2:USER_SGPR: 6
; COMPUTE_PGM_RSRC2:TRAP_HANDLER: 0
; COMPUTE_PGM_RSRC2:TGID_X_EN: 1
; COMPUTE_PGM_RSRC2:TGID_Y_EN: 0
; COMPUTE_PGM_RSRC2:TGID_Z_EN: 0
; COMPUTE_PGM_RSRC2:TIDIG_COMP_CNT: 0
	.section	.text._ZN9rocsparseL19gebsrmvn_2xn_kernelILj128ELj4ELj64E21rocsparse_complex_numIfEEEvi20rocsparse_direction_NS_24const_host_device_scalarIT2_EEPKiS8_PKS5_SA_S6_PS5_21rocsparse_index_base_b,"axG",@progbits,_ZN9rocsparseL19gebsrmvn_2xn_kernelILj128ELj4ELj64E21rocsparse_complex_numIfEEEvi20rocsparse_direction_NS_24const_host_device_scalarIT2_EEPKiS8_PKS5_SA_S6_PS5_21rocsparse_index_base_b,comdat
	.globl	_ZN9rocsparseL19gebsrmvn_2xn_kernelILj128ELj4ELj64E21rocsparse_complex_numIfEEEvi20rocsparse_direction_NS_24const_host_device_scalarIT2_EEPKiS8_PKS5_SA_S6_PS5_21rocsparse_index_base_b ; -- Begin function _ZN9rocsparseL19gebsrmvn_2xn_kernelILj128ELj4ELj64E21rocsparse_complex_numIfEEEvi20rocsparse_direction_NS_24const_host_device_scalarIT2_EEPKiS8_PKS5_SA_S6_PS5_21rocsparse_index_base_b
	.p2align	8
	.type	_ZN9rocsparseL19gebsrmvn_2xn_kernelILj128ELj4ELj64E21rocsparse_complex_numIfEEEvi20rocsparse_direction_NS_24const_host_device_scalarIT2_EEPKiS8_PKS5_SA_S6_PS5_21rocsparse_index_base_b,@function
_ZN9rocsparseL19gebsrmvn_2xn_kernelILj128ELj4ELj64E21rocsparse_complex_numIfEEEvi20rocsparse_direction_NS_24const_host_device_scalarIT2_EEPKiS8_PKS5_SA_S6_PS5_21rocsparse_index_base_b: ; @_ZN9rocsparseL19gebsrmvn_2xn_kernelILj128ELj4ELj64E21rocsparse_complex_numIfEEEvi20rocsparse_direction_NS_24const_host_device_scalarIT2_EEPKiS8_PKS5_SA_S6_PS5_21rocsparse_index_base_b
; %bb.0:
	s_clause 0x2
	s_load_dwordx2 s[2:3], s[4:5], 0x40
	s_load_dwordx2 s[0:1], s[4:5], 0x8
	;; [unrolled: 1-line block ×3, first 2 shown]
	s_add_u32 s7, s4, 8
	s_addc_u32 s10, s5, 0
	s_add_u32 s11, s4, 48
	s_addc_u32 s12, s5, 0
	s_waitcnt lgkmcnt(0)
	s_bitcmp1_b32 s3, 0
	s_cselect_b32 s0, s7, s0
	s_cselect_b32 s1, s10, s1
	v_mov_b32_e32 v1, s0
	v_mov_b32_e32 v2, s1
	s_cselect_b32 s0, s11, s8
	s_cselect_b32 s1, s12, s9
	v_mov_b32_e32 v3, s0
	v_mov_b32_e32 v4, s1
	flat_load_dwordx2 v[1:2], v[1:2]
	flat_load_dwordx2 v[3:4], v[3:4]
	s_waitcnt vmcnt(1) lgkmcnt(1)
	v_cmp_eq_f32_e32 vcc_lo, 0, v1
	v_cmp_eq_f32_e64 s0, 0, v2
	s_and_b32 s3, vcc_lo, s0
	s_mov_b32 s0, -1
	s_and_saveexec_b32 s1, s3
	s_cbranch_execz .LBB166_2
; %bb.1:
	s_waitcnt vmcnt(0) lgkmcnt(0)
	v_cmp_neq_f32_e32 vcc_lo, 1.0, v3
	v_cmp_neq_f32_e64 s0, 0, v4
	s_or_b32 s0, vcc_lo, s0
	s_orn2_b32 s0, s0, exec_lo
.LBB166_2:
	s_or_b32 exec_lo, exec_lo, s1
	s_and_saveexec_b32 s1, s0
	s_cbranch_execz .LBB166_21
; %bb.3:
	s_load_dwordx2 s[0:1], s[4:5], 0x0
	v_lshrrev_b32_e32 v5, 6, v0
	v_lshl_or_b32 v5, s6, 1, v5
	s_waitcnt lgkmcnt(0)
	v_cmp_gt_i32_e32 vcc_lo, s0, v5
	s_and_b32 exec_lo, exec_lo, vcc_lo
	s_cbranch_execz .LBB166_21
; %bb.4:
	s_load_dwordx8 s[8:15], s[4:5], 0x10
	v_ashrrev_i32_e32 v6, 31, v5
	v_and_b32_e32 v0, 63, v0
	s_cmp_lg_u32 s1, 0
	v_lshlrev_b64 v[6:7], 2, v[5:6]
	s_waitcnt lgkmcnt(0)
	v_add_co_u32 v6, vcc_lo, s8, v6
	v_add_co_ci_u32_e64 v7, null, s9, v7, vcc_lo
	global_load_dwordx2 v[6:7], v[6:7], off
	s_waitcnt vmcnt(0)
	v_subrev_nc_u32_e32 v6, s2, v6
	v_subrev_nc_u32_e32 v13, s2, v7
	v_add_nc_u32_e32 v6, v6, v0
	v_cmp_lt_i32_e64 s0, v6, v13
	s_cbranch_scc0 .LBB166_10
; %bb.5:
	v_mov_b32_e32 v11, 0
	v_mov_b32_e32 v14, 0
	;; [unrolled: 1-line block ×4, first 2 shown]
	s_and_saveexec_b32 s1, s0
	s_cbranch_execz .LBB166_9
; %bb.6:
	v_mov_b32_e32 v8, 0
	v_lshlrev_b32_e32 v7, 3, v6
	v_mov_b32_e32 v9, v6
	s_mov_b32 s3, 0
	v_mov_b32_e32 v11, v8
	v_mov_b32_e32 v14, v8
	;; [unrolled: 1-line block ×4, first 2 shown]
.LBB166_7:                              ; =>This Inner Loop Header: Depth=1
	v_ashrrev_i32_e32 v10, 31, v9
	v_mov_b32_e32 v21, v8
	v_lshlrev_b64 v[16:17], 2, v[9:10]
	v_add_nc_u32_e32 v9, 64, v9
	v_add_co_u32 v16, vcc_lo, s10, v16
	v_add_co_ci_u32_e64 v17, null, s11, v17, vcc_lo
	global_load_dword v10, v[16:17], off
	v_lshlrev_b64 v[16:17], 3, v[7:8]
	v_add_nc_u32_e32 v7, 0x200, v7
	v_add_co_u32 v36, vcc_lo, s12, v16
	v_add_co_ci_u32_e64 v37, null, s13, v17, vcc_lo
	global_load_dwordx4 v[16:19], v[36:37], off offset:16
	s_waitcnt vmcnt(1)
	v_subrev_nc_u32_e32 v10, s2, v10
	v_lshlrev_b32_e32 v20, 2, v10
	v_lshlrev_b64 v[20:21], 3, v[20:21]
	v_add_co_u32 v28, vcc_lo, s14, v20
	v_add_co_ci_u32_e64 v29, null, s15, v21, vcc_lo
	v_cmp_ge_i32_e32 vcc_lo, v9, v13
	global_load_dwordx4 v[20:23], v[36:37], off
	s_clause 0x1
	global_load_dwordx4 v[24:27], v[28:29], off
	global_load_dwordx4 v[28:31], v[28:29], off offset:16
	s_clause 0x1
	global_load_dwordx4 v[32:35], v[36:37], off offset:32
	global_load_dwordx4 v[36:39], v[36:37], off offset:48
	s_or_b32 s3, vcc_lo, s3
	s_waitcnt vmcnt(3)
	v_fmac_f32_e32 v14, v20, v24
	v_fmac_f32_e32 v11, v21, v24
	;; [unrolled: 1-line block ×4, first 2 shown]
	v_fma_f32 v10, -v21, v25, v14
	v_fmac_f32_e32 v11, v20, v25
	v_fma_f32 v14, -v23, v25, v15
	v_fmac_f32_e32 v12, v22, v25
	v_fmac_f32_e32 v10, v16, v26
	v_fmac_f32_e32 v11, v17, v26
	v_fmac_f32_e32 v14, v18, v26
	v_fmac_f32_e32 v12, v19, v26
	v_fma_f32 v10, -v17, v27, v10
	v_fmac_f32_e32 v11, v16, v27
	v_fma_f32 v14, -v19, v27, v14
	v_fmac_f32_e32 v12, v18, v27
	s_waitcnt vmcnt(1)
	v_fmac_f32_e32 v10, v32, v28
	v_fmac_f32_e32 v11, v33, v28
	;; [unrolled: 1-line block ×4, first 2 shown]
	v_fma_f32 v10, -v33, v29, v10
	v_fmac_f32_e32 v11, v32, v29
	v_fma_f32 v15, -v35, v29, v14
	v_fmac_f32_e32 v12, v34, v29
	s_waitcnt vmcnt(0)
	v_fmac_f32_e32 v10, v36, v30
	v_fmac_f32_e32 v11, v37, v30
	;; [unrolled: 1-line block ×4, first 2 shown]
	v_fma_f32 v14, -v37, v31, v10
	v_fmac_f32_e32 v11, v36, v31
	v_fma_f32 v15, -v39, v31, v15
	v_fmac_f32_e32 v12, v38, v31
	s_andn2_b32 exec_lo, exec_lo, s3
	s_cbranch_execnz .LBB166_7
; %bb.8:
	s_or_b32 exec_lo, exec_lo, s3
.LBB166_9:
	s_or_b32 exec_lo, exec_lo, s1
	s_cbranch_execz .LBB166_11
	s_branch .LBB166_16
.LBB166_10:
                                        ; implicit-def: $vgpr11
                                        ; implicit-def: $vgpr14
                                        ; implicit-def: $vgpr15
                                        ; implicit-def: $vgpr12
.LBB166_11:
	v_mov_b32_e32 v11, 0
	v_mov_b32_e32 v14, 0
	;; [unrolled: 1-line block ×4, first 2 shown]
	s_and_saveexec_b32 s1, s0
	s_cbranch_execz .LBB166_15
; %bb.12:
	v_mov_b32_e32 v9, 0
	v_lshlrev_b32_e32 v8, 3, v6
	s_mov_b32 s0, 0
	v_mov_b32_e32 v11, v9
	v_mov_b32_e32 v14, v9
	v_mov_b32_e32 v15, v9
	v_mov_b32_e32 v12, v9
.LBB166_13:                             ; =>This Inner Loop Header: Depth=1
	v_ashrrev_i32_e32 v7, 31, v6
	v_mov_b32_e32 v29, v9
	v_lshlrev_b64 v[16:17], 2, v[6:7]
	v_add_nc_u32_e32 v6, 64, v6
	v_add_co_u32 v16, vcc_lo, s10, v16
	v_add_co_ci_u32_e64 v17, null, s11, v17, vcc_lo
	global_load_dword v7, v[16:17], off
	v_lshlrev_b64 v[16:17], 3, v[8:9]
	v_add_nc_u32_e32 v8, 0x200, v8
	v_add_co_u32 v30, vcc_lo, s12, v16
	v_add_co_ci_u32_e64 v31, null, s13, v17, vcc_lo
	s_clause 0x2
	global_load_dwordx4 v[16:19], v[30:31], off offset:16
	global_load_dwordx4 v[20:23], v[30:31], off offset:48
	;; [unrolled: 1-line block ×3, first 2 shown]
	s_waitcnt vmcnt(3)
	v_subrev_nc_u32_e32 v7, s2, v7
	v_lshlrev_b32_e32 v28, 2, v7
	v_lshlrev_b64 v[28:29], 3, v[28:29]
	v_add_co_u32 v36, vcc_lo, s14, v28
	v_add_co_ci_u32_e64 v37, null, s15, v29, vcc_lo
	v_cmp_ge_i32_e32 vcc_lo, v6, v13
	global_load_dwordx4 v[28:31], v[30:31], off
	s_clause 0x1
	global_load_dwordx4 v[32:35], v[36:37], off
	global_load_dwordx4 v[36:39], v[36:37], off offset:16
	s_or_b32 s0, vcc_lo, s0
	s_waitcnt vmcnt(1)
	v_fmac_f32_e32 v14, v28, v32
	v_fmac_f32_e32 v11, v29, v32
	;; [unrolled: 1-line block ×4, first 2 shown]
	v_fma_f32 v7, -v29, v33, v14
	v_fmac_f32_e32 v11, v28, v33
	v_fma_f32 v10, -v25, v33, v15
	v_fmac_f32_e32 v12, v24, v33
	v_fmac_f32_e32 v7, v30, v34
	;; [unrolled: 1-line block ×5, first 2 shown]
	v_fma_f32 v7, -v31, v35, v7
	v_fmac_f32_e32 v11, v30, v35
	v_fma_f32 v10, -v27, v35, v10
	v_fmac_f32_e32 v12, v26, v35
	s_waitcnt vmcnt(0)
	v_fmac_f32_e32 v7, v16, v36
	v_fmac_f32_e32 v11, v17, v36
	;; [unrolled: 1-line block ×4, first 2 shown]
	v_fma_f32 v7, -v17, v37, v7
	v_fmac_f32_e32 v11, v16, v37
	v_fma_f32 v10, -v21, v37, v10
	v_fmac_f32_e32 v12, v20, v37
	v_fmac_f32_e32 v7, v18, v38
	;; [unrolled: 1-line block ×5, first 2 shown]
	v_fma_f32 v14, -v19, v39, v7
	v_fmac_f32_e32 v11, v18, v39
	v_fma_f32 v15, -v23, v39, v10
	v_fmac_f32_e32 v12, v22, v39
	s_andn2_b32 exec_lo, exec_lo, s0
	s_cbranch_execnz .LBB166_13
; %bb.14:
	s_or_b32 exec_lo, exec_lo, s0
.LBB166_15:
	s_or_b32 exec_lo, exec_lo, s1
.LBB166_16:
	v_mbcnt_lo_u32_b32 v6, -1, 0
	v_or_b32_e32 v7, 32, v6
	v_xor_b32_e32 v13, 16, v6
	v_cmp_gt_i32_e32 vcc_lo, 32, v7
	v_cndmask_b32_e32 v7, v6, v7, vcc_lo
	v_cmp_gt_i32_e32 vcc_lo, 32, v13
	v_lshlrev_b32_e32 v7, 2, v7
	v_cndmask_b32_e32 v13, v6, v13, vcc_lo
	ds_bpermute_b32 v8, v7, v14
	ds_bpermute_b32 v9, v7, v11
	;; [unrolled: 1-line block ×4, first 2 shown]
	v_lshlrev_b32_e32 v13, 2, v13
	s_waitcnt lgkmcnt(3)
	v_add_f32_e32 v8, v14, v8
	s_waitcnt lgkmcnt(2)
	v_add_f32_e32 v9, v11, v9
	;; [unrolled: 2-line block ×4, first 2 shown]
	v_xor_b32_e32 v15, 8, v6
	ds_bpermute_b32 v11, v13, v8
	ds_bpermute_b32 v12, v13, v9
	;; [unrolled: 1-line block ×4, first 2 shown]
	v_cmp_gt_i32_e32 vcc_lo, 32, v15
	v_cndmask_b32_e32 v15, v6, v15, vcc_lo
	v_lshlrev_b32_e32 v15, 2, v15
	s_waitcnt lgkmcnt(3)
	v_add_f32_e32 v8, v8, v11
	s_waitcnt lgkmcnt(2)
	v_add_f32_e32 v9, v9, v12
	s_waitcnt lgkmcnt(1)
	v_add_f32_e32 v10, v10, v14
	s_waitcnt lgkmcnt(0)
	v_add_f32_e32 v7, v7, v13
	ds_bpermute_b32 v11, v15, v8
	ds_bpermute_b32 v12, v15, v9
	ds_bpermute_b32 v13, v15, v10
	ds_bpermute_b32 v14, v15, v7
	v_xor_b32_e32 v15, 4, v6
	v_cmp_gt_i32_e32 vcc_lo, 32, v15
	v_cndmask_b32_e32 v15, v6, v15, vcc_lo
	v_lshlrev_b32_e32 v15, 2, v15
	s_waitcnt lgkmcnt(3)
	v_add_f32_e32 v8, v8, v11
	s_waitcnt lgkmcnt(2)
	v_add_f32_e32 v9, v9, v12
	s_waitcnt lgkmcnt(1)
	v_add_f32_e32 v10, v10, v13
	s_waitcnt lgkmcnt(0)
	v_add_f32_e32 v7, v7, v14
	ds_bpermute_b32 v11, v15, v8
	ds_bpermute_b32 v12, v15, v9
	ds_bpermute_b32 v13, v15, v10
	ds_bpermute_b32 v14, v15, v7
	v_xor_b32_e32 v15, 2, v6
	;; [unrolled: 16-line block ×3, first 2 shown]
	v_cmp_gt_i32_e32 vcc_lo, 32, v15
	v_cndmask_b32_e32 v6, v6, v15, vcc_lo
	v_cmp_eq_u32_e32 vcc_lo, 63, v0
	v_lshlrev_b32_e32 v15, 2, v6
	s_waitcnt lgkmcnt(3)
	v_add_f32_e32 v8, v8, v11
	s_waitcnt lgkmcnt(2)
	v_add_f32_e32 v9, v9, v12
	;; [unrolled: 2-line block ×4, first 2 shown]
	ds_bpermute_b32 v12, v15, v8
	ds_bpermute_b32 v13, v15, v9
	;; [unrolled: 1-line block ×4, first 2 shown]
	s_and_b32 exec_lo, exec_lo, vcc_lo
	s_cbranch_execz .LBB166_21
; %bb.17:
	s_load_dwordx2 s[2:3], s[4:5], 0x38
	v_cmp_eq_f32_e32 vcc_lo, 0, v3
	v_cmp_eq_f32_e64 s0, 0, v4
	s_waitcnt lgkmcnt(0)
	v_add_f32_e32 v0, v8, v12
	v_add_f32_e32 v8, v9, v13
	;; [unrolled: 1-line block ×4, first 2 shown]
	s_and_b32 s0, vcc_lo, s0
	s_and_saveexec_b32 s1, s0
	s_xor_b32 s0, exec_lo, s1
	s_cbranch_execz .LBB166_19
; %bb.18:
	v_lshlrev_b32_e32 v3, 1, v5
	v_mul_f32_e64 v9, v8, -v2
	v_mul_f32_e32 v10, v1, v8
	v_mul_f32_e64 v11, v7, -v2
	v_mul_f32_e32 v12, v1, v7
	v_ashrrev_i32_e32 v4, 31, v3
	v_fmac_f32_e32 v9, v1, v0
	v_fmac_f32_e32 v10, v2, v0
	;; [unrolled: 1-line block ×4, first 2 shown]
	v_lshlrev_b64 v[3:4], 3, v[3:4]
                                        ; implicit-def: $vgpr5
                                        ; implicit-def: $vgpr8
                                        ; implicit-def: $vgpr7
                                        ; implicit-def: $vgpr6
	v_add_co_u32 v0, vcc_lo, s2, v3
	v_add_co_ci_u32_e64 v1, null, s3, v4, vcc_lo
                                        ; implicit-def: $vgpr3_vgpr4
	global_store_dwordx4 v[0:1], v[9:12], off
                                        ; implicit-def: $vgpr1_vgpr2
                                        ; implicit-def: $vgpr0
.LBB166_19:
	s_andn2_saveexec_b32 s0, s0
	s_cbranch_execz .LBB166_21
; %bb.20:
	v_lshlrev_b32_e32 v9, 1, v5
	v_mul_f32_e64 v5, v8, -v2
	v_mul_f32_e32 v14, v1, v8
	v_mul_f32_e64 v8, v7, -v2
	v_mul_f32_e32 v16, v1, v7
	v_ashrrev_i32_e32 v10, 31, v9
	v_fmac_f32_e32 v5, v1, v0
	v_fmac_f32_e32 v14, v2, v0
	v_fmac_f32_e32 v8, v1, v6
	v_fmac_f32_e32 v16, v2, v6
	v_lshlrev_b64 v[9:10], 3, v[9:10]
	v_add_co_u32 v17, vcc_lo, s2, v9
	v_add_co_ci_u32_e64 v18, null, s3, v10, vcc_lo
	global_load_dwordx4 v[9:12], v[17:18], off
	s_waitcnt vmcnt(0)
	v_fmac_f32_e32 v5, v3, v9
	v_fmac_f32_e32 v14, v4, v9
	;; [unrolled: 1-line block ×4, first 2 shown]
	v_fma_f32 v13, -v4, v10, v5
	v_fmac_f32_e32 v14, v3, v10
	v_fma_f32 v15, -v4, v12, v8
	v_fmac_f32_e32 v16, v3, v12
	global_store_dwordx4 v[17:18], v[13:16], off
.LBB166_21:
	s_endpgm
	.section	.rodata,"a",@progbits
	.p2align	6, 0x0
	.amdhsa_kernel _ZN9rocsparseL19gebsrmvn_2xn_kernelILj128ELj4ELj64E21rocsparse_complex_numIfEEEvi20rocsparse_direction_NS_24const_host_device_scalarIT2_EEPKiS8_PKS5_SA_S6_PS5_21rocsparse_index_base_b
		.amdhsa_group_segment_fixed_size 0
		.amdhsa_private_segment_fixed_size 0
		.amdhsa_kernarg_size 72
		.amdhsa_user_sgpr_count 6
		.amdhsa_user_sgpr_private_segment_buffer 1
		.amdhsa_user_sgpr_dispatch_ptr 0
		.amdhsa_user_sgpr_queue_ptr 0
		.amdhsa_user_sgpr_kernarg_segment_ptr 1
		.amdhsa_user_sgpr_dispatch_id 0
		.amdhsa_user_sgpr_flat_scratch_init 0
		.amdhsa_user_sgpr_private_segment_size 0
		.amdhsa_wavefront_size32 1
		.amdhsa_uses_dynamic_stack 0
		.amdhsa_system_sgpr_private_segment_wavefront_offset 0
		.amdhsa_system_sgpr_workgroup_id_x 1
		.amdhsa_system_sgpr_workgroup_id_y 0
		.amdhsa_system_sgpr_workgroup_id_z 0
		.amdhsa_system_sgpr_workgroup_info 0
		.amdhsa_system_vgpr_workitem_id 0
		.amdhsa_next_free_vgpr 40
		.amdhsa_next_free_sgpr 16
		.amdhsa_reserve_vcc 1
		.amdhsa_reserve_flat_scratch 0
		.amdhsa_float_round_mode_32 0
		.amdhsa_float_round_mode_16_64 0
		.amdhsa_float_denorm_mode_32 3
		.amdhsa_float_denorm_mode_16_64 3
		.amdhsa_dx10_clamp 1
		.amdhsa_ieee_mode 1
		.amdhsa_fp16_overflow 0
		.amdhsa_workgroup_processor_mode 1
		.amdhsa_memory_ordered 1
		.amdhsa_forward_progress 1
		.amdhsa_shared_vgpr_count 0
		.amdhsa_exception_fp_ieee_invalid_op 0
		.amdhsa_exception_fp_denorm_src 0
		.amdhsa_exception_fp_ieee_div_zero 0
		.amdhsa_exception_fp_ieee_overflow 0
		.amdhsa_exception_fp_ieee_underflow 0
		.amdhsa_exception_fp_ieee_inexact 0
		.amdhsa_exception_int_div_zero 0
	.end_amdhsa_kernel
	.section	.text._ZN9rocsparseL19gebsrmvn_2xn_kernelILj128ELj4ELj64E21rocsparse_complex_numIfEEEvi20rocsparse_direction_NS_24const_host_device_scalarIT2_EEPKiS8_PKS5_SA_S6_PS5_21rocsparse_index_base_b,"axG",@progbits,_ZN9rocsparseL19gebsrmvn_2xn_kernelILj128ELj4ELj64E21rocsparse_complex_numIfEEEvi20rocsparse_direction_NS_24const_host_device_scalarIT2_EEPKiS8_PKS5_SA_S6_PS5_21rocsparse_index_base_b,comdat
.Lfunc_end166:
	.size	_ZN9rocsparseL19gebsrmvn_2xn_kernelILj128ELj4ELj64E21rocsparse_complex_numIfEEEvi20rocsparse_direction_NS_24const_host_device_scalarIT2_EEPKiS8_PKS5_SA_S6_PS5_21rocsparse_index_base_b, .Lfunc_end166-_ZN9rocsparseL19gebsrmvn_2xn_kernelILj128ELj4ELj64E21rocsparse_complex_numIfEEEvi20rocsparse_direction_NS_24const_host_device_scalarIT2_EEPKiS8_PKS5_SA_S6_PS5_21rocsparse_index_base_b
                                        ; -- End function
	.set _ZN9rocsparseL19gebsrmvn_2xn_kernelILj128ELj4ELj64E21rocsparse_complex_numIfEEEvi20rocsparse_direction_NS_24const_host_device_scalarIT2_EEPKiS8_PKS5_SA_S6_PS5_21rocsparse_index_base_b.num_vgpr, 40
	.set _ZN9rocsparseL19gebsrmvn_2xn_kernelILj128ELj4ELj64E21rocsparse_complex_numIfEEEvi20rocsparse_direction_NS_24const_host_device_scalarIT2_EEPKiS8_PKS5_SA_S6_PS5_21rocsparse_index_base_b.num_agpr, 0
	.set _ZN9rocsparseL19gebsrmvn_2xn_kernelILj128ELj4ELj64E21rocsparse_complex_numIfEEEvi20rocsparse_direction_NS_24const_host_device_scalarIT2_EEPKiS8_PKS5_SA_S6_PS5_21rocsparse_index_base_b.numbered_sgpr, 16
	.set _ZN9rocsparseL19gebsrmvn_2xn_kernelILj128ELj4ELj64E21rocsparse_complex_numIfEEEvi20rocsparse_direction_NS_24const_host_device_scalarIT2_EEPKiS8_PKS5_SA_S6_PS5_21rocsparse_index_base_b.num_named_barrier, 0
	.set _ZN9rocsparseL19gebsrmvn_2xn_kernelILj128ELj4ELj64E21rocsparse_complex_numIfEEEvi20rocsparse_direction_NS_24const_host_device_scalarIT2_EEPKiS8_PKS5_SA_S6_PS5_21rocsparse_index_base_b.private_seg_size, 0
	.set _ZN9rocsparseL19gebsrmvn_2xn_kernelILj128ELj4ELj64E21rocsparse_complex_numIfEEEvi20rocsparse_direction_NS_24const_host_device_scalarIT2_EEPKiS8_PKS5_SA_S6_PS5_21rocsparse_index_base_b.uses_vcc, 1
	.set _ZN9rocsparseL19gebsrmvn_2xn_kernelILj128ELj4ELj64E21rocsparse_complex_numIfEEEvi20rocsparse_direction_NS_24const_host_device_scalarIT2_EEPKiS8_PKS5_SA_S6_PS5_21rocsparse_index_base_b.uses_flat_scratch, 0
	.set _ZN9rocsparseL19gebsrmvn_2xn_kernelILj128ELj4ELj64E21rocsparse_complex_numIfEEEvi20rocsparse_direction_NS_24const_host_device_scalarIT2_EEPKiS8_PKS5_SA_S6_PS5_21rocsparse_index_base_b.has_dyn_sized_stack, 0
	.set _ZN9rocsparseL19gebsrmvn_2xn_kernelILj128ELj4ELj64E21rocsparse_complex_numIfEEEvi20rocsparse_direction_NS_24const_host_device_scalarIT2_EEPKiS8_PKS5_SA_S6_PS5_21rocsparse_index_base_b.has_recursion, 0
	.set _ZN9rocsparseL19gebsrmvn_2xn_kernelILj128ELj4ELj64E21rocsparse_complex_numIfEEEvi20rocsparse_direction_NS_24const_host_device_scalarIT2_EEPKiS8_PKS5_SA_S6_PS5_21rocsparse_index_base_b.has_indirect_call, 0
	.section	.AMDGPU.csdata,"",@progbits
; Kernel info:
; codeLenInByte = 1876
; TotalNumSgprs: 18
; NumVgprs: 40
; ScratchSize: 0
; MemoryBound: 0
; FloatMode: 240
; IeeeMode: 1
; LDSByteSize: 0 bytes/workgroup (compile time only)
; SGPRBlocks: 0
; VGPRBlocks: 4
; NumSGPRsForWavesPerEU: 18
; NumVGPRsForWavesPerEU: 40
; Occupancy: 16
; WaveLimiterHint : 1
; COMPUTE_PGM_RSRC2:SCRATCH_EN: 0
; COMPUTE_PGM_RSRC2:USER_SGPR: 6
; COMPUTE_PGM_RSRC2:TRAP_HANDLER: 0
; COMPUTE_PGM_RSRC2:TGID_X_EN: 1
; COMPUTE_PGM_RSRC2:TGID_Y_EN: 0
; COMPUTE_PGM_RSRC2:TGID_Z_EN: 0
; COMPUTE_PGM_RSRC2:TIDIG_COMP_CNT: 0
	.section	.text._ZN9rocsparseL19gebsrmvn_2xn_kernelILj128ELj5ELj4E21rocsparse_complex_numIfEEEvi20rocsparse_direction_NS_24const_host_device_scalarIT2_EEPKiS8_PKS5_SA_S6_PS5_21rocsparse_index_base_b,"axG",@progbits,_ZN9rocsparseL19gebsrmvn_2xn_kernelILj128ELj5ELj4E21rocsparse_complex_numIfEEEvi20rocsparse_direction_NS_24const_host_device_scalarIT2_EEPKiS8_PKS5_SA_S6_PS5_21rocsparse_index_base_b,comdat
	.globl	_ZN9rocsparseL19gebsrmvn_2xn_kernelILj128ELj5ELj4E21rocsparse_complex_numIfEEEvi20rocsparse_direction_NS_24const_host_device_scalarIT2_EEPKiS8_PKS5_SA_S6_PS5_21rocsparse_index_base_b ; -- Begin function _ZN9rocsparseL19gebsrmvn_2xn_kernelILj128ELj5ELj4E21rocsparse_complex_numIfEEEvi20rocsparse_direction_NS_24const_host_device_scalarIT2_EEPKiS8_PKS5_SA_S6_PS5_21rocsparse_index_base_b
	.p2align	8
	.type	_ZN9rocsparseL19gebsrmvn_2xn_kernelILj128ELj5ELj4E21rocsparse_complex_numIfEEEvi20rocsparse_direction_NS_24const_host_device_scalarIT2_EEPKiS8_PKS5_SA_S6_PS5_21rocsparse_index_base_b,@function
_ZN9rocsparseL19gebsrmvn_2xn_kernelILj128ELj5ELj4E21rocsparse_complex_numIfEEEvi20rocsparse_direction_NS_24const_host_device_scalarIT2_EEPKiS8_PKS5_SA_S6_PS5_21rocsparse_index_base_b: ; @_ZN9rocsparseL19gebsrmvn_2xn_kernelILj128ELj5ELj4E21rocsparse_complex_numIfEEEvi20rocsparse_direction_NS_24const_host_device_scalarIT2_EEPKiS8_PKS5_SA_S6_PS5_21rocsparse_index_base_b
; %bb.0:
	s_clause 0x2
	s_load_dwordx2 s[2:3], s[4:5], 0x40
	s_load_dwordx2 s[0:1], s[4:5], 0x8
	;; [unrolled: 1-line block ×3, first 2 shown]
	s_add_u32 s7, s4, 8
	s_addc_u32 s10, s5, 0
	s_add_u32 s11, s4, 48
	s_addc_u32 s12, s5, 0
	s_waitcnt lgkmcnt(0)
	s_bitcmp1_b32 s3, 0
	s_cselect_b32 s0, s7, s0
	s_cselect_b32 s1, s10, s1
	v_mov_b32_e32 v1, s0
	v_mov_b32_e32 v2, s1
	s_cselect_b32 s0, s11, s8
	s_cselect_b32 s1, s12, s9
	v_mov_b32_e32 v3, s0
	v_mov_b32_e32 v4, s1
	flat_load_dwordx2 v[1:2], v[1:2]
	flat_load_dwordx2 v[3:4], v[3:4]
	s_waitcnt vmcnt(1) lgkmcnt(1)
	v_cmp_eq_f32_e32 vcc_lo, 0, v1
	v_cmp_eq_f32_e64 s0, 0, v2
	s_and_b32 s3, vcc_lo, s0
	s_mov_b32 s0, -1
	s_and_saveexec_b32 s1, s3
	s_cbranch_execz .LBB167_2
; %bb.1:
	s_waitcnt vmcnt(0) lgkmcnt(0)
	v_cmp_neq_f32_e32 vcc_lo, 1.0, v3
	v_cmp_neq_f32_e64 s0, 0, v4
	s_or_b32 s0, vcc_lo, s0
	s_orn2_b32 s0, s0, exec_lo
.LBB167_2:
	s_or_b32 exec_lo, exec_lo, s1
	s_and_saveexec_b32 s1, s0
	s_cbranch_execz .LBB167_21
; %bb.3:
	s_load_dwordx2 s[0:1], s[4:5], 0x0
	v_lshrrev_b32_e32 v5, 2, v0
	v_lshl_or_b32 v5, s6, 5, v5
	s_waitcnt lgkmcnt(0)
	v_cmp_gt_i32_e32 vcc_lo, s0, v5
	s_and_b32 exec_lo, exec_lo, vcc_lo
	s_cbranch_execz .LBB167_21
; %bb.4:
	s_load_dwordx8 s[8:15], s[4:5], 0x10
	v_ashrrev_i32_e32 v6, 31, v5
	v_and_b32_e32 v0, 3, v0
	s_cmp_lg_u32 s1, 0
	v_lshlrev_b64 v[6:7], 2, v[5:6]
	s_waitcnt lgkmcnt(0)
	v_add_co_u32 v6, vcc_lo, s8, v6
	v_add_co_ci_u32_e64 v7, null, s9, v7, vcc_lo
	global_load_dwordx2 v[6:7], v[6:7], off
	s_waitcnt vmcnt(0)
	v_subrev_nc_u32_e32 v6, s2, v6
	v_subrev_nc_u32_e32 v15, s2, v7
	v_add_nc_u32_e32 v6, v6, v0
	v_cmp_lt_i32_e64 s0, v6, v15
	s_cbranch_scc0 .LBB167_10
; %bb.5:
	v_mov_b32_e32 v13, 0
	v_mov_b32_e32 v16, 0
	;; [unrolled: 1-line block ×4, first 2 shown]
	s_and_saveexec_b32 s1, s0
	s_cbranch_execz .LBB167_9
; %bb.6:
	v_mad_u64_u32 v[7:8], null, v6, 10, 8
	v_mov_b32_e32 v10, 0
	v_mov_b32_e32 v11, v6
	;; [unrolled: 1-line block ×6, first 2 shown]
	s_mov_b32 s3, 0
.LBB167_7:                              ; =>This Inner Loop Header: Depth=1
	v_ashrrev_i32_e32 v12, 31, v11
	v_mov_b32_e32 v31, v10
	v_lshlrev_b64 v[8:9], 2, v[11:12]
	v_add_nc_u32_e32 v11, 4, v11
	v_add_co_u32 v8, vcc_lo, s10, v8
	v_add_co_ci_u32_e64 v9, null, s11, v9, vcc_lo
	global_load_dword v12, v[8:9], off
	v_add_nc_u32_e32 v9, -8, v7
	v_mov_b32_e32 v8, v10
	v_lshlrev_b64 v[18:19], 3, v[9:10]
	v_add_nc_u32_e32 v9, -6, v7
	v_lshlrev_b64 v[20:21], 3, v[7:8]
	v_lshlrev_b64 v[8:9], 3, v[9:10]
	v_add_co_u32 v18, vcc_lo, s12, v18
	v_add_co_ci_u32_e64 v19, null, s13, v19, vcc_lo
	v_add_co_u32 v34, vcc_lo, s12, v20
	v_add_co_ci_u32_e64 v35, null, s13, v21, vcc_lo
	;; [unrolled: 2-line block ×3, first 2 shown]
	s_clause 0x1
	global_load_dwordx4 v[18:21], v[18:19], off
	global_load_dwordx4 v[22:25], v[8:9], off
	s_waitcnt vmcnt(2)
	v_subrev_nc_u32_e32 v8, s2, v12
	v_lshl_add_u32 v30, v8, 2, v8
	v_lshlrev_b64 v[26:27], 3, v[30:31]
	v_add_nc_u32_e32 v9, 1, v30
	v_lshlrev_b64 v[28:29], 3, v[9:10]
	v_add_co_u32 v26, vcc_lo, s14, v26
	v_add_co_ci_u32_e64 v27, null, s15, v27, vcc_lo
	v_add_nc_u32_e32 v9, -4, v7
	v_add_co_u32 v28, vcc_lo, s14, v28
	global_load_dwordx2 v[38:39], v[26:27], off
	v_add_co_ci_u32_e64 v29, null, s15, v29, vcc_lo
	v_lshlrev_b64 v[31:32], 3, v[9:10]
	v_add_nc_u32_e32 v9, 2, v30
	global_load_dwordx2 v[40:41], v[28:29], off
	v_lshlrev_b64 v[26:27], 3, v[9:10]
	v_add_nc_u32_e32 v9, -2, v7
	v_add_co_u32 v28, vcc_lo, s12, v31
	v_add_co_ci_u32_e64 v29, null, s13, v32, vcc_lo
	v_lshlrev_b64 v[31:32], 3, v[9:10]
	v_add_nc_u32_e32 v9, 3, v30
	v_add_co_u32 v36, vcc_lo, s14, v26
	v_add_co_ci_u32_e64 v37, null, s15, v27, vcc_lo
	v_lshlrev_b64 v[42:43], 3, v[9:10]
	global_load_dwordx4 v[26:29], v[28:29], off
	v_add_nc_u32_e32 v9, 4, v30
	global_load_dwordx2 v[44:45], v[36:37], off
	v_add_co_u32 v30, vcc_lo, s12, v31
	v_add_co_ci_u32_e64 v31, null, s13, v32, vcc_lo
	v_add_co_u32 v36, vcc_lo, s14, v42
	v_add_co_ci_u32_e64 v37, null, s15, v43, vcc_lo
	v_lshlrev_b64 v[8:9], 3, v[9:10]
	global_load_dwordx4 v[30:33], v[30:31], off
	global_load_dwordx2 v[42:43], v[36:37], off
	v_add_nc_u32_e32 v7, 40, v7
	v_add_co_u32 v8, vcc_lo, s14, v8
	v_add_co_ci_u32_e64 v9, null, s15, v9, vcc_lo
	global_load_dwordx4 v[34:37], v[34:35], off
	global_load_dwordx2 v[8:9], v[8:9], off
	v_cmp_ge_i32_e32 vcc_lo, v11, v15
	s_or_b32 s3, vcc_lo, s3
	s_waitcnt vmcnt(7)
	v_fmac_f32_e32 v16, v18, v38
	v_fmac_f32_e32 v13, v19, v38
	v_fmac_f32_e32 v17, v20, v38
	v_fmac_f32_e32 v14, v21, v38
	v_fma_f32 v12, -v19, v39, v16
	v_fmac_f32_e32 v13, v18, v39
	v_fma_f32 v16, -v21, v39, v17
	v_fmac_f32_e32 v14, v20, v39
	s_waitcnt vmcnt(6)
	v_fmac_f32_e32 v12, v22, v40
	v_fmac_f32_e32 v13, v23, v40
	v_fmac_f32_e32 v16, v24, v40
	v_fmac_f32_e32 v14, v25, v40
	v_fma_f32 v12, -v23, v41, v12
	v_fmac_f32_e32 v13, v22, v41
	v_fma_f32 v16, -v25, v41, v16
	v_fmac_f32_e32 v14, v24, v41
	;; [unrolled: 9-line block ×5, first 2 shown]
	s_andn2_b32 exec_lo, exec_lo, s3
	s_cbranch_execnz .LBB167_7
; %bb.8:
	s_or_b32 exec_lo, exec_lo, s3
.LBB167_9:
	s_or_b32 exec_lo, exec_lo, s1
	s_cbranch_execz .LBB167_11
	s_branch .LBB167_16
.LBB167_10:
                                        ; implicit-def: $vgpr13
                                        ; implicit-def: $vgpr16
                                        ; implicit-def: $vgpr17
                                        ; implicit-def: $vgpr14
.LBB167_11:
	v_mov_b32_e32 v13, 0
	v_mov_b32_e32 v16, 0
	;; [unrolled: 1-line block ×4, first 2 shown]
	s_and_saveexec_b32 s1, s0
	s_cbranch_execz .LBB167_15
; %bb.12:
	v_mad_u64_u32 v[8:9], null, v6, 10, 9
	v_mov_b32_e32 v11, 0
	v_mov_b32_e32 v13, 0
	;; [unrolled: 1-line block ×5, first 2 shown]
	s_mov_b32 s0, 0
.LBB167_13:                             ; =>This Inner Loop Header: Depth=1
	v_ashrrev_i32_e32 v7, 31, v6
	v_add_nc_u32_e32 v18, -4, v8
	v_mov_b32_e32 v19, v11
	v_mov_b32_e32 v23, v11
	v_lshlrev_b64 v[9:10], 2, v[6:7]
	v_add_nc_u32_e32 v6, 4, v6
	v_lshlrev_b64 v[18:19], 3, v[18:19]
	v_add_co_u32 v9, vcc_lo, s10, v9
	v_add_co_ci_u32_e64 v10, null, s11, v10, vcc_lo
	global_load_dword v7, v[9:10], off
	v_add_nc_u32_e32 v10, -9, v8
	v_mov_b32_e32 v9, v11
	v_lshlrev_b64 v[20:21], 3, v[10:11]
	v_lshlrev_b64 v[9:10], 3, v[8:9]
	v_add_co_u32 v20, vcc_lo, s12, v20
	v_add_co_ci_u32_e64 v21, null, s13, v21, vcc_lo
	v_add_co_u32 v24, vcc_lo, s12, v18
	v_add_co_ci_u32_e64 v25, null, s13, v19, vcc_lo
	v_add_co_u32 v9, vcc_lo, s12, v9
	v_add_co_ci_u32_e64 v10, null, s13, v10, vcc_lo
	s_clause 0x2
	global_load_dwordx4 v[18:21], v[20:21], off
	global_load_dwordx2 v[24:25], v[24:25], off
	global_load_dwordx2 v[26:27], v[9:10], off
	s_waitcnt vmcnt(3)
	v_subrev_nc_u32_e32 v7, s2, v7
	v_lshl_add_u32 v22, v7, 2, v7
	v_add_nc_u32_e32 v10, 1, v22
	v_lshlrev_b64 v[28:29], 3, v[22:23]
	v_lshlrev_b64 v[30:31], 3, v[10:11]
	v_add_nc_u32_e32 v10, -3, v8
	v_add_co_u32 v28, vcc_lo, s14, v28
	v_add_co_ci_u32_e64 v29, null, s15, v29, vcc_lo
	v_lshlrev_b64 v[32:33], 3, v[10:11]
	v_add_nc_u32_e32 v10, -7, v8
	v_add_co_u32 v30, vcc_lo, s14, v30
	global_load_dwordx2 v[28:29], v[28:29], off
	v_add_co_ci_u32_e64 v31, null, s15, v31, vcc_lo
	v_lshlrev_b64 v[34:35], 3, v[10:11]
	v_add_nc_u32_e32 v10, 2, v22
	v_add_co_u32 v32, vcc_lo, s12, v32
	v_add_co_ci_u32_e64 v33, null, s13, v33, vcc_lo
	v_lshlrev_b64 v[36:37], 3, v[10:11]
	v_add_nc_u32_e32 v10, -2, v8
	v_add_co_u32 v34, vcc_lo, s12, v34
	global_load_dwordx2 v[30:31], v[30:31], off
	global_load_dwordx2 v[32:33], v[32:33], off
	v_lshlrev_b64 v[38:39], 3, v[10:11]
	v_add_nc_u32_e32 v10, -6, v8
	v_add_co_ci_u32_e64 v35, null, s13, v35, vcc_lo
	v_add_co_u32 v36, vcc_lo, s14, v36
	v_lshlrev_b64 v[40:41], 3, v[10:11]
	v_add_nc_u32_e32 v10, 3, v22
	v_add_co_ci_u32_e64 v37, null, s15, v37, vcc_lo
	v_add_co_u32 v38, vcc_lo, s12, v38
	v_lshlrev_b64 v[42:43], 3, v[10:11]
	v_add_nc_u32_e32 v10, -1, v8
	v_add_co_ci_u32_e64 v39, null, s13, v39, vcc_lo
	v_add_co_u32 v40, vcc_lo, s12, v40
	v_lshlrev_b64 v[44:45], 3, v[10:11]
	v_add_nc_u32_e32 v10, -5, v8
	global_load_dwordx2 v[34:35], v[34:35], off
	global_load_dwordx2 v[36:37], v[36:37], off
	;; [unrolled: 1-line block ×3, first 2 shown]
	v_add_co_ci_u32_e64 v41, null, s13, v41, vcc_lo
	v_add_co_u32 v42, vcc_lo, s14, v42
	v_add_co_ci_u32_e64 v43, null, s15, v43, vcc_lo
	v_lshlrev_b64 v[46:47], 3, v[10:11]
	v_add_nc_u32_e32 v10, 4, v22
	v_add_co_u32 v22, vcc_lo, s12, v44
	v_add_co_ci_u32_e64 v23, null, s13, v45, vcc_lo
	v_lshlrev_b64 v[9:10], 3, v[10:11]
	global_load_dwordx2 v[40:41], v[40:41], off
	global_load_dwordx2 v[42:43], v[42:43], off
	;; [unrolled: 1-line block ×3, first 2 shown]
	v_add_co_u32 v44, vcc_lo, s12, v46
	v_add_co_ci_u32_e64 v45, null, s13, v47, vcc_lo
	v_add_co_u32 v9, vcc_lo, s14, v9
	v_add_co_ci_u32_e64 v10, null, s15, v10, vcc_lo
	global_load_dwordx2 v[44:45], v[44:45], off
	global_load_dwordx2 v[9:10], v[9:10], off
	v_cmp_ge_i32_e32 vcc_lo, v6, v15
	v_add_nc_u32_e32 v8, 40, v8
	s_or_b32 s0, vcc_lo, s0
	s_waitcnt vmcnt(10)
	v_fmac_f32_e32 v16, v18, v28
	v_fmac_f32_e32 v13, v19, v28
	;; [unrolled: 1-line block ×4, first 2 shown]
	v_fma_f32 v7, -v19, v29, v16
	v_fmac_f32_e32 v13, v18, v29
	v_fma_f32 v12, -v25, v29, v17
	v_fmac_f32_e32 v14, v24, v29
	s_waitcnt vmcnt(9)
	v_fmac_f32_e32 v7, v20, v30
	v_fmac_f32_e32 v13, v21, v30
	s_waitcnt vmcnt(8)
	v_fmac_f32_e32 v12, v32, v30
	v_fmac_f32_e32 v14, v33, v30
	v_fma_f32 v7, -v21, v31, v7
	v_fmac_f32_e32 v13, v20, v31
	v_fma_f32 v12, -v33, v31, v12
	v_fmac_f32_e32 v14, v32, v31
	s_waitcnt vmcnt(6)
	v_fmac_f32_e32 v7, v34, v36
	v_fmac_f32_e32 v13, v35, v36
	s_waitcnt vmcnt(5)
	v_fmac_f32_e32 v12, v38, v36
	v_fmac_f32_e32 v14, v39, v36
	;; [unrolled: 10-line block ×3, first 2 shown]
	v_fma_f32 v7, -v41, v43, v7
	v_fmac_f32_e32 v13, v40, v43
	v_fma_f32 v12, -v23, v43, v12
	v_fmac_f32_e32 v14, v22, v43
	s_waitcnt vmcnt(0)
	v_fmac_f32_e32 v7, v44, v9
	v_fmac_f32_e32 v13, v45, v9
	;; [unrolled: 1-line block ×4, first 2 shown]
	v_fma_f32 v16, -v45, v10, v7
	v_fmac_f32_e32 v13, v44, v10
	v_fma_f32 v17, -v27, v10, v12
	v_fmac_f32_e32 v14, v26, v10
	s_andn2_b32 exec_lo, exec_lo, s0
	s_cbranch_execnz .LBB167_13
; %bb.14:
	s_or_b32 exec_lo, exec_lo, s0
.LBB167_15:
	s_or_b32 exec_lo, exec_lo, s1
.LBB167_16:
	v_mbcnt_lo_u32_b32 v6, -1, 0
	v_xor_b32_e32 v7, 2, v6
	v_xor_b32_e32 v11, 1, v6
	v_cmp_gt_i32_e32 vcc_lo, 32, v7
	v_cndmask_b32_e32 v7, v6, v7, vcc_lo
	v_cmp_gt_i32_e32 vcc_lo, 32, v11
	v_lshlrev_b32_e32 v7, 2, v7
	v_cndmask_b32_e32 v6, v6, v11, vcc_lo
	v_cmp_eq_u32_e32 vcc_lo, 3, v0
	ds_bpermute_b32 v8, v7, v16
	ds_bpermute_b32 v9, v7, v13
	ds_bpermute_b32 v10, v7, v17
	ds_bpermute_b32 v7, v7, v14
	v_lshlrev_b32_e32 v11, 2, v6
	s_waitcnt lgkmcnt(3)
	v_add_f32_e32 v8, v16, v8
	s_waitcnt lgkmcnt(2)
	v_add_f32_e32 v9, v13, v9
	;; [unrolled: 2-line block ×4, first 2 shown]
	ds_bpermute_b32 v12, v11, v8
	ds_bpermute_b32 v13, v11, v9
	;; [unrolled: 1-line block ×4, first 2 shown]
	s_and_b32 exec_lo, exec_lo, vcc_lo
	s_cbranch_execz .LBB167_21
; %bb.17:
	s_load_dwordx2 s[2:3], s[4:5], 0x38
	v_cmp_eq_f32_e32 vcc_lo, 0, v3
	v_cmp_eq_f32_e64 s0, 0, v4
	s_waitcnt lgkmcnt(0)
	v_add_f32_e32 v0, v8, v12
	v_add_f32_e32 v8, v9, v13
	;; [unrolled: 1-line block ×4, first 2 shown]
	s_and_b32 s0, vcc_lo, s0
	s_and_saveexec_b32 s1, s0
	s_xor_b32 s0, exec_lo, s1
	s_cbranch_execz .LBB167_19
; %bb.18:
	v_lshlrev_b32_e32 v3, 1, v5
	v_mul_f32_e64 v9, v8, -v2
	v_mul_f32_e32 v10, v1, v8
	v_mul_f32_e64 v11, v7, -v2
	v_mul_f32_e32 v12, v1, v7
	v_ashrrev_i32_e32 v4, 31, v3
	v_fmac_f32_e32 v9, v1, v0
	v_fmac_f32_e32 v10, v2, v0
	;; [unrolled: 1-line block ×4, first 2 shown]
	v_lshlrev_b64 v[3:4], 3, v[3:4]
                                        ; implicit-def: $vgpr5
                                        ; implicit-def: $vgpr8
                                        ; implicit-def: $vgpr7
                                        ; implicit-def: $vgpr6
	v_add_co_u32 v0, vcc_lo, s2, v3
	v_add_co_ci_u32_e64 v1, null, s3, v4, vcc_lo
                                        ; implicit-def: $vgpr3_vgpr4
	global_store_dwordx4 v[0:1], v[9:12], off
                                        ; implicit-def: $vgpr1_vgpr2
                                        ; implicit-def: $vgpr0
.LBB167_19:
	s_andn2_saveexec_b32 s0, s0
	s_cbranch_execz .LBB167_21
; %bb.20:
	v_lshlrev_b32_e32 v9, 1, v5
	v_mul_f32_e64 v5, v8, -v2
	v_mul_f32_e32 v14, v1, v8
	v_mul_f32_e64 v8, v7, -v2
	v_mul_f32_e32 v16, v1, v7
	v_ashrrev_i32_e32 v10, 31, v9
	v_fmac_f32_e32 v5, v1, v0
	v_fmac_f32_e32 v14, v2, v0
	;; [unrolled: 1-line block ×4, first 2 shown]
	v_lshlrev_b64 v[9:10], 3, v[9:10]
	v_add_co_u32 v17, vcc_lo, s2, v9
	v_add_co_ci_u32_e64 v18, null, s3, v10, vcc_lo
	global_load_dwordx4 v[9:12], v[17:18], off
	s_waitcnt vmcnt(0)
	v_fmac_f32_e32 v5, v3, v9
	v_fmac_f32_e32 v14, v4, v9
	;; [unrolled: 1-line block ×4, first 2 shown]
	v_fma_f32 v13, -v4, v10, v5
	v_fmac_f32_e32 v14, v3, v10
	v_fma_f32 v15, -v4, v12, v8
	v_fmac_f32_e32 v16, v3, v12
	global_store_dwordx4 v[17:18], v[13:16], off
.LBB167_21:
	s_endpgm
	.section	.rodata,"a",@progbits
	.p2align	6, 0x0
	.amdhsa_kernel _ZN9rocsparseL19gebsrmvn_2xn_kernelILj128ELj5ELj4E21rocsparse_complex_numIfEEEvi20rocsparse_direction_NS_24const_host_device_scalarIT2_EEPKiS8_PKS5_SA_S6_PS5_21rocsparse_index_base_b
		.amdhsa_group_segment_fixed_size 0
		.amdhsa_private_segment_fixed_size 0
		.amdhsa_kernarg_size 72
		.amdhsa_user_sgpr_count 6
		.amdhsa_user_sgpr_private_segment_buffer 1
		.amdhsa_user_sgpr_dispatch_ptr 0
		.amdhsa_user_sgpr_queue_ptr 0
		.amdhsa_user_sgpr_kernarg_segment_ptr 1
		.amdhsa_user_sgpr_dispatch_id 0
		.amdhsa_user_sgpr_flat_scratch_init 0
		.amdhsa_user_sgpr_private_segment_size 0
		.amdhsa_wavefront_size32 1
		.amdhsa_uses_dynamic_stack 0
		.amdhsa_system_sgpr_private_segment_wavefront_offset 0
		.amdhsa_system_sgpr_workgroup_id_x 1
		.amdhsa_system_sgpr_workgroup_id_y 0
		.amdhsa_system_sgpr_workgroup_id_z 0
		.amdhsa_system_sgpr_workgroup_info 0
		.amdhsa_system_vgpr_workitem_id 0
		.amdhsa_next_free_vgpr 48
		.amdhsa_next_free_sgpr 16
		.amdhsa_reserve_vcc 1
		.amdhsa_reserve_flat_scratch 0
		.amdhsa_float_round_mode_32 0
		.amdhsa_float_round_mode_16_64 0
		.amdhsa_float_denorm_mode_32 3
		.amdhsa_float_denorm_mode_16_64 3
		.amdhsa_dx10_clamp 1
		.amdhsa_ieee_mode 1
		.amdhsa_fp16_overflow 0
		.amdhsa_workgroup_processor_mode 1
		.amdhsa_memory_ordered 1
		.amdhsa_forward_progress 1
		.amdhsa_shared_vgpr_count 0
		.amdhsa_exception_fp_ieee_invalid_op 0
		.amdhsa_exception_fp_denorm_src 0
		.amdhsa_exception_fp_ieee_div_zero 0
		.amdhsa_exception_fp_ieee_overflow 0
		.amdhsa_exception_fp_ieee_underflow 0
		.amdhsa_exception_fp_ieee_inexact 0
		.amdhsa_exception_int_div_zero 0
	.end_amdhsa_kernel
	.section	.text._ZN9rocsparseL19gebsrmvn_2xn_kernelILj128ELj5ELj4E21rocsparse_complex_numIfEEEvi20rocsparse_direction_NS_24const_host_device_scalarIT2_EEPKiS8_PKS5_SA_S6_PS5_21rocsparse_index_base_b,"axG",@progbits,_ZN9rocsparseL19gebsrmvn_2xn_kernelILj128ELj5ELj4E21rocsparse_complex_numIfEEEvi20rocsparse_direction_NS_24const_host_device_scalarIT2_EEPKiS8_PKS5_SA_S6_PS5_21rocsparse_index_base_b,comdat
.Lfunc_end167:
	.size	_ZN9rocsparseL19gebsrmvn_2xn_kernelILj128ELj5ELj4E21rocsparse_complex_numIfEEEvi20rocsparse_direction_NS_24const_host_device_scalarIT2_EEPKiS8_PKS5_SA_S6_PS5_21rocsparse_index_base_b, .Lfunc_end167-_ZN9rocsparseL19gebsrmvn_2xn_kernelILj128ELj5ELj4E21rocsparse_complex_numIfEEEvi20rocsparse_direction_NS_24const_host_device_scalarIT2_EEPKiS8_PKS5_SA_S6_PS5_21rocsparse_index_base_b
                                        ; -- End function
	.set _ZN9rocsparseL19gebsrmvn_2xn_kernelILj128ELj5ELj4E21rocsparse_complex_numIfEEEvi20rocsparse_direction_NS_24const_host_device_scalarIT2_EEPKiS8_PKS5_SA_S6_PS5_21rocsparse_index_base_b.num_vgpr, 48
	.set _ZN9rocsparseL19gebsrmvn_2xn_kernelILj128ELj5ELj4E21rocsparse_complex_numIfEEEvi20rocsparse_direction_NS_24const_host_device_scalarIT2_EEPKiS8_PKS5_SA_S6_PS5_21rocsparse_index_base_b.num_agpr, 0
	.set _ZN9rocsparseL19gebsrmvn_2xn_kernelILj128ELj5ELj4E21rocsparse_complex_numIfEEEvi20rocsparse_direction_NS_24const_host_device_scalarIT2_EEPKiS8_PKS5_SA_S6_PS5_21rocsparse_index_base_b.numbered_sgpr, 16
	.set _ZN9rocsparseL19gebsrmvn_2xn_kernelILj128ELj5ELj4E21rocsparse_complex_numIfEEEvi20rocsparse_direction_NS_24const_host_device_scalarIT2_EEPKiS8_PKS5_SA_S6_PS5_21rocsparse_index_base_b.num_named_barrier, 0
	.set _ZN9rocsparseL19gebsrmvn_2xn_kernelILj128ELj5ELj4E21rocsparse_complex_numIfEEEvi20rocsparse_direction_NS_24const_host_device_scalarIT2_EEPKiS8_PKS5_SA_S6_PS5_21rocsparse_index_base_b.private_seg_size, 0
	.set _ZN9rocsparseL19gebsrmvn_2xn_kernelILj128ELj5ELj4E21rocsparse_complex_numIfEEEvi20rocsparse_direction_NS_24const_host_device_scalarIT2_EEPKiS8_PKS5_SA_S6_PS5_21rocsparse_index_base_b.uses_vcc, 1
	.set _ZN9rocsparseL19gebsrmvn_2xn_kernelILj128ELj5ELj4E21rocsparse_complex_numIfEEEvi20rocsparse_direction_NS_24const_host_device_scalarIT2_EEPKiS8_PKS5_SA_S6_PS5_21rocsparse_index_base_b.uses_flat_scratch, 0
	.set _ZN9rocsparseL19gebsrmvn_2xn_kernelILj128ELj5ELj4E21rocsparse_complex_numIfEEEvi20rocsparse_direction_NS_24const_host_device_scalarIT2_EEPKiS8_PKS5_SA_S6_PS5_21rocsparse_index_base_b.has_dyn_sized_stack, 0
	.set _ZN9rocsparseL19gebsrmvn_2xn_kernelILj128ELj5ELj4E21rocsparse_complex_numIfEEEvi20rocsparse_direction_NS_24const_host_device_scalarIT2_EEPKiS8_PKS5_SA_S6_PS5_21rocsparse_index_base_b.has_recursion, 0
	.set _ZN9rocsparseL19gebsrmvn_2xn_kernelILj128ELj5ELj4E21rocsparse_complex_numIfEEEvi20rocsparse_direction_NS_24const_host_device_scalarIT2_EEPKiS8_PKS5_SA_S6_PS5_21rocsparse_index_base_b.has_indirect_call, 0
	.section	.AMDGPU.csdata,"",@progbits
; Kernel info:
; codeLenInByte = 2336
; TotalNumSgprs: 18
; NumVgprs: 48
; ScratchSize: 0
; MemoryBound: 0
; FloatMode: 240
; IeeeMode: 1
; LDSByteSize: 0 bytes/workgroup (compile time only)
; SGPRBlocks: 0
; VGPRBlocks: 5
; NumSGPRsForWavesPerEU: 18
; NumVGPRsForWavesPerEU: 48
; Occupancy: 16
; WaveLimiterHint : 1
; COMPUTE_PGM_RSRC2:SCRATCH_EN: 0
; COMPUTE_PGM_RSRC2:USER_SGPR: 6
; COMPUTE_PGM_RSRC2:TRAP_HANDLER: 0
; COMPUTE_PGM_RSRC2:TGID_X_EN: 1
; COMPUTE_PGM_RSRC2:TGID_Y_EN: 0
; COMPUTE_PGM_RSRC2:TGID_Z_EN: 0
; COMPUTE_PGM_RSRC2:TIDIG_COMP_CNT: 0
	.section	.text._ZN9rocsparseL19gebsrmvn_2xn_kernelILj128ELj5ELj8E21rocsparse_complex_numIfEEEvi20rocsparse_direction_NS_24const_host_device_scalarIT2_EEPKiS8_PKS5_SA_S6_PS5_21rocsparse_index_base_b,"axG",@progbits,_ZN9rocsparseL19gebsrmvn_2xn_kernelILj128ELj5ELj8E21rocsparse_complex_numIfEEEvi20rocsparse_direction_NS_24const_host_device_scalarIT2_EEPKiS8_PKS5_SA_S6_PS5_21rocsparse_index_base_b,comdat
	.globl	_ZN9rocsparseL19gebsrmvn_2xn_kernelILj128ELj5ELj8E21rocsparse_complex_numIfEEEvi20rocsparse_direction_NS_24const_host_device_scalarIT2_EEPKiS8_PKS5_SA_S6_PS5_21rocsparse_index_base_b ; -- Begin function _ZN9rocsparseL19gebsrmvn_2xn_kernelILj128ELj5ELj8E21rocsparse_complex_numIfEEEvi20rocsparse_direction_NS_24const_host_device_scalarIT2_EEPKiS8_PKS5_SA_S6_PS5_21rocsparse_index_base_b
	.p2align	8
	.type	_ZN9rocsparseL19gebsrmvn_2xn_kernelILj128ELj5ELj8E21rocsparse_complex_numIfEEEvi20rocsparse_direction_NS_24const_host_device_scalarIT2_EEPKiS8_PKS5_SA_S6_PS5_21rocsparse_index_base_b,@function
_ZN9rocsparseL19gebsrmvn_2xn_kernelILj128ELj5ELj8E21rocsparse_complex_numIfEEEvi20rocsparse_direction_NS_24const_host_device_scalarIT2_EEPKiS8_PKS5_SA_S6_PS5_21rocsparse_index_base_b: ; @_ZN9rocsparseL19gebsrmvn_2xn_kernelILj128ELj5ELj8E21rocsparse_complex_numIfEEEvi20rocsparse_direction_NS_24const_host_device_scalarIT2_EEPKiS8_PKS5_SA_S6_PS5_21rocsparse_index_base_b
; %bb.0:
	s_clause 0x2
	s_load_dwordx2 s[2:3], s[4:5], 0x40
	s_load_dwordx2 s[0:1], s[4:5], 0x8
	;; [unrolled: 1-line block ×3, first 2 shown]
	s_add_u32 s7, s4, 8
	s_addc_u32 s10, s5, 0
	s_add_u32 s11, s4, 48
	s_addc_u32 s12, s5, 0
	s_waitcnt lgkmcnt(0)
	s_bitcmp1_b32 s3, 0
	s_cselect_b32 s0, s7, s0
	s_cselect_b32 s1, s10, s1
	v_mov_b32_e32 v1, s0
	v_mov_b32_e32 v2, s1
	s_cselect_b32 s0, s11, s8
	s_cselect_b32 s1, s12, s9
	v_mov_b32_e32 v3, s0
	v_mov_b32_e32 v4, s1
	flat_load_dwordx2 v[1:2], v[1:2]
	flat_load_dwordx2 v[3:4], v[3:4]
	s_waitcnt vmcnt(1) lgkmcnt(1)
	v_cmp_eq_f32_e32 vcc_lo, 0, v1
	v_cmp_eq_f32_e64 s0, 0, v2
	s_and_b32 s3, vcc_lo, s0
	s_mov_b32 s0, -1
	s_and_saveexec_b32 s1, s3
	s_cbranch_execz .LBB168_2
; %bb.1:
	s_waitcnt vmcnt(0) lgkmcnt(0)
	v_cmp_neq_f32_e32 vcc_lo, 1.0, v3
	v_cmp_neq_f32_e64 s0, 0, v4
	s_or_b32 s0, vcc_lo, s0
	s_orn2_b32 s0, s0, exec_lo
.LBB168_2:
	s_or_b32 exec_lo, exec_lo, s1
	s_and_saveexec_b32 s1, s0
	s_cbranch_execz .LBB168_21
; %bb.3:
	s_load_dwordx2 s[0:1], s[4:5], 0x0
	v_lshrrev_b32_e32 v5, 3, v0
	v_lshl_or_b32 v5, s6, 4, v5
	s_waitcnt lgkmcnt(0)
	v_cmp_gt_i32_e32 vcc_lo, s0, v5
	s_and_b32 exec_lo, exec_lo, vcc_lo
	s_cbranch_execz .LBB168_21
; %bb.4:
	s_load_dwordx8 s[8:15], s[4:5], 0x10
	v_ashrrev_i32_e32 v6, 31, v5
	v_and_b32_e32 v0, 7, v0
	s_cmp_lg_u32 s1, 0
	v_lshlrev_b64 v[6:7], 2, v[5:6]
	s_waitcnt lgkmcnt(0)
	v_add_co_u32 v6, vcc_lo, s8, v6
	v_add_co_ci_u32_e64 v7, null, s9, v7, vcc_lo
	global_load_dwordx2 v[6:7], v[6:7], off
	s_waitcnt vmcnt(0)
	v_subrev_nc_u32_e32 v6, s2, v6
	v_subrev_nc_u32_e32 v15, s2, v7
	v_add_nc_u32_e32 v6, v6, v0
	v_cmp_lt_i32_e64 s0, v6, v15
	s_cbranch_scc0 .LBB168_10
; %bb.5:
	v_mov_b32_e32 v13, 0
	v_mov_b32_e32 v16, 0
	;; [unrolled: 1-line block ×4, first 2 shown]
	s_and_saveexec_b32 s1, s0
	s_cbranch_execz .LBB168_9
; %bb.6:
	v_mad_u64_u32 v[7:8], null, v6, 10, 8
	v_mov_b32_e32 v10, 0
	v_mov_b32_e32 v11, v6
	;; [unrolled: 1-line block ×6, first 2 shown]
	s_mov_b32 s3, 0
.LBB168_7:                              ; =>This Inner Loop Header: Depth=1
	v_ashrrev_i32_e32 v12, 31, v11
	v_mov_b32_e32 v31, v10
	v_lshlrev_b64 v[8:9], 2, v[11:12]
	v_add_nc_u32_e32 v11, 8, v11
	v_add_co_u32 v8, vcc_lo, s10, v8
	v_add_co_ci_u32_e64 v9, null, s11, v9, vcc_lo
	global_load_dword v12, v[8:9], off
	v_add_nc_u32_e32 v9, -8, v7
	v_mov_b32_e32 v8, v10
	v_lshlrev_b64 v[18:19], 3, v[9:10]
	v_add_nc_u32_e32 v9, -6, v7
	v_lshlrev_b64 v[20:21], 3, v[7:8]
	v_lshlrev_b64 v[8:9], 3, v[9:10]
	v_add_co_u32 v18, vcc_lo, s12, v18
	v_add_co_ci_u32_e64 v19, null, s13, v19, vcc_lo
	v_add_co_u32 v34, vcc_lo, s12, v20
	v_add_co_ci_u32_e64 v35, null, s13, v21, vcc_lo
	;; [unrolled: 2-line block ×3, first 2 shown]
	s_clause 0x1
	global_load_dwordx4 v[18:21], v[18:19], off
	global_load_dwordx4 v[22:25], v[8:9], off
	s_waitcnt vmcnt(2)
	v_subrev_nc_u32_e32 v8, s2, v12
	v_lshl_add_u32 v30, v8, 2, v8
	v_lshlrev_b64 v[26:27], 3, v[30:31]
	v_add_nc_u32_e32 v9, 1, v30
	v_lshlrev_b64 v[28:29], 3, v[9:10]
	v_add_co_u32 v26, vcc_lo, s14, v26
	v_add_co_ci_u32_e64 v27, null, s15, v27, vcc_lo
	v_add_nc_u32_e32 v9, -4, v7
	v_add_co_u32 v28, vcc_lo, s14, v28
	global_load_dwordx2 v[38:39], v[26:27], off
	v_add_co_ci_u32_e64 v29, null, s15, v29, vcc_lo
	v_lshlrev_b64 v[31:32], 3, v[9:10]
	v_add_nc_u32_e32 v9, 2, v30
	global_load_dwordx2 v[40:41], v[28:29], off
	v_lshlrev_b64 v[26:27], 3, v[9:10]
	v_add_nc_u32_e32 v9, -2, v7
	v_add_co_u32 v28, vcc_lo, s12, v31
	v_add_co_ci_u32_e64 v29, null, s13, v32, vcc_lo
	v_lshlrev_b64 v[31:32], 3, v[9:10]
	v_add_nc_u32_e32 v9, 3, v30
	v_add_co_u32 v36, vcc_lo, s14, v26
	v_add_co_ci_u32_e64 v37, null, s15, v27, vcc_lo
	v_lshlrev_b64 v[42:43], 3, v[9:10]
	global_load_dwordx4 v[26:29], v[28:29], off
	v_add_nc_u32_e32 v9, 4, v30
	global_load_dwordx2 v[44:45], v[36:37], off
	v_add_co_u32 v30, vcc_lo, s12, v31
	v_add_co_ci_u32_e64 v31, null, s13, v32, vcc_lo
	v_add_co_u32 v36, vcc_lo, s14, v42
	v_add_co_ci_u32_e64 v37, null, s15, v43, vcc_lo
	v_lshlrev_b64 v[8:9], 3, v[9:10]
	global_load_dwordx4 v[30:33], v[30:31], off
	global_load_dwordx2 v[42:43], v[36:37], off
	v_add_nc_u32_e32 v7, 0x50, v7
	v_add_co_u32 v8, vcc_lo, s14, v8
	v_add_co_ci_u32_e64 v9, null, s15, v9, vcc_lo
	global_load_dwordx4 v[34:37], v[34:35], off
	global_load_dwordx2 v[8:9], v[8:9], off
	v_cmp_ge_i32_e32 vcc_lo, v11, v15
	s_or_b32 s3, vcc_lo, s3
	s_waitcnt vmcnt(7)
	v_fmac_f32_e32 v16, v18, v38
	v_fmac_f32_e32 v13, v19, v38
	v_fmac_f32_e32 v17, v20, v38
	v_fmac_f32_e32 v14, v21, v38
	v_fma_f32 v12, -v19, v39, v16
	v_fmac_f32_e32 v13, v18, v39
	v_fma_f32 v16, -v21, v39, v17
	v_fmac_f32_e32 v14, v20, v39
	s_waitcnt vmcnt(6)
	v_fmac_f32_e32 v12, v22, v40
	v_fmac_f32_e32 v13, v23, v40
	v_fmac_f32_e32 v16, v24, v40
	v_fmac_f32_e32 v14, v25, v40
	v_fma_f32 v12, -v23, v41, v12
	v_fmac_f32_e32 v13, v22, v41
	v_fma_f32 v16, -v25, v41, v16
	v_fmac_f32_e32 v14, v24, v41
	;; [unrolled: 9-line block ×5, first 2 shown]
	s_andn2_b32 exec_lo, exec_lo, s3
	s_cbranch_execnz .LBB168_7
; %bb.8:
	s_or_b32 exec_lo, exec_lo, s3
.LBB168_9:
	s_or_b32 exec_lo, exec_lo, s1
	s_cbranch_execz .LBB168_11
	s_branch .LBB168_16
.LBB168_10:
                                        ; implicit-def: $vgpr13
                                        ; implicit-def: $vgpr16
                                        ; implicit-def: $vgpr17
                                        ; implicit-def: $vgpr14
.LBB168_11:
	v_mov_b32_e32 v13, 0
	v_mov_b32_e32 v16, 0
	;; [unrolled: 1-line block ×4, first 2 shown]
	s_and_saveexec_b32 s1, s0
	s_cbranch_execz .LBB168_15
; %bb.12:
	v_mad_u64_u32 v[8:9], null, v6, 10, 9
	v_mov_b32_e32 v11, 0
	v_mov_b32_e32 v13, 0
	;; [unrolled: 1-line block ×5, first 2 shown]
	s_mov_b32 s0, 0
.LBB168_13:                             ; =>This Inner Loop Header: Depth=1
	v_ashrrev_i32_e32 v7, 31, v6
	v_add_nc_u32_e32 v18, -4, v8
	v_mov_b32_e32 v19, v11
	v_mov_b32_e32 v23, v11
	v_lshlrev_b64 v[9:10], 2, v[6:7]
	v_add_nc_u32_e32 v6, 8, v6
	v_lshlrev_b64 v[18:19], 3, v[18:19]
	v_add_co_u32 v9, vcc_lo, s10, v9
	v_add_co_ci_u32_e64 v10, null, s11, v10, vcc_lo
	global_load_dword v7, v[9:10], off
	v_add_nc_u32_e32 v10, -9, v8
	v_mov_b32_e32 v9, v11
	v_lshlrev_b64 v[20:21], 3, v[10:11]
	v_lshlrev_b64 v[9:10], 3, v[8:9]
	v_add_co_u32 v20, vcc_lo, s12, v20
	v_add_co_ci_u32_e64 v21, null, s13, v21, vcc_lo
	v_add_co_u32 v24, vcc_lo, s12, v18
	v_add_co_ci_u32_e64 v25, null, s13, v19, vcc_lo
	;; [unrolled: 2-line block ×3, first 2 shown]
	s_clause 0x2
	global_load_dwordx4 v[18:21], v[20:21], off
	global_load_dwordx2 v[24:25], v[24:25], off
	global_load_dwordx2 v[26:27], v[9:10], off
	s_waitcnt vmcnt(3)
	v_subrev_nc_u32_e32 v7, s2, v7
	v_lshl_add_u32 v22, v7, 2, v7
	v_add_nc_u32_e32 v10, 1, v22
	v_lshlrev_b64 v[28:29], 3, v[22:23]
	v_lshlrev_b64 v[30:31], 3, v[10:11]
	v_add_nc_u32_e32 v10, -3, v8
	v_add_co_u32 v28, vcc_lo, s14, v28
	v_add_co_ci_u32_e64 v29, null, s15, v29, vcc_lo
	v_lshlrev_b64 v[32:33], 3, v[10:11]
	v_add_nc_u32_e32 v10, -7, v8
	v_add_co_u32 v30, vcc_lo, s14, v30
	global_load_dwordx2 v[28:29], v[28:29], off
	v_add_co_ci_u32_e64 v31, null, s15, v31, vcc_lo
	v_lshlrev_b64 v[34:35], 3, v[10:11]
	v_add_nc_u32_e32 v10, 2, v22
	v_add_co_u32 v32, vcc_lo, s12, v32
	v_add_co_ci_u32_e64 v33, null, s13, v33, vcc_lo
	v_lshlrev_b64 v[36:37], 3, v[10:11]
	v_add_nc_u32_e32 v10, -2, v8
	v_add_co_u32 v34, vcc_lo, s12, v34
	global_load_dwordx2 v[30:31], v[30:31], off
	global_load_dwordx2 v[32:33], v[32:33], off
	v_lshlrev_b64 v[38:39], 3, v[10:11]
	v_add_nc_u32_e32 v10, -6, v8
	v_add_co_ci_u32_e64 v35, null, s13, v35, vcc_lo
	v_add_co_u32 v36, vcc_lo, s14, v36
	v_lshlrev_b64 v[40:41], 3, v[10:11]
	v_add_nc_u32_e32 v10, 3, v22
	v_add_co_ci_u32_e64 v37, null, s15, v37, vcc_lo
	v_add_co_u32 v38, vcc_lo, s12, v38
	v_lshlrev_b64 v[42:43], 3, v[10:11]
	v_add_nc_u32_e32 v10, -1, v8
	v_add_co_ci_u32_e64 v39, null, s13, v39, vcc_lo
	v_add_co_u32 v40, vcc_lo, s12, v40
	v_lshlrev_b64 v[44:45], 3, v[10:11]
	v_add_nc_u32_e32 v10, -5, v8
	global_load_dwordx2 v[34:35], v[34:35], off
	global_load_dwordx2 v[36:37], v[36:37], off
	;; [unrolled: 1-line block ×3, first 2 shown]
	v_add_co_ci_u32_e64 v41, null, s13, v41, vcc_lo
	v_add_co_u32 v42, vcc_lo, s14, v42
	v_add_co_ci_u32_e64 v43, null, s15, v43, vcc_lo
	v_lshlrev_b64 v[46:47], 3, v[10:11]
	v_add_nc_u32_e32 v10, 4, v22
	v_add_co_u32 v22, vcc_lo, s12, v44
	v_add_co_ci_u32_e64 v23, null, s13, v45, vcc_lo
	v_lshlrev_b64 v[9:10], 3, v[10:11]
	global_load_dwordx2 v[40:41], v[40:41], off
	global_load_dwordx2 v[42:43], v[42:43], off
	;; [unrolled: 1-line block ×3, first 2 shown]
	v_add_co_u32 v44, vcc_lo, s12, v46
	v_add_co_ci_u32_e64 v45, null, s13, v47, vcc_lo
	v_add_co_u32 v9, vcc_lo, s14, v9
	v_add_co_ci_u32_e64 v10, null, s15, v10, vcc_lo
	global_load_dwordx2 v[44:45], v[44:45], off
	global_load_dwordx2 v[9:10], v[9:10], off
	v_cmp_ge_i32_e32 vcc_lo, v6, v15
	v_add_nc_u32_e32 v8, 0x50, v8
	s_or_b32 s0, vcc_lo, s0
	s_waitcnt vmcnt(10)
	v_fmac_f32_e32 v16, v18, v28
	v_fmac_f32_e32 v13, v19, v28
	;; [unrolled: 1-line block ×4, first 2 shown]
	v_fma_f32 v7, -v19, v29, v16
	v_fmac_f32_e32 v13, v18, v29
	v_fma_f32 v12, -v25, v29, v17
	v_fmac_f32_e32 v14, v24, v29
	s_waitcnt vmcnt(9)
	v_fmac_f32_e32 v7, v20, v30
	v_fmac_f32_e32 v13, v21, v30
	s_waitcnt vmcnt(8)
	v_fmac_f32_e32 v12, v32, v30
	v_fmac_f32_e32 v14, v33, v30
	v_fma_f32 v7, -v21, v31, v7
	v_fmac_f32_e32 v13, v20, v31
	v_fma_f32 v12, -v33, v31, v12
	v_fmac_f32_e32 v14, v32, v31
	s_waitcnt vmcnt(6)
	v_fmac_f32_e32 v7, v34, v36
	v_fmac_f32_e32 v13, v35, v36
	s_waitcnt vmcnt(5)
	v_fmac_f32_e32 v12, v38, v36
	v_fmac_f32_e32 v14, v39, v36
	;; [unrolled: 10-line block ×3, first 2 shown]
	v_fma_f32 v7, -v41, v43, v7
	v_fmac_f32_e32 v13, v40, v43
	v_fma_f32 v12, -v23, v43, v12
	v_fmac_f32_e32 v14, v22, v43
	s_waitcnt vmcnt(0)
	v_fmac_f32_e32 v7, v44, v9
	v_fmac_f32_e32 v13, v45, v9
	;; [unrolled: 1-line block ×4, first 2 shown]
	v_fma_f32 v16, -v45, v10, v7
	v_fmac_f32_e32 v13, v44, v10
	v_fma_f32 v17, -v27, v10, v12
	v_fmac_f32_e32 v14, v26, v10
	s_andn2_b32 exec_lo, exec_lo, s0
	s_cbranch_execnz .LBB168_13
; %bb.14:
	s_or_b32 exec_lo, exec_lo, s0
.LBB168_15:
	s_or_b32 exec_lo, exec_lo, s1
.LBB168_16:
	v_mbcnt_lo_u32_b32 v6, -1, 0
	v_xor_b32_e32 v7, 4, v6
	v_xor_b32_e32 v11, 2, v6
	;; [unrolled: 1-line block ×3, first 2 shown]
	v_cmp_gt_i32_e32 vcc_lo, 32, v7
	v_cndmask_b32_e32 v7, v6, v7, vcc_lo
	v_cmp_gt_i32_e32 vcc_lo, 32, v11
	v_lshlrev_b32_e32 v7, 2, v7
	v_cndmask_b32_e32 v11, v6, v11, vcc_lo
	v_cmp_gt_i32_e32 vcc_lo, 32, v15
	ds_bpermute_b32 v8, v7, v16
	ds_bpermute_b32 v9, v7, v13
	;; [unrolled: 1-line block ×4, first 2 shown]
	v_lshlrev_b32_e32 v11, 2, v11
	v_cndmask_b32_e32 v6, v6, v15, vcc_lo
	v_cmp_eq_u32_e32 vcc_lo, 7, v0
	v_lshlrev_b32_e32 v15, 2, v6
	s_waitcnt lgkmcnt(3)
	v_add_f32_e32 v8, v16, v8
	s_waitcnt lgkmcnt(2)
	v_add_f32_e32 v9, v13, v9
	;; [unrolled: 2-line block ×4, first 2 shown]
	ds_bpermute_b32 v12, v11, v8
	ds_bpermute_b32 v13, v11, v9
	;; [unrolled: 1-line block ×4, first 2 shown]
	s_waitcnt lgkmcnt(3)
	v_add_f32_e32 v8, v8, v12
	s_waitcnt lgkmcnt(2)
	v_add_f32_e32 v9, v9, v13
	;; [unrolled: 2-line block ×4, first 2 shown]
	ds_bpermute_b32 v12, v15, v8
	ds_bpermute_b32 v13, v15, v9
	;; [unrolled: 1-line block ×4, first 2 shown]
	s_and_b32 exec_lo, exec_lo, vcc_lo
	s_cbranch_execz .LBB168_21
; %bb.17:
	s_load_dwordx2 s[2:3], s[4:5], 0x38
	v_cmp_eq_f32_e32 vcc_lo, 0, v3
	v_cmp_eq_f32_e64 s0, 0, v4
	s_waitcnt lgkmcnt(0)
	v_add_f32_e32 v0, v8, v12
	v_add_f32_e32 v8, v9, v13
	;; [unrolled: 1-line block ×4, first 2 shown]
	s_and_b32 s0, vcc_lo, s0
	s_and_saveexec_b32 s1, s0
	s_xor_b32 s0, exec_lo, s1
	s_cbranch_execz .LBB168_19
; %bb.18:
	v_lshlrev_b32_e32 v3, 1, v5
	v_mul_f32_e64 v9, v8, -v2
	v_mul_f32_e32 v10, v1, v8
	v_mul_f32_e64 v11, v7, -v2
	v_mul_f32_e32 v12, v1, v7
	v_ashrrev_i32_e32 v4, 31, v3
	v_fmac_f32_e32 v9, v1, v0
	v_fmac_f32_e32 v10, v2, v0
	;; [unrolled: 1-line block ×4, first 2 shown]
	v_lshlrev_b64 v[3:4], 3, v[3:4]
                                        ; implicit-def: $vgpr5
                                        ; implicit-def: $vgpr8
                                        ; implicit-def: $vgpr7
                                        ; implicit-def: $vgpr6
	v_add_co_u32 v0, vcc_lo, s2, v3
	v_add_co_ci_u32_e64 v1, null, s3, v4, vcc_lo
                                        ; implicit-def: $vgpr3_vgpr4
	global_store_dwordx4 v[0:1], v[9:12], off
                                        ; implicit-def: $vgpr1_vgpr2
                                        ; implicit-def: $vgpr0
.LBB168_19:
	s_andn2_saveexec_b32 s0, s0
	s_cbranch_execz .LBB168_21
; %bb.20:
	v_lshlrev_b32_e32 v9, 1, v5
	v_mul_f32_e64 v5, v8, -v2
	v_mul_f32_e32 v14, v1, v8
	v_mul_f32_e64 v8, v7, -v2
	v_mul_f32_e32 v16, v1, v7
	v_ashrrev_i32_e32 v10, 31, v9
	v_fmac_f32_e32 v5, v1, v0
	v_fmac_f32_e32 v14, v2, v0
	;; [unrolled: 1-line block ×4, first 2 shown]
	v_lshlrev_b64 v[9:10], 3, v[9:10]
	v_add_co_u32 v17, vcc_lo, s2, v9
	v_add_co_ci_u32_e64 v18, null, s3, v10, vcc_lo
	global_load_dwordx4 v[9:12], v[17:18], off
	s_waitcnt vmcnt(0)
	v_fmac_f32_e32 v5, v3, v9
	v_fmac_f32_e32 v14, v4, v9
	;; [unrolled: 1-line block ×4, first 2 shown]
	v_fma_f32 v13, -v4, v10, v5
	v_fmac_f32_e32 v14, v3, v10
	v_fma_f32 v15, -v4, v12, v8
	v_fmac_f32_e32 v16, v3, v12
	global_store_dwordx4 v[17:18], v[13:16], off
.LBB168_21:
	s_endpgm
	.section	.rodata,"a",@progbits
	.p2align	6, 0x0
	.amdhsa_kernel _ZN9rocsparseL19gebsrmvn_2xn_kernelILj128ELj5ELj8E21rocsparse_complex_numIfEEEvi20rocsparse_direction_NS_24const_host_device_scalarIT2_EEPKiS8_PKS5_SA_S6_PS5_21rocsparse_index_base_b
		.amdhsa_group_segment_fixed_size 0
		.amdhsa_private_segment_fixed_size 0
		.amdhsa_kernarg_size 72
		.amdhsa_user_sgpr_count 6
		.amdhsa_user_sgpr_private_segment_buffer 1
		.amdhsa_user_sgpr_dispatch_ptr 0
		.amdhsa_user_sgpr_queue_ptr 0
		.amdhsa_user_sgpr_kernarg_segment_ptr 1
		.amdhsa_user_sgpr_dispatch_id 0
		.amdhsa_user_sgpr_flat_scratch_init 0
		.amdhsa_user_sgpr_private_segment_size 0
		.amdhsa_wavefront_size32 1
		.amdhsa_uses_dynamic_stack 0
		.amdhsa_system_sgpr_private_segment_wavefront_offset 0
		.amdhsa_system_sgpr_workgroup_id_x 1
		.amdhsa_system_sgpr_workgroup_id_y 0
		.amdhsa_system_sgpr_workgroup_id_z 0
		.amdhsa_system_sgpr_workgroup_info 0
		.amdhsa_system_vgpr_workitem_id 0
		.amdhsa_next_free_vgpr 48
		.amdhsa_next_free_sgpr 16
		.amdhsa_reserve_vcc 1
		.amdhsa_reserve_flat_scratch 0
		.amdhsa_float_round_mode_32 0
		.amdhsa_float_round_mode_16_64 0
		.amdhsa_float_denorm_mode_32 3
		.amdhsa_float_denorm_mode_16_64 3
		.amdhsa_dx10_clamp 1
		.amdhsa_ieee_mode 1
		.amdhsa_fp16_overflow 0
		.amdhsa_workgroup_processor_mode 1
		.amdhsa_memory_ordered 1
		.amdhsa_forward_progress 1
		.amdhsa_shared_vgpr_count 0
		.amdhsa_exception_fp_ieee_invalid_op 0
		.amdhsa_exception_fp_denorm_src 0
		.amdhsa_exception_fp_ieee_div_zero 0
		.amdhsa_exception_fp_ieee_overflow 0
		.amdhsa_exception_fp_ieee_underflow 0
		.amdhsa_exception_fp_ieee_inexact 0
		.amdhsa_exception_int_div_zero 0
	.end_amdhsa_kernel
	.section	.text._ZN9rocsparseL19gebsrmvn_2xn_kernelILj128ELj5ELj8E21rocsparse_complex_numIfEEEvi20rocsparse_direction_NS_24const_host_device_scalarIT2_EEPKiS8_PKS5_SA_S6_PS5_21rocsparse_index_base_b,"axG",@progbits,_ZN9rocsparseL19gebsrmvn_2xn_kernelILj128ELj5ELj8E21rocsparse_complex_numIfEEEvi20rocsparse_direction_NS_24const_host_device_scalarIT2_EEPKiS8_PKS5_SA_S6_PS5_21rocsparse_index_base_b,comdat
.Lfunc_end168:
	.size	_ZN9rocsparseL19gebsrmvn_2xn_kernelILj128ELj5ELj8E21rocsparse_complex_numIfEEEvi20rocsparse_direction_NS_24const_host_device_scalarIT2_EEPKiS8_PKS5_SA_S6_PS5_21rocsparse_index_base_b, .Lfunc_end168-_ZN9rocsparseL19gebsrmvn_2xn_kernelILj128ELj5ELj8E21rocsparse_complex_numIfEEEvi20rocsparse_direction_NS_24const_host_device_scalarIT2_EEPKiS8_PKS5_SA_S6_PS5_21rocsparse_index_base_b
                                        ; -- End function
	.set _ZN9rocsparseL19gebsrmvn_2xn_kernelILj128ELj5ELj8E21rocsparse_complex_numIfEEEvi20rocsparse_direction_NS_24const_host_device_scalarIT2_EEPKiS8_PKS5_SA_S6_PS5_21rocsparse_index_base_b.num_vgpr, 48
	.set _ZN9rocsparseL19gebsrmvn_2xn_kernelILj128ELj5ELj8E21rocsparse_complex_numIfEEEvi20rocsparse_direction_NS_24const_host_device_scalarIT2_EEPKiS8_PKS5_SA_S6_PS5_21rocsparse_index_base_b.num_agpr, 0
	.set _ZN9rocsparseL19gebsrmvn_2xn_kernelILj128ELj5ELj8E21rocsparse_complex_numIfEEEvi20rocsparse_direction_NS_24const_host_device_scalarIT2_EEPKiS8_PKS5_SA_S6_PS5_21rocsparse_index_base_b.numbered_sgpr, 16
	.set _ZN9rocsparseL19gebsrmvn_2xn_kernelILj128ELj5ELj8E21rocsparse_complex_numIfEEEvi20rocsparse_direction_NS_24const_host_device_scalarIT2_EEPKiS8_PKS5_SA_S6_PS5_21rocsparse_index_base_b.num_named_barrier, 0
	.set _ZN9rocsparseL19gebsrmvn_2xn_kernelILj128ELj5ELj8E21rocsparse_complex_numIfEEEvi20rocsparse_direction_NS_24const_host_device_scalarIT2_EEPKiS8_PKS5_SA_S6_PS5_21rocsparse_index_base_b.private_seg_size, 0
	.set _ZN9rocsparseL19gebsrmvn_2xn_kernelILj128ELj5ELj8E21rocsparse_complex_numIfEEEvi20rocsparse_direction_NS_24const_host_device_scalarIT2_EEPKiS8_PKS5_SA_S6_PS5_21rocsparse_index_base_b.uses_vcc, 1
	.set _ZN9rocsparseL19gebsrmvn_2xn_kernelILj128ELj5ELj8E21rocsparse_complex_numIfEEEvi20rocsparse_direction_NS_24const_host_device_scalarIT2_EEPKiS8_PKS5_SA_S6_PS5_21rocsparse_index_base_b.uses_flat_scratch, 0
	.set _ZN9rocsparseL19gebsrmvn_2xn_kernelILj128ELj5ELj8E21rocsparse_complex_numIfEEEvi20rocsparse_direction_NS_24const_host_device_scalarIT2_EEPKiS8_PKS5_SA_S6_PS5_21rocsparse_index_base_b.has_dyn_sized_stack, 0
	.set _ZN9rocsparseL19gebsrmvn_2xn_kernelILj128ELj5ELj8E21rocsparse_complex_numIfEEEvi20rocsparse_direction_NS_24const_host_device_scalarIT2_EEPKiS8_PKS5_SA_S6_PS5_21rocsparse_index_base_b.has_recursion, 0
	.set _ZN9rocsparseL19gebsrmvn_2xn_kernelILj128ELj5ELj8E21rocsparse_complex_numIfEEEvi20rocsparse_direction_NS_24const_host_device_scalarIT2_EEPKiS8_PKS5_SA_S6_PS5_21rocsparse_index_base_b.has_indirect_call, 0
	.section	.AMDGPU.csdata,"",@progbits
; Kernel info:
; codeLenInByte = 2424
; TotalNumSgprs: 18
; NumVgprs: 48
; ScratchSize: 0
; MemoryBound: 0
; FloatMode: 240
; IeeeMode: 1
; LDSByteSize: 0 bytes/workgroup (compile time only)
; SGPRBlocks: 0
; VGPRBlocks: 5
; NumSGPRsForWavesPerEU: 18
; NumVGPRsForWavesPerEU: 48
; Occupancy: 16
; WaveLimiterHint : 1
; COMPUTE_PGM_RSRC2:SCRATCH_EN: 0
; COMPUTE_PGM_RSRC2:USER_SGPR: 6
; COMPUTE_PGM_RSRC2:TRAP_HANDLER: 0
; COMPUTE_PGM_RSRC2:TGID_X_EN: 1
; COMPUTE_PGM_RSRC2:TGID_Y_EN: 0
; COMPUTE_PGM_RSRC2:TGID_Z_EN: 0
; COMPUTE_PGM_RSRC2:TIDIG_COMP_CNT: 0
	.section	.text._ZN9rocsparseL19gebsrmvn_2xn_kernelILj128ELj5ELj16E21rocsparse_complex_numIfEEEvi20rocsparse_direction_NS_24const_host_device_scalarIT2_EEPKiS8_PKS5_SA_S6_PS5_21rocsparse_index_base_b,"axG",@progbits,_ZN9rocsparseL19gebsrmvn_2xn_kernelILj128ELj5ELj16E21rocsparse_complex_numIfEEEvi20rocsparse_direction_NS_24const_host_device_scalarIT2_EEPKiS8_PKS5_SA_S6_PS5_21rocsparse_index_base_b,comdat
	.globl	_ZN9rocsparseL19gebsrmvn_2xn_kernelILj128ELj5ELj16E21rocsparse_complex_numIfEEEvi20rocsparse_direction_NS_24const_host_device_scalarIT2_EEPKiS8_PKS5_SA_S6_PS5_21rocsparse_index_base_b ; -- Begin function _ZN9rocsparseL19gebsrmvn_2xn_kernelILj128ELj5ELj16E21rocsparse_complex_numIfEEEvi20rocsparse_direction_NS_24const_host_device_scalarIT2_EEPKiS8_PKS5_SA_S6_PS5_21rocsparse_index_base_b
	.p2align	8
	.type	_ZN9rocsparseL19gebsrmvn_2xn_kernelILj128ELj5ELj16E21rocsparse_complex_numIfEEEvi20rocsparse_direction_NS_24const_host_device_scalarIT2_EEPKiS8_PKS5_SA_S6_PS5_21rocsparse_index_base_b,@function
_ZN9rocsparseL19gebsrmvn_2xn_kernelILj128ELj5ELj16E21rocsparse_complex_numIfEEEvi20rocsparse_direction_NS_24const_host_device_scalarIT2_EEPKiS8_PKS5_SA_S6_PS5_21rocsparse_index_base_b: ; @_ZN9rocsparseL19gebsrmvn_2xn_kernelILj128ELj5ELj16E21rocsparse_complex_numIfEEEvi20rocsparse_direction_NS_24const_host_device_scalarIT2_EEPKiS8_PKS5_SA_S6_PS5_21rocsparse_index_base_b
; %bb.0:
	s_clause 0x2
	s_load_dwordx2 s[2:3], s[4:5], 0x40
	s_load_dwordx2 s[0:1], s[4:5], 0x8
	;; [unrolled: 1-line block ×3, first 2 shown]
	s_add_u32 s7, s4, 8
	s_addc_u32 s10, s5, 0
	s_add_u32 s11, s4, 48
	s_addc_u32 s12, s5, 0
	s_waitcnt lgkmcnt(0)
	s_bitcmp1_b32 s3, 0
	s_cselect_b32 s0, s7, s0
	s_cselect_b32 s1, s10, s1
	v_mov_b32_e32 v1, s0
	v_mov_b32_e32 v2, s1
	s_cselect_b32 s0, s11, s8
	s_cselect_b32 s1, s12, s9
	v_mov_b32_e32 v3, s0
	v_mov_b32_e32 v4, s1
	flat_load_dwordx2 v[1:2], v[1:2]
	flat_load_dwordx2 v[3:4], v[3:4]
	s_waitcnt vmcnt(1) lgkmcnt(1)
	v_cmp_eq_f32_e32 vcc_lo, 0, v1
	v_cmp_eq_f32_e64 s0, 0, v2
	s_and_b32 s3, vcc_lo, s0
	s_mov_b32 s0, -1
	s_and_saveexec_b32 s1, s3
	s_cbranch_execz .LBB169_2
; %bb.1:
	s_waitcnt vmcnt(0) lgkmcnt(0)
	v_cmp_neq_f32_e32 vcc_lo, 1.0, v3
	v_cmp_neq_f32_e64 s0, 0, v4
	s_or_b32 s0, vcc_lo, s0
	s_orn2_b32 s0, s0, exec_lo
.LBB169_2:
	s_or_b32 exec_lo, exec_lo, s1
	s_and_saveexec_b32 s1, s0
	s_cbranch_execz .LBB169_21
; %bb.3:
	s_load_dwordx2 s[0:1], s[4:5], 0x0
	v_lshrrev_b32_e32 v5, 4, v0
	v_lshl_or_b32 v5, s6, 3, v5
	s_waitcnt lgkmcnt(0)
	v_cmp_gt_i32_e32 vcc_lo, s0, v5
	s_and_b32 exec_lo, exec_lo, vcc_lo
	s_cbranch_execz .LBB169_21
; %bb.4:
	s_load_dwordx8 s[8:15], s[4:5], 0x10
	v_ashrrev_i32_e32 v6, 31, v5
	v_and_b32_e32 v0, 15, v0
	s_cmp_lg_u32 s1, 0
	v_lshlrev_b64 v[6:7], 2, v[5:6]
	s_waitcnt lgkmcnt(0)
	v_add_co_u32 v6, vcc_lo, s8, v6
	v_add_co_ci_u32_e64 v7, null, s9, v7, vcc_lo
	global_load_dwordx2 v[6:7], v[6:7], off
	s_waitcnt vmcnt(0)
	v_subrev_nc_u32_e32 v6, s2, v6
	v_subrev_nc_u32_e32 v15, s2, v7
	v_add_nc_u32_e32 v6, v6, v0
	v_cmp_lt_i32_e64 s0, v6, v15
	s_cbranch_scc0 .LBB169_10
; %bb.5:
	v_mov_b32_e32 v13, 0
	v_mov_b32_e32 v16, 0
	;; [unrolled: 1-line block ×4, first 2 shown]
	s_and_saveexec_b32 s1, s0
	s_cbranch_execz .LBB169_9
; %bb.6:
	v_mad_u64_u32 v[7:8], null, v6, 10, 8
	v_mov_b32_e32 v10, 0
	v_mov_b32_e32 v11, v6
	;; [unrolled: 1-line block ×6, first 2 shown]
	s_mov_b32 s3, 0
.LBB169_7:                              ; =>This Inner Loop Header: Depth=1
	v_ashrrev_i32_e32 v12, 31, v11
	v_mov_b32_e32 v31, v10
	v_lshlrev_b64 v[8:9], 2, v[11:12]
	v_add_nc_u32_e32 v11, 16, v11
	v_add_co_u32 v8, vcc_lo, s10, v8
	v_add_co_ci_u32_e64 v9, null, s11, v9, vcc_lo
	global_load_dword v12, v[8:9], off
	v_add_nc_u32_e32 v9, -8, v7
	v_mov_b32_e32 v8, v10
	v_lshlrev_b64 v[18:19], 3, v[9:10]
	v_add_nc_u32_e32 v9, -6, v7
	v_lshlrev_b64 v[20:21], 3, v[7:8]
	v_lshlrev_b64 v[8:9], 3, v[9:10]
	v_add_co_u32 v18, vcc_lo, s12, v18
	v_add_co_ci_u32_e64 v19, null, s13, v19, vcc_lo
	v_add_co_u32 v34, vcc_lo, s12, v20
	v_add_co_ci_u32_e64 v35, null, s13, v21, vcc_lo
	;; [unrolled: 2-line block ×3, first 2 shown]
	s_clause 0x1
	global_load_dwordx4 v[18:21], v[18:19], off
	global_load_dwordx4 v[22:25], v[8:9], off
	s_waitcnt vmcnt(2)
	v_subrev_nc_u32_e32 v8, s2, v12
	v_lshl_add_u32 v30, v8, 2, v8
	v_lshlrev_b64 v[26:27], 3, v[30:31]
	v_add_nc_u32_e32 v9, 1, v30
	v_lshlrev_b64 v[28:29], 3, v[9:10]
	v_add_co_u32 v26, vcc_lo, s14, v26
	v_add_co_ci_u32_e64 v27, null, s15, v27, vcc_lo
	v_add_nc_u32_e32 v9, -4, v7
	v_add_co_u32 v28, vcc_lo, s14, v28
	global_load_dwordx2 v[38:39], v[26:27], off
	v_add_co_ci_u32_e64 v29, null, s15, v29, vcc_lo
	v_lshlrev_b64 v[31:32], 3, v[9:10]
	v_add_nc_u32_e32 v9, 2, v30
	global_load_dwordx2 v[40:41], v[28:29], off
	v_lshlrev_b64 v[26:27], 3, v[9:10]
	v_add_nc_u32_e32 v9, -2, v7
	v_add_co_u32 v28, vcc_lo, s12, v31
	v_add_co_ci_u32_e64 v29, null, s13, v32, vcc_lo
	v_lshlrev_b64 v[31:32], 3, v[9:10]
	v_add_nc_u32_e32 v9, 3, v30
	v_add_co_u32 v36, vcc_lo, s14, v26
	v_add_co_ci_u32_e64 v37, null, s15, v27, vcc_lo
	v_lshlrev_b64 v[42:43], 3, v[9:10]
	global_load_dwordx4 v[26:29], v[28:29], off
	v_add_nc_u32_e32 v9, 4, v30
	global_load_dwordx2 v[44:45], v[36:37], off
	v_add_co_u32 v30, vcc_lo, s12, v31
	v_add_co_ci_u32_e64 v31, null, s13, v32, vcc_lo
	v_add_co_u32 v36, vcc_lo, s14, v42
	v_add_co_ci_u32_e64 v37, null, s15, v43, vcc_lo
	v_lshlrev_b64 v[8:9], 3, v[9:10]
	global_load_dwordx4 v[30:33], v[30:31], off
	global_load_dwordx2 v[42:43], v[36:37], off
	v_add_nc_u32_e32 v7, 0xa0, v7
	v_add_co_u32 v8, vcc_lo, s14, v8
	v_add_co_ci_u32_e64 v9, null, s15, v9, vcc_lo
	global_load_dwordx4 v[34:37], v[34:35], off
	global_load_dwordx2 v[8:9], v[8:9], off
	v_cmp_ge_i32_e32 vcc_lo, v11, v15
	s_or_b32 s3, vcc_lo, s3
	s_waitcnt vmcnt(7)
	v_fmac_f32_e32 v16, v18, v38
	v_fmac_f32_e32 v13, v19, v38
	v_fmac_f32_e32 v17, v20, v38
	v_fmac_f32_e32 v14, v21, v38
	v_fma_f32 v12, -v19, v39, v16
	v_fmac_f32_e32 v13, v18, v39
	v_fma_f32 v16, -v21, v39, v17
	v_fmac_f32_e32 v14, v20, v39
	s_waitcnt vmcnt(6)
	v_fmac_f32_e32 v12, v22, v40
	v_fmac_f32_e32 v13, v23, v40
	v_fmac_f32_e32 v16, v24, v40
	v_fmac_f32_e32 v14, v25, v40
	v_fma_f32 v12, -v23, v41, v12
	v_fmac_f32_e32 v13, v22, v41
	v_fma_f32 v16, -v25, v41, v16
	v_fmac_f32_e32 v14, v24, v41
	;; [unrolled: 9-line block ×5, first 2 shown]
	s_andn2_b32 exec_lo, exec_lo, s3
	s_cbranch_execnz .LBB169_7
; %bb.8:
	s_or_b32 exec_lo, exec_lo, s3
.LBB169_9:
	s_or_b32 exec_lo, exec_lo, s1
	s_cbranch_execz .LBB169_11
	s_branch .LBB169_16
.LBB169_10:
                                        ; implicit-def: $vgpr13
                                        ; implicit-def: $vgpr16
                                        ; implicit-def: $vgpr17
                                        ; implicit-def: $vgpr14
.LBB169_11:
	v_mov_b32_e32 v13, 0
	v_mov_b32_e32 v16, 0
	;; [unrolled: 1-line block ×4, first 2 shown]
	s_and_saveexec_b32 s1, s0
	s_cbranch_execz .LBB169_15
; %bb.12:
	v_mad_u64_u32 v[8:9], null, v6, 10, 9
	v_mov_b32_e32 v11, 0
	v_mov_b32_e32 v13, 0
	;; [unrolled: 1-line block ×5, first 2 shown]
	s_mov_b32 s0, 0
.LBB169_13:                             ; =>This Inner Loop Header: Depth=1
	v_ashrrev_i32_e32 v7, 31, v6
	v_add_nc_u32_e32 v18, -4, v8
	v_mov_b32_e32 v19, v11
	v_mov_b32_e32 v23, v11
	v_lshlrev_b64 v[9:10], 2, v[6:7]
	v_add_nc_u32_e32 v6, 16, v6
	v_lshlrev_b64 v[18:19], 3, v[18:19]
	v_add_co_u32 v9, vcc_lo, s10, v9
	v_add_co_ci_u32_e64 v10, null, s11, v10, vcc_lo
	global_load_dword v7, v[9:10], off
	v_add_nc_u32_e32 v10, -9, v8
	v_mov_b32_e32 v9, v11
	v_lshlrev_b64 v[20:21], 3, v[10:11]
	v_lshlrev_b64 v[9:10], 3, v[8:9]
	v_add_co_u32 v20, vcc_lo, s12, v20
	v_add_co_ci_u32_e64 v21, null, s13, v21, vcc_lo
	v_add_co_u32 v24, vcc_lo, s12, v18
	v_add_co_ci_u32_e64 v25, null, s13, v19, vcc_lo
	;; [unrolled: 2-line block ×3, first 2 shown]
	s_clause 0x2
	global_load_dwordx4 v[18:21], v[20:21], off
	global_load_dwordx2 v[24:25], v[24:25], off
	global_load_dwordx2 v[26:27], v[9:10], off
	s_waitcnt vmcnt(3)
	v_subrev_nc_u32_e32 v7, s2, v7
	v_lshl_add_u32 v22, v7, 2, v7
	v_add_nc_u32_e32 v10, 1, v22
	v_lshlrev_b64 v[28:29], 3, v[22:23]
	v_lshlrev_b64 v[30:31], 3, v[10:11]
	v_add_nc_u32_e32 v10, -3, v8
	v_add_co_u32 v28, vcc_lo, s14, v28
	v_add_co_ci_u32_e64 v29, null, s15, v29, vcc_lo
	v_lshlrev_b64 v[32:33], 3, v[10:11]
	v_add_nc_u32_e32 v10, -7, v8
	v_add_co_u32 v30, vcc_lo, s14, v30
	global_load_dwordx2 v[28:29], v[28:29], off
	v_add_co_ci_u32_e64 v31, null, s15, v31, vcc_lo
	v_lshlrev_b64 v[34:35], 3, v[10:11]
	v_add_nc_u32_e32 v10, 2, v22
	v_add_co_u32 v32, vcc_lo, s12, v32
	v_add_co_ci_u32_e64 v33, null, s13, v33, vcc_lo
	v_lshlrev_b64 v[36:37], 3, v[10:11]
	v_add_nc_u32_e32 v10, -2, v8
	v_add_co_u32 v34, vcc_lo, s12, v34
	global_load_dwordx2 v[30:31], v[30:31], off
	global_load_dwordx2 v[32:33], v[32:33], off
	v_lshlrev_b64 v[38:39], 3, v[10:11]
	v_add_nc_u32_e32 v10, -6, v8
	v_add_co_ci_u32_e64 v35, null, s13, v35, vcc_lo
	v_add_co_u32 v36, vcc_lo, s14, v36
	v_lshlrev_b64 v[40:41], 3, v[10:11]
	v_add_nc_u32_e32 v10, 3, v22
	v_add_co_ci_u32_e64 v37, null, s15, v37, vcc_lo
	v_add_co_u32 v38, vcc_lo, s12, v38
	v_lshlrev_b64 v[42:43], 3, v[10:11]
	v_add_nc_u32_e32 v10, -1, v8
	v_add_co_ci_u32_e64 v39, null, s13, v39, vcc_lo
	v_add_co_u32 v40, vcc_lo, s12, v40
	v_lshlrev_b64 v[44:45], 3, v[10:11]
	v_add_nc_u32_e32 v10, -5, v8
	global_load_dwordx2 v[34:35], v[34:35], off
	global_load_dwordx2 v[36:37], v[36:37], off
	;; [unrolled: 1-line block ×3, first 2 shown]
	v_add_co_ci_u32_e64 v41, null, s13, v41, vcc_lo
	v_add_co_u32 v42, vcc_lo, s14, v42
	v_add_co_ci_u32_e64 v43, null, s15, v43, vcc_lo
	v_lshlrev_b64 v[46:47], 3, v[10:11]
	v_add_nc_u32_e32 v10, 4, v22
	v_add_co_u32 v22, vcc_lo, s12, v44
	v_add_co_ci_u32_e64 v23, null, s13, v45, vcc_lo
	v_lshlrev_b64 v[9:10], 3, v[10:11]
	global_load_dwordx2 v[40:41], v[40:41], off
	global_load_dwordx2 v[42:43], v[42:43], off
	;; [unrolled: 1-line block ×3, first 2 shown]
	v_add_co_u32 v44, vcc_lo, s12, v46
	v_add_co_ci_u32_e64 v45, null, s13, v47, vcc_lo
	v_add_co_u32 v9, vcc_lo, s14, v9
	v_add_co_ci_u32_e64 v10, null, s15, v10, vcc_lo
	global_load_dwordx2 v[44:45], v[44:45], off
	global_load_dwordx2 v[9:10], v[9:10], off
	v_cmp_ge_i32_e32 vcc_lo, v6, v15
	v_add_nc_u32_e32 v8, 0xa0, v8
	s_or_b32 s0, vcc_lo, s0
	s_waitcnt vmcnt(10)
	v_fmac_f32_e32 v16, v18, v28
	v_fmac_f32_e32 v13, v19, v28
	v_fmac_f32_e32 v17, v24, v28
	v_fmac_f32_e32 v14, v25, v28
	v_fma_f32 v7, -v19, v29, v16
	v_fmac_f32_e32 v13, v18, v29
	v_fma_f32 v12, -v25, v29, v17
	v_fmac_f32_e32 v14, v24, v29
	s_waitcnt vmcnt(9)
	v_fmac_f32_e32 v7, v20, v30
	v_fmac_f32_e32 v13, v21, v30
	s_waitcnt vmcnt(8)
	v_fmac_f32_e32 v12, v32, v30
	v_fmac_f32_e32 v14, v33, v30
	v_fma_f32 v7, -v21, v31, v7
	v_fmac_f32_e32 v13, v20, v31
	v_fma_f32 v12, -v33, v31, v12
	v_fmac_f32_e32 v14, v32, v31
	s_waitcnt vmcnt(6)
	v_fmac_f32_e32 v7, v34, v36
	v_fmac_f32_e32 v13, v35, v36
	s_waitcnt vmcnt(5)
	v_fmac_f32_e32 v12, v38, v36
	v_fmac_f32_e32 v14, v39, v36
	;; [unrolled: 10-line block ×3, first 2 shown]
	v_fma_f32 v7, -v41, v43, v7
	v_fmac_f32_e32 v13, v40, v43
	v_fma_f32 v12, -v23, v43, v12
	v_fmac_f32_e32 v14, v22, v43
	s_waitcnt vmcnt(0)
	v_fmac_f32_e32 v7, v44, v9
	v_fmac_f32_e32 v13, v45, v9
	v_fmac_f32_e32 v12, v26, v9
	v_fmac_f32_e32 v14, v27, v9
	v_fma_f32 v16, -v45, v10, v7
	v_fmac_f32_e32 v13, v44, v10
	v_fma_f32 v17, -v27, v10, v12
	v_fmac_f32_e32 v14, v26, v10
	s_andn2_b32 exec_lo, exec_lo, s0
	s_cbranch_execnz .LBB169_13
; %bb.14:
	s_or_b32 exec_lo, exec_lo, s0
.LBB169_15:
	s_or_b32 exec_lo, exec_lo, s1
.LBB169_16:
	v_mbcnt_lo_u32_b32 v6, -1, 0
	v_xor_b32_e32 v7, 8, v6
	v_xor_b32_e32 v11, 4, v6
	;; [unrolled: 1-line block ×3, first 2 shown]
	v_cmp_gt_i32_e32 vcc_lo, 32, v7
	v_cndmask_b32_e32 v7, v6, v7, vcc_lo
	v_cmp_gt_i32_e32 vcc_lo, 32, v11
	v_lshlrev_b32_e32 v7, 2, v7
	v_cndmask_b32_e32 v11, v6, v11, vcc_lo
	v_cmp_gt_i32_e32 vcc_lo, 32, v15
	ds_bpermute_b32 v8, v7, v16
	ds_bpermute_b32 v9, v7, v13
	;; [unrolled: 1-line block ×4, first 2 shown]
	v_lshlrev_b32_e32 v11, 2, v11
	v_cndmask_b32_e32 v15, v6, v15, vcc_lo
	v_lshlrev_b32_e32 v15, 2, v15
	s_waitcnt lgkmcnt(3)
	v_add_f32_e32 v8, v16, v8
	s_waitcnt lgkmcnt(2)
	v_add_f32_e32 v9, v13, v9
	s_waitcnt lgkmcnt(1)
	v_add_f32_e32 v10, v17, v10
	s_waitcnt lgkmcnt(0)
	v_add_f32_e32 v7, v14, v7
	ds_bpermute_b32 v12, v11, v8
	ds_bpermute_b32 v13, v11, v9
	;; [unrolled: 1-line block ×4, first 2 shown]
	s_waitcnt lgkmcnt(3)
	v_add_f32_e32 v8, v8, v12
	s_waitcnt lgkmcnt(2)
	v_add_f32_e32 v9, v9, v13
	;; [unrolled: 2-line block ×4, first 2 shown]
	ds_bpermute_b32 v11, v15, v8
	ds_bpermute_b32 v12, v15, v9
	;; [unrolled: 1-line block ×4, first 2 shown]
	v_xor_b32_e32 v15, 1, v6
	v_cmp_gt_i32_e32 vcc_lo, 32, v15
	v_cndmask_b32_e32 v6, v6, v15, vcc_lo
	v_cmp_eq_u32_e32 vcc_lo, 15, v0
	v_lshlrev_b32_e32 v15, 2, v6
	s_waitcnt lgkmcnt(3)
	v_add_f32_e32 v8, v8, v11
	s_waitcnt lgkmcnt(2)
	v_add_f32_e32 v9, v9, v12
	;; [unrolled: 2-line block ×4, first 2 shown]
	ds_bpermute_b32 v12, v15, v8
	ds_bpermute_b32 v13, v15, v9
	;; [unrolled: 1-line block ×4, first 2 shown]
	s_and_b32 exec_lo, exec_lo, vcc_lo
	s_cbranch_execz .LBB169_21
; %bb.17:
	s_load_dwordx2 s[2:3], s[4:5], 0x38
	v_cmp_eq_f32_e32 vcc_lo, 0, v3
	v_cmp_eq_f32_e64 s0, 0, v4
	s_waitcnt lgkmcnt(0)
	v_add_f32_e32 v0, v8, v12
	v_add_f32_e32 v8, v9, v13
	;; [unrolled: 1-line block ×4, first 2 shown]
	s_and_b32 s0, vcc_lo, s0
	s_and_saveexec_b32 s1, s0
	s_xor_b32 s0, exec_lo, s1
	s_cbranch_execz .LBB169_19
; %bb.18:
	v_lshlrev_b32_e32 v3, 1, v5
	v_mul_f32_e64 v9, v8, -v2
	v_mul_f32_e32 v10, v1, v8
	v_mul_f32_e64 v11, v7, -v2
	v_mul_f32_e32 v12, v1, v7
	v_ashrrev_i32_e32 v4, 31, v3
	v_fmac_f32_e32 v9, v1, v0
	v_fmac_f32_e32 v10, v2, v0
	;; [unrolled: 1-line block ×4, first 2 shown]
	v_lshlrev_b64 v[3:4], 3, v[3:4]
                                        ; implicit-def: $vgpr5
                                        ; implicit-def: $vgpr8
                                        ; implicit-def: $vgpr7
                                        ; implicit-def: $vgpr6
	v_add_co_u32 v0, vcc_lo, s2, v3
	v_add_co_ci_u32_e64 v1, null, s3, v4, vcc_lo
                                        ; implicit-def: $vgpr3_vgpr4
	global_store_dwordx4 v[0:1], v[9:12], off
                                        ; implicit-def: $vgpr1_vgpr2
                                        ; implicit-def: $vgpr0
.LBB169_19:
	s_andn2_saveexec_b32 s0, s0
	s_cbranch_execz .LBB169_21
; %bb.20:
	v_lshlrev_b32_e32 v9, 1, v5
	v_mul_f32_e64 v5, v8, -v2
	v_mul_f32_e32 v14, v1, v8
	v_mul_f32_e64 v8, v7, -v2
	v_mul_f32_e32 v16, v1, v7
	v_ashrrev_i32_e32 v10, 31, v9
	v_fmac_f32_e32 v5, v1, v0
	v_fmac_f32_e32 v14, v2, v0
	;; [unrolled: 1-line block ×4, first 2 shown]
	v_lshlrev_b64 v[9:10], 3, v[9:10]
	v_add_co_u32 v17, vcc_lo, s2, v9
	v_add_co_ci_u32_e64 v18, null, s3, v10, vcc_lo
	global_load_dwordx4 v[9:12], v[17:18], off
	s_waitcnt vmcnt(0)
	v_fmac_f32_e32 v5, v3, v9
	v_fmac_f32_e32 v14, v4, v9
	;; [unrolled: 1-line block ×4, first 2 shown]
	v_fma_f32 v13, -v4, v10, v5
	v_fmac_f32_e32 v14, v3, v10
	v_fma_f32 v15, -v4, v12, v8
	v_fmac_f32_e32 v16, v3, v12
	global_store_dwordx4 v[17:18], v[13:16], off
.LBB169_21:
	s_endpgm
	.section	.rodata,"a",@progbits
	.p2align	6, 0x0
	.amdhsa_kernel _ZN9rocsparseL19gebsrmvn_2xn_kernelILj128ELj5ELj16E21rocsparse_complex_numIfEEEvi20rocsparse_direction_NS_24const_host_device_scalarIT2_EEPKiS8_PKS5_SA_S6_PS5_21rocsparse_index_base_b
		.amdhsa_group_segment_fixed_size 0
		.amdhsa_private_segment_fixed_size 0
		.amdhsa_kernarg_size 72
		.amdhsa_user_sgpr_count 6
		.amdhsa_user_sgpr_private_segment_buffer 1
		.amdhsa_user_sgpr_dispatch_ptr 0
		.amdhsa_user_sgpr_queue_ptr 0
		.amdhsa_user_sgpr_kernarg_segment_ptr 1
		.amdhsa_user_sgpr_dispatch_id 0
		.amdhsa_user_sgpr_flat_scratch_init 0
		.amdhsa_user_sgpr_private_segment_size 0
		.amdhsa_wavefront_size32 1
		.amdhsa_uses_dynamic_stack 0
		.amdhsa_system_sgpr_private_segment_wavefront_offset 0
		.amdhsa_system_sgpr_workgroup_id_x 1
		.amdhsa_system_sgpr_workgroup_id_y 0
		.amdhsa_system_sgpr_workgroup_id_z 0
		.amdhsa_system_sgpr_workgroup_info 0
		.amdhsa_system_vgpr_workitem_id 0
		.amdhsa_next_free_vgpr 48
		.amdhsa_next_free_sgpr 16
		.amdhsa_reserve_vcc 1
		.amdhsa_reserve_flat_scratch 0
		.amdhsa_float_round_mode_32 0
		.amdhsa_float_round_mode_16_64 0
		.amdhsa_float_denorm_mode_32 3
		.amdhsa_float_denorm_mode_16_64 3
		.amdhsa_dx10_clamp 1
		.amdhsa_ieee_mode 1
		.amdhsa_fp16_overflow 0
		.amdhsa_workgroup_processor_mode 1
		.amdhsa_memory_ordered 1
		.amdhsa_forward_progress 1
		.amdhsa_shared_vgpr_count 0
		.amdhsa_exception_fp_ieee_invalid_op 0
		.amdhsa_exception_fp_denorm_src 0
		.amdhsa_exception_fp_ieee_div_zero 0
		.amdhsa_exception_fp_ieee_overflow 0
		.amdhsa_exception_fp_ieee_underflow 0
		.amdhsa_exception_fp_ieee_inexact 0
		.amdhsa_exception_int_div_zero 0
	.end_amdhsa_kernel
	.section	.text._ZN9rocsparseL19gebsrmvn_2xn_kernelILj128ELj5ELj16E21rocsparse_complex_numIfEEEvi20rocsparse_direction_NS_24const_host_device_scalarIT2_EEPKiS8_PKS5_SA_S6_PS5_21rocsparse_index_base_b,"axG",@progbits,_ZN9rocsparseL19gebsrmvn_2xn_kernelILj128ELj5ELj16E21rocsparse_complex_numIfEEEvi20rocsparse_direction_NS_24const_host_device_scalarIT2_EEPKiS8_PKS5_SA_S6_PS5_21rocsparse_index_base_b,comdat
.Lfunc_end169:
	.size	_ZN9rocsparseL19gebsrmvn_2xn_kernelILj128ELj5ELj16E21rocsparse_complex_numIfEEEvi20rocsparse_direction_NS_24const_host_device_scalarIT2_EEPKiS8_PKS5_SA_S6_PS5_21rocsparse_index_base_b, .Lfunc_end169-_ZN9rocsparseL19gebsrmvn_2xn_kernelILj128ELj5ELj16E21rocsparse_complex_numIfEEEvi20rocsparse_direction_NS_24const_host_device_scalarIT2_EEPKiS8_PKS5_SA_S6_PS5_21rocsparse_index_base_b
                                        ; -- End function
	.set _ZN9rocsparseL19gebsrmvn_2xn_kernelILj128ELj5ELj16E21rocsparse_complex_numIfEEEvi20rocsparse_direction_NS_24const_host_device_scalarIT2_EEPKiS8_PKS5_SA_S6_PS5_21rocsparse_index_base_b.num_vgpr, 48
	.set _ZN9rocsparseL19gebsrmvn_2xn_kernelILj128ELj5ELj16E21rocsparse_complex_numIfEEEvi20rocsparse_direction_NS_24const_host_device_scalarIT2_EEPKiS8_PKS5_SA_S6_PS5_21rocsparse_index_base_b.num_agpr, 0
	.set _ZN9rocsparseL19gebsrmvn_2xn_kernelILj128ELj5ELj16E21rocsparse_complex_numIfEEEvi20rocsparse_direction_NS_24const_host_device_scalarIT2_EEPKiS8_PKS5_SA_S6_PS5_21rocsparse_index_base_b.numbered_sgpr, 16
	.set _ZN9rocsparseL19gebsrmvn_2xn_kernelILj128ELj5ELj16E21rocsparse_complex_numIfEEEvi20rocsparse_direction_NS_24const_host_device_scalarIT2_EEPKiS8_PKS5_SA_S6_PS5_21rocsparse_index_base_b.num_named_barrier, 0
	.set _ZN9rocsparseL19gebsrmvn_2xn_kernelILj128ELj5ELj16E21rocsparse_complex_numIfEEEvi20rocsparse_direction_NS_24const_host_device_scalarIT2_EEPKiS8_PKS5_SA_S6_PS5_21rocsparse_index_base_b.private_seg_size, 0
	.set _ZN9rocsparseL19gebsrmvn_2xn_kernelILj128ELj5ELj16E21rocsparse_complex_numIfEEEvi20rocsparse_direction_NS_24const_host_device_scalarIT2_EEPKiS8_PKS5_SA_S6_PS5_21rocsparse_index_base_b.uses_vcc, 1
	.set _ZN9rocsparseL19gebsrmvn_2xn_kernelILj128ELj5ELj16E21rocsparse_complex_numIfEEEvi20rocsparse_direction_NS_24const_host_device_scalarIT2_EEPKiS8_PKS5_SA_S6_PS5_21rocsparse_index_base_b.uses_flat_scratch, 0
	.set _ZN9rocsparseL19gebsrmvn_2xn_kernelILj128ELj5ELj16E21rocsparse_complex_numIfEEEvi20rocsparse_direction_NS_24const_host_device_scalarIT2_EEPKiS8_PKS5_SA_S6_PS5_21rocsparse_index_base_b.has_dyn_sized_stack, 0
	.set _ZN9rocsparseL19gebsrmvn_2xn_kernelILj128ELj5ELj16E21rocsparse_complex_numIfEEEvi20rocsparse_direction_NS_24const_host_device_scalarIT2_EEPKiS8_PKS5_SA_S6_PS5_21rocsparse_index_base_b.has_recursion, 0
	.set _ZN9rocsparseL19gebsrmvn_2xn_kernelILj128ELj5ELj16E21rocsparse_complex_numIfEEEvi20rocsparse_direction_NS_24const_host_device_scalarIT2_EEPKiS8_PKS5_SA_S6_PS5_21rocsparse_index_base_b.has_indirect_call, 0
	.section	.AMDGPU.csdata,"",@progbits
; Kernel info:
; codeLenInByte = 2504
; TotalNumSgprs: 18
; NumVgprs: 48
; ScratchSize: 0
; MemoryBound: 0
; FloatMode: 240
; IeeeMode: 1
; LDSByteSize: 0 bytes/workgroup (compile time only)
; SGPRBlocks: 0
; VGPRBlocks: 5
; NumSGPRsForWavesPerEU: 18
; NumVGPRsForWavesPerEU: 48
; Occupancy: 16
; WaveLimiterHint : 1
; COMPUTE_PGM_RSRC2:SCRATCH_EN: 0
; COMPUTE_PGM_RSRC2:USER_SGPR: 6
; COMPUTE_PGM_RSRC2:TRAP_HANDLER: 0
; COMPUTE_PGM_RSRC2:TGID_X_EN: 1
; COMPUTE_PGM_RSRC2:TGID_Y_EN: 0
; COMPUTE_PGM_RSRC2:TGID_Z_EN: 0
; COMPUTE_PGM_RSRC2:TIDIG_COMP_CNT: 0
	.section	.text._ZN9rocsparseL19gebsrmvn_2xn_kernelILj128ELj5ELj32E21rocsparse_complex_numIfEEEvi20rocsparse_direction_NS_24const_host_device_scalarIT2_EEPKiS8_PKS5_SA_S6_PS5_21rocsparse_index_base_b,"axG",@progbits,_ZN9rocsparseL19gebsrmvn_2xn_kernelILj128ELj5ELj32E21rocsparse_complex_numIfEEEvi20rocsparse_direction_NS_24const_host_device_scalarIT2_EEPKiS8_PKS5_SA_S6_PS5_21rocsparse_index_base_b,comdat
	.globl	_ZN9rocsparseL19gebsrmvn_2xn_kernelILj128ELj5ELj32E21rocsparse_complex_numIfEEEvi20rocsparse_direction_NS_24const_host_device_scalarIT2_EEPKiS8_PKS5_SA_S6_PS5_21rocsparse_index_base_b ; -- Begin function _ZN9rocsparseL19gebsrmvn_2xn_kernelILj128ELj5ELj32E21rocsparse_complex_numIfEEEvi20rocsparse_direction_NS_24const_host_device_scalarIT2_EEPKiS8_PKS5_SA_S6_PS5_21rocsparse_index_base_b
	.p2align	8
	.type	_ZN9rocsparseL19gebsrmvn_2xn_kernelILj128ELj5ELj32E21rocsparse_complex_numIfEEEvi20rocsparse_direction_NS_24const_host_device_scalarIT2_EEPKiS8_PKS5_SA_S6_PS5_21rocsparse_index_base_b,@function
_ZN9rocsparseL19gebsrmvn_2xn_kernelILj128ELj5ELj32E21rocsparse_complex_numIfEEEvi20rocsparse_direction_NS_24const_host_device_scalarIT2_EEPKiS8_PKS5_SA_S6_PS5_21rocsparse_index_base_b: ; @_ZN9rocsparseL19gebsrmvn_2xn_kernelILj128ELj5ELj32E21rocsparse_complex_numIfEEEvi20rocsparse_direction_NS_24const_host_device_scalarIT2_EEPKiS8_PKS5_SA_S6_PS5_21rocsparse_index_base_b
; %bb.0:
	s_clause 0x2
	s_load_dwordx2 s[2:3], s[4:5], 0x40
	s_load_dwordx2 s[0:1], s[4:5], 0x8
	;; [unrolled: 1-line block ×3, first 2 shown]
	s_add_u32 s7, s4, 8
	s_addc_u32 s10, s5, 0
	s_add_u32 s11, s4, 48
	s_addc_u32 s12, s5, 0
	s_waitcnt lgkmcnt(0)
	s_bitcmp1_b32 s3, 0
	s_cselect_b32 s0, s7, s0
	s_cselect_b32 s1, s10, s1
	v_mov_b32_e32 v1, s0
	v_mov_b32_e32 v2, s1
	s_cselect_b32 s0, s11, s8
	s_cselect_b32 s1, s12, s9
	v_mov_b32_e32 v3, s0
	v_mov_b32_e32 v4, s1
	flat_load_dwordx2 v[1:2], v[1:2]
	flat_load_dwordx2 v[3:4], v[3:4]
	s_waitcnt vmcnt(1) lgkmcnt(1)
	v_cmp_eq_f32_e32 vcc_lo, 0, v1
	v_cmp_eq_f32_e64 s0, 0, v2
	s_and_b32 s3, vcc_lo, s0
	s_mov_b32 s0, -1
	s_and_saveexec_b32 s1, s3
	s_cbranch_execz .LBB170_2
; %bb.1:
	s_waitcnt vmcnt(0) lgkmcnt(0)
	v_cmp_neq_f32_e32 vcc_lo, 1.0, v3
	v_cmp_neq_f32_e64 s0, 0, v4
	s_or_b32 s0, vcc_lo, s0
	s_orn2_b32 s0, s0, exec_lo
.LBB170_2:
	s_or_b32 exec_lo, exec_lo, s1
	s_and_saveexec_b32 s1, s0
	s_cbranch_execz .LBB170_21
; %bb.3:
	s_load_dwordx2 s[0:1], s[4:5], 0x0
	v_lshrrev_b32_e32 v5, 5, v0
	v_lshl_or_b32 v5, s6, 2, v5
	s_waitcnt lgkmcnt(0)
	v_cmp_gt_i32_e32 vcc_lo, s0, v5
	s_and_b32 exec_lo, exec_lo, vcc_lo
	s_cbranch_execz .LBB170_21
; %bb.4:
	s_load_dwordx8 s[8:15], s[4:5], 0x10
	v_ashrrev_i32_e32 v6, 31, v5
	v_and_b32_e32 v0, 31, v0
	s_cmp_lg_u32 s1, 0
	v_lshlrev_b64 v[6:7], 2, v[5:6]
	s_waitcnt lgkmcnt(0)
	v_add_co_u32 v6, vcc_lo, s8, v6
	v_add_co_ci_u32_e64 v7, null, s9, v7, vcc_lo
	global_load_dwordx2 v[6:7], v[6:7], off
	s_waitcnt vmcnt(0)
	v_subrev_nc_u32_e32 v6, s2, v6
	v_subrev_nc_u32_e32 v15, s2, v7
	v_add_nc_u32_e32 v6, v6, v0
	v_cmp_lt_i32_e64 s0, v6, v15
	s_cbranch_scc0 .LBB170_10
; %bb.5:
	v_mov_b32_e32 v13, 0
	v_mov_b32_e32 v16, 0
	;; [unrolled: 1-line block ×4, first 2 shown]
	s_and_saveexec_b32 s1, s0
	s_cbranch_execz .LBB170_9
; %bb.6:
	v_mad_u64_u32 v[7:8], null, v6, 10, 8
	v_mov_b32_e32 v10, 0
	v_mov_b32_e32 v11, v6
	;; [unrolled: 1-line block ×6, first 2 shown]
	s_mov_b32 s3, 0
.LBB170_7:                              ; =>This Inner Loop Header: Depth=1
	v_ashrrev_i32_e32 v12, 31, v11
	v_mov_b32_e32 v31, v10
	v_lshlrev_b64 v[8:9], 2, v[11:12]
	v_add_nc_u32_e32 v11, 32, v11
	v_add_co_u32 v8, vcc_lo, s10, v8
	v_add_co_ci_u32_e64 v9, null, s11, v9, vcc_lo
	global_load_dword v12, v[8:9], off
	v_add_nc_u32_e32 v9, -8, v7
	v_mov_b32_e32 v8, v10
	v_lshlrev_b64 v[18:19], 3, v[9:10]
	v_add_nc_u32_e32 v9, -6, v7
	v_lshlrev_b64 v[20:21], 3, v[7:8]
	v_lshlrev_b64 v[8:9], 3, v[9:10]
	v_add_co_u32 v18, vcc_lo, s12, v18
	v_add_co_ci_u32_e64 v19, null, s13, v19, vcc_lo
	v_add_co_u32 v34, vcc_lo, s12, v20
	v_add_co_ci_u32_e64 v35, null, s13, v21, vcc_lo
	;; [unrolled: 2-line block ×3, first 2 shown]
	s_clause 0x1
	global_load_dwordx4 v[18:21], v[18:19], off
	global_load_dwordx4 v[22:25], v[8:9], off
	s_waitcnt vmcnt(2)
	v_subrev_nc_u32_e32 v8, s2, v12
	v_lshl_add_u32 v30, v8, 2, v8
	v_lshlrev_b64 v[26:27], 3, v[30:31]
	v_add_nc_u32_e32 v9, 1, v30
	v_lshlrev_b64 v[28:29], 3, v[9:10]
	v_add_co_u32 v26, vcc_lo, s14, v26
	v_add_co_ci_u32_e64 v27, null, s15, v27, vcc_lo
	v_add_nc_u32_e32 v9, -4, v7
	v_add_co_u32 v28, vcc_lo, s14, v28
	global_load_dwordx2 v[38:39], v[26:27], off
	v_add_co_ci_u32_e64 v29, null, s15, v29, vcc_lo
	v_lshlrev_b64 v[31:32], 3, v[9:10]
	v_add_nc_u32_e32 v9, 2, v30
	global_load_dwordx2 v[40:41], v[28:29], off
	v_lshlrev_b64 v[26:27], 3, v[9:10]
	v_add_nc_u32_e32 v9, -2, v7
	v_add_co_u32 v28, vcc_lo, s12, v31
	v_add_co_ci_u32_e64 v29, null, s13, v32, vcc_lo
	v_lshlrev_b64 v[31:32], 3, v[9:10]
	v_add_nc_u32_e32 v9, 3, v30
	v_add_co_u32 v36, vcc_lo, s14, v26
	v_add_co_ci_u32_e64 v37, null, s15, v27, vcc_lo
	v_lshlrev_b64 v[42:43], 3, v[9:10]
	global_load_dwordx4 v[26:29], v[28:29], off
	v_add_nc_u32_e32 v9, 4, v30
	global_load_dwordx2 v[44:45], v[36:37], off
	v_add_co_u32 v30, vcc_lo, s12, v31
	v_add_co_ci_u32_e64 v31, null, s13, v32, vcc_lo
	v_add_co_u32 v36, vcc_lo, s14, v42
	v_add_co_ci_u32_e64 v37, null, s15, v43, vcc_lo
	v_lshlrev_b64 v[8:9], 3, v[9:10]
	global_load_dwordx4 v[30:33], v[30:31], off
	global_load_dwordx2 v[42:43], v[36:37], off
	v_add_nc_u32_e32 v7, 0x140, v7
	v_add_co_u32 v8, vcc_lo, s14, v8
	v_add_co_ci_u32_e64 v9, null, s15, v9, vcc_lo
	global_load_dwordx4 v[34:37], v[34:35], off
	global_load_dwordx2 v[8:9], v[8:9], off
	v_cmp_ge_i32_e32 vcc_lo, v11, v15
	s_or_b32 s3, vcc_lo, s3
	s_waitcnt vmcnt(7)
	v_fmac_f32_e32 v16, v18, v38
	v_fmac_f32_e32 v13, v19, v38
	v_fmac_f32_e32 v17, v20, v38
	v_fmac_f32_e32 v14, v21, v38
	v_fma_f32 v12, -v19, v39, v16
	v_fmac_f32_e32 v13, v18, v39
	v_fma_f32 v16, -v21, v39, v17
	v_fmac_f32_e32 v14, v20, v39
	s_waitcnt vmcnt(6)
	v_fmac_f32_e32 v12, v22, v40
	v_fmac_f32_e32 v13, v23, v40
	v_fmac_f32_e32 v16, v24, v40
	v_fmac_f32_e32 v14, v25, v40
	v_fma_f32 v12, -v23, v41, v12
	v_fmac_f32_e32 v13, v22, v41
	v_fma_f32 v16, -v25, v41, v16
	v_fmac_f32_e32 v14, v24, v41
	;; [unrolled: 9-line block ×5, first 2 shown]
	s_andn2_b32 exec_lo, exec_lo, s3
	s_cbranch_execnz .LBB170_7
; %bb.8:
	s_or_b32 exec_lo, exec_lo, s3
.LBB170_9:
	s_or_b32 exec_lo, exec_lo, s1
	s_cbranch_execz .LBB170_11
	s_branch .LBB170_16
.LBB170_10:
                                        ; implicit-def: $vgpr13
                                        ; implicit-def: $vgpr16
                                        ; implicit-def: $vgpr17
                                        ; implicit-def: $vgpr14
.LBB170_11:
	v_mov_b32_e32 v13, 0
	v_mov_b32_e32 v16, 0
	;; [unrolled: 1-line block ×4, first 2 shown]
	s_and_saveexec_b32 s1, s0
	s_cbranch_execz .LBB170_15
; %bb.12:
	v_mad_u64_u32 v[8:9], null, v6, 10, 9
	v_mov_b32_e32 v11, 0
	v_mov_b32_e32 v13, 0
	;; [unrolled: 1-line block ×5, first 2 shown]
	s_mov_b32 s0, 0
.LBB170_13:                             ; =>This Inner Loop Header: Depth=1
	v_ashrrev_i32_e32 v7, 31, v6
	v_add_nc_u32_e32 v18, -4, v8
	v_mov_b32_e32 v19, v11
	v_mov_b32_e32 v23, v11
	v_lshlrev_b64 v[9:10], 2, v[6:7]
	v_add_nc_u32_e32 v6, 32, v6
	v_lshlrev_b64 v[18:19], 3, v[18:19]
	v_add_co_u32 v9, vcc_lo, s10, v9
	v_add_co_ci_u32_e64 v10, null, s11, v10, vcc_lo
	global_load_dword v7, v[9:10], off
	v_add_nc_u32_e32 v10, -9, v8
	v_mov_b32_e32 v9, v11
	v_lshlrev_b64 v[20:21], 3, v[10:11]
	v_lshlrev_b64 v[9:10], 3, v[8:9]
	v_add_co_u32 v20, vcc_lo, s12, v20
	v_add_co_ci_u32_e64 v21, null, s13, v21, vcc_lo
	v_add_co_u32 v24, vcc_lo, s12, v18
	v_add_co_ci_u32_e64 v25, null, s13, v19, vcc_lo
	;; [unrolled: 2-line block ×3, first 2 shown]
	s_clause 0x2
	global_load_dwordx4 v[18:21], v[20:21], off
	global_load_dwordx2 v[24:25], v[24:25], off
	global_load_dwordx2 v[26:27], v[9:10], off
	s_waitcnt vmcnt(3)
	v_subrev_nc_u32_e32 v7, s2, v7
	v_lshl_add_u32 v22, v7, 2, v7
	v_add_nc_u32_e32 v10, 1, v22
	v_lshlrev_b64 v[28:29], 3, v[22:23]
	v_lshlrev_b64 v[30:31], 3, v[10:11]
	v_add_nc_u32_e32 v10, -3, v8
	v_add_co_u32 v28, vcc_lo, s14, v28
	v_add_co_ci_u32_e64 v29, null, s15, v29, vcc_lo
	v_lshlrev_b64 v[32:33], 3, v[10:11]
	v_add_nc_u32_e32 v10, -7, v8
	v_add_co_u32 v30, vcc_lo, s14, v30
	global_load_dwordx2 v[28:29], v[28:29], off
	v_add_co_ci_u32_e64 v31, null, s15, v31, vcc_lo
	v_lshlrev_b64 v[34:35], 3, v[10:11]
	v_add_nc_u32_e32 v10, 2, v22
	v_add_co_u32 v32, vcc_lo, s12, v32
	v_add_co_ci_u32_e64 v33, null, s13, v33, vcc_lo
	v_lshlrev_b64 v[36:37], 3, v[10:11]
	v_add_nc_u32_e32 v10, -2, v8
	v_add_co_u32 v34, vcc_lo, s12, v34
	global_load_dwordx2 v[30:31], v[30:31], off
	global_load_dwordx2 v[32:33], v[32:33], off
	v_lshlrev_b64 v[38:39], 3, v[10:11]
	v_add_nc_u32_e32 v10, -6, v8
	v_add_co_ci_u32_e64 v35, null, s13, v35, vcc_lo
	v_add_co_u32 v36, vcc_lo, s14, v36
	v_lshlrev_b64 v[40:41], 3, v[10:11]
	v_add_nc_u32_e32 v10, 3, v22
	v_add_co_ci_u32_e64 v37, null, s15, v37, vcc_lo
	v_add_co_u32 v38, vcc_lo, s12, v38
	v_lshlrev_b64 v[42:43], 3, v[10:11]
	v_add_nc_u32_e32 v10, -1, v8
	v_add_co_ci_u32_e64 v39, null, s13, v39, vcc_lo
	v_add_co_u32 v40, vcc_lo, s12, v40
	v_lshlrev_b64 v[44:45], 3, v[10:11]
	v_add_nc_u32_e32 v10, -5, v8
	global_load_dwordx2 v[34:35], v[34:35], off
	global_load_dwordx2 v[36:37], v[36:37], off
	;; [unrolled: 1-line block ×3, first 2 shown]
	v_add_co_ci_u32_e64 v41, null, s13, v41, vcc_lo
	v_add_co_u32 v42, vcc_lo, s14, v42
	v_add_co_ci_u32_e64 v43, null, s15, v43, vcc_lo
	v_lshlrev_b64 v[46:47], 3, v[10:11]
	v_add_nc_u32_e32 v10, 4, v22
	v_add_co_u32 v22, vcc_lo, s12, v44
	v_add_co_ci_u32_e64 v23, null, s13, v45, vcc_lo
	v_lshlrev_b64 v[9:10], 3, v[10:11]
	global_load_dwordx2 v[40:41], v[40:41], off
	global_load_dwordx2 v[42:43], v[42:43], off
	;; [unrolled: 1-line block ×3, first 2 shown]
	v_add_co_u32 v44, vcc_lo, s12, v46
	v_add_co_ci_u32_e64 v45, null, s13, v47, vcc_lo
	v_add_co_u32 v9, vcc_lo, s14, v9
	v_add_co_ci_u32_e64 v10, null, s15, v10, vcc_lo
	global_load_dwordx2 v[44:45], v[44:45], off
	global_load_dwordx2 v[9:10], v[9:10], off
	v_cmp_ge_i32_e32 vcc_lo, v6, v15
	v_add_nc_u32_e32 v8, 0x140, v8
	s_or_b32 s0, vcc_lo, s0
	s_waitcnt vmcnt(10)
	v_fmac_f32_e32 v16, v18, v28
	v_fmac_f32_e32 v13, v19, v28
	;; [unrolled: 1-line block ×4, first 2 shown]
	v_fma_f32 v7, -v19, v29, v16
	v_fmac_f32_e32 v13, v18, v29
	v_fma_f32 v12, -v25, v29, v17
	v_fmac_f32_e32 v14, v24, v29
	s_waitcnt vmcnt(9)
	v_fmac_f32_e32 v7, v20, v30
	v_fmac_f32_e32 v13, v21, v30
	s_waitcnt vmcnt(8)
	v_fmac_f32_e32 v12, v32, v30
	v_fmac_f32_e32 v14, v33, v30
	v_fma_f32 v7, -v21, v31, v7
	v_fmac_f32_e32 v13, v20, v31
	v_fma_f32 v12, -v33, v31, v12
	v_fmac_f32_e32 v14, v32, v31
	s_waitcnt vmcnt(6)
	v_fmac_f32_e32 v7, v34, v36
	v_fmac_f32_e32 v13, v35, v36
	s_waitcnt vmcnt(5)
	v_fmac_f32_e32 v12, v38, v36
	v_fmac_f32_e32 v14, v39, v36
	v_fma_f32 v7, -v35, v37, v7
	v_fmac_f32_e32 v13, v34, v37
	v_fma_f32 v12, -v39, v37, v12
	v_fmac_f32_e32 v14, v38, v37
	s_waitcnt vmcnt(3)
	v_fmac_f32_e32 v7, v40, v42
	v_fmac_f32_e32 v13, v41, v42
	s_waitcnt vmcnt(2)
	v_fmac_f32_e32 v12, v22, v42
	v_fmac_f32_e32 v14, v23, v42
	v_fma_f32 v7, -v41, v43, v7
	v_fmac_f32_e32 v13, v40, v43
	v_fma_f32 v12, -v23, v43, v12
	v_fmac_f32_e32 v14, v22, v43
	s_waitcnt vmcnt(0)
	v_fmac_f32_e32 v7, v44, v9
	v_fmac_f32_e32 v13, v45, v9
	;; [unrolled: 1-line block ×4, first 2 shown]
	v_fma_f32 v16, -v45, v10, v7
	v_fmac_f32_e32 v13, v44, v10
	v_fma_f32 v17, -v27, v10, v12
	v_fmac_f32_e32 v14, v26, v10
	s_andn2_b32 exec_lo, exec_lo, s0
	s_cbranch_execnz .LBB170_13
; %bb.14:
	s_or_b32 exec_lo, exec_lo, s0
.LBB170_15:
	s_or_b32 exec_lo, exec_lo, s1
.LBB170_16:
	v_mbcnt_lo_u32_b32 v6, -1, 0
	v_xor_b32_e32 v7, 16, v6
	v_xor_b32_e32 v11, 8, v6
	;; [unrolled: 1-line block ×3, first 2 shown]
	v_cmp_gt_i32_e32 vcc_lo, 32, v7
	v_cndmask_b32_e32 v7, v6, v7, vcc_lo
	v_cmp_gt_i32_e32 vcc_lo, 32, v11
	v_lshlrev_b32_e32 v7, 2, v7
	v_cndmask_b32_e32 v11, v6, v11, vcc_lo
	v_cmp_gt_i32_e32 vcc_lo, 32, v15
	ds_bpermute_b32 v8, v7, v16
	ds_bpermute_b32 v9, v7, v13
	;; [unrolled: 1-line block ×4, first 2 shown]
	v_lshlrev_b32_e32 v11, 2, v11
	v_cndmask_b32_e32 v15, v6, v15, vcc_lo
	v_lshlrev_b32_e32 v15, 2, v15
	s_waitcnt lgkmcnt(3)
	v_add_f32_e32 v8, v16, v8
	s_waitcnt lgkmcnt(2)
	v_add_f32_e32 v9, v13, v9
	;; [unrolled: 2-line block ×4, first 2 shown]
	ds_bpermute_b32 v12, v11, v8
	ds_bpermute_b32 v13, v11, v9
	;; [unrolled: 1-line block ×4, first 2 shown]
	s_waitcnt lgkmcnt(3)
	v_add_f32_e32 v8, v8, v12
	s_waitcnt lgkmcnt(2)
	v_add_f32_e32 v9, v9, v13
	;; [unrolled: 2-line block ×4, first 2 shown]
	ds_bpermute_b32 v11, v15, v8
	ds_bpermute_b32 v12, v15, v9
	;; [unrolled: 1-line block ×4, first 2 shown]
	v_xor_b32_e32 v15, 2, v6
	v_cmp_gt_i32_e32 vcc_lo, 32, v15
	v_cndmask_b32_e32 v15, v6, v15, vcc_lo
	v_lshlrev_b32_e32 v15, 2, v15
	s_waitcnt lgkmcnt(3)
	v_add_f32_e32 v8, v8, v11
	s_waitcnt lgkmcnt(2)
	v_add_f32_e32 v9, v9, v12
	;; [unrolled: 2-line block ×4, first 2 shown]
	ds_bpermute_b32 v11, v15, v8
	ds_bpermute_b32 v12, v15, v9
	;; [unrolled: 1-line block ×4, first 2 shown]
	v_xor_b32_e32 v15, 1, v6
	v_cmp_gt_i32_e32 vcc_lo, 32, v15
	v_cndmask_b32_e32 v6, v6, v15, vcc_lo
	v_cmp_eq_u32_e32 vcc_lo, 31, v0
	v_lshlrev_b32_e32 v15, 2, v6
	s_waitcnt lgkmcnt(3)
	v_add_f32_e32 v8, v8, v11
	s_waitcnt lgkmcnt(2)
	v_add_f32_e32 v9, v9, v12
	;; [unrolled: 2-line block ×4, first 2 shown]
	ds_bpermute_b32 v12, v15, v8
	ds_bpermute_b32 v13, v15, v9
	;; [unrolled: 1-line block ×4, first 2 shown]
	s_and_b32 exec_lo, exec_lo, vcc_lo
	s_cbranch_execz .LBB170_21
; %bb.17:
	s_load_dwordx2 s[2:3], s[4:5], 0x38
	v_cmp_eq_f32_e32 vcc_lo, 0, v3
	v_cmp_eq_f32_e64 s0, 0, v4
	s_waitcnt lgkmcnt(0)
	v_add_f32_e32 v0, v8, v12
	v_add_f32_e32 v8, v9, v13
	;; [unrolled: 1-line block ×4, first 2 shown]
	s_and_b32 s0, vcc_lo, s0
	s_and_saveexec_b32 s1, s0
	s_xor_b32 s0, exec_lo, s1
	s_cbranch_execz .LBB170_19
; %bb.18:
	v_lshlrev_b32_e32 v3, 1, v5
	v_mul_f32_e64 v9, v8, -v2
	v_mul_f32_e32 v10, v1, v8
	v_mul_f32_e64 v11, v7, -v2
	v_mul_f32_e32 v12, v1, v7
	v_ashrrev_i32_e32 v4, 31, v3
	v_fmac_f32_e32 v9, v1, v0
	v_fmac_f32_e32 v10, v2, v0
	;; [unrolled: 1-line block ×4, first 2 shown]
	v_lshlrev_b64 v[3:4], 3, v[3:4]
                                        ; implicit-def: $vgpr5
                                        ; implicit-def: $vgpr8
                                        ; implicit-def: $vgpr7
                                        ; implicit-def: $vgpr6
	v_add_co_u32 v0, vcc_lo, s2, v3
	v_add_co_ci_u32_e64 v1, null, s3, v4, vcc_lo
                                        ; implicit-def: $vgpr3_vgpr4
	global_store_dwordx4 v[0:1], v[9:12], off
                                        ; implicit-def: $vgpr1_vgpr2
                                        ; implicit-def: $vgpr0
.LBB170_19:
	s_andn2_saveexec_b32 s0, s0
	s_cbranch_execz .LBB170_21
; %bb.20:
	v_lshlrev_b32_e32 v9, 1, v5
	v_mul_f32_e64 v5, v8, -v2
	v_mul_f32_e32 v14, v1, v8
	v_mul_f32_e64 v8, v7, -v2
	v_mul_f32_e32 v16, v1, v7
	v_ashrrev_i32_e32 v10, 31, v9
	v_fmac_f32_e32 v5, v1, v0
	v_fmac_f32_e32 v14, v2, v0
	;; [unrolled: 1-line block ×4, first 2 shown]
	v_lshlrev_b64 v[9:10], 3, v[9:10]
	v_add_co_u32 v17, vcc_lo, s2, v9
	v_add_co_ci_u32_e64 v18, null, s3, v10, vcc_lo
	global_load_dwordx4 v[9:12], v[17:18], off
	s_waitcnt vmcnt(0)
	v_fmac_f32_e32 v5, v3, v9
	v_fmac_f32_e32 v14, v4, v9
	;; [unrolled: 1-line block ×4, first 2 shown]
	v_fma_f32 v13, -v4, v10, v5
	v_fmac_f32_e32 v14, v3, v10
	v_fma_f32 v15, -v4, v12, v8
	v_fmac_f32_e32 v16, v3, v12
	global_store_dwordx4 v[17:18], v[13:16], off
.LBB170_21:
	s_endpgm
	.section	.rodata,"a",@progbits
	.p2align	6, 0x0
	.amdhsa_kernel _ZN9rocsparseL19gebsrmvn_2xn_kernelILj128ELj5ELj32E21rocsparse_complex_numIfEEEvi20rocsparse_direction_NS_24const_host_device_scalarIT2_EEPKiS8_PKS5_SA_S6_PS5_21rocsparse_index_base_b
		.amdhsa_group_segment_fixed_size 0
		.amdhsa_private_segment_fixed_size 0
		.amdhsa_kernarg_size 72
		.amdhsa_user_sgpr_count 6
		.amdhsa_user_sgpr_private_segment_buffer 1
		.amdhsa_user_sgpr_dispatch_ptr 0
		.amdhsa_user_sgpr_queue_ptr 0
		.amdhsa_user_sgpr_kernarg_segment_ptr 1
		.amdhsa_user_sgpr_dispatch_id 0
		.amdhsa_user_sgpr_flat_scratch_init 0
		.amdhsa_user_sgpr_private_segment_size 0
		.amdhsa_wavefront_size32 1
		.amdhsa_uses_dynamic_stack 0
		.amdhsa_system_sgpr_private_segment_wavefront_offset 0
		.amdhsa_system_sgpr_workgroup_id_x 1
		.amdhsa_system_sgpr_workgroup_id_y 0
		.amdhsa_system_sgpr_workgroup_id_z 0
		.amdhsa_system_sgpr_workgroup_info 0
		.amdhsa_system_vgpr_workitem_id 0
		.amdhsa_next_free_vgpr 48
		.amdhsa_next_free_sgpr 16
		.amdhsa_reserve_vcc 1
		.amdhsa_reserve_flat_scratch 0
		.amdhsa_float_round_mode_32 0
		.amdhsa_float_round_mode_16_64 0
		.amdhsa_float_denorm_mode_32 3
		.amdhsa_float_denorm_mode_16_64 3
		.amdhsa_dx10_clamp 1
		.amdhsa_ieee_mode 1
		.amdhsa_fp16_overflow 0
		.amdhsa_workgroup_processor_mode 1
		.amdhsa_memory_ordered 1
		.amdhsa_forward_progress 1
		.amdhsa_shared_vgpr_count 0
		.amdhsa_exception_fp_ieee_invalid_op 0
		.amdhsa_exception_fp_denorm_src 0
		.amdhsa_exception_fp_ieee_div_zero 0
		.amdhsa_exception_fp_ieee_overflow 0
		.amdhsa_exception_fp_ieee_underflow 0
		.amdhsa_exception_fp_ieee_inexact 0
		.amdhsa_exception_int_div_zero 0
	.end_amdhsa_kernel
	.section	.text._ZN9rocsparseL19gebsrmvn_2xn_kernelILj128ELj5ELj32E21rocsparse_complex_numIfEEEvi20rocsparse_direction_NS_24const_host_device_scalarIT2_EEPKiS8_PKS5_SA_S6_PS5_21rocsparse_index_base_b,"axG",@progbits,_ZN9rocsparseL19gebsrmvn_2xn_kernelILj128ELj5ELj32E21rocsparse_complex_numIfEEEvi20rocsparse_direction_NS_24const_host_device_scalarIT2_EEPKiS8_PKS5_SA_S6_PS5_21rocsparse_index_base_b,comdat
.Lfunc_end170:
	.size	_ZN9rocsparseL19gebsrmvn_2xn_kernelILj128ELj5ELj32E21rocsparse_complex_numIfEEEvi20rocsparse_direction_NS_24const_host_device_scalarIT2_EEPKiS8_PKS5_SA_S6_PS5_21rocsparse_index_base_b, .Lfunc_end170-_ZN9rocsparseL19gebsrmvn_2xn_kernelILj128ELj5ELj32E21rocsparse_complex_numIfEEEvi20rocsparse_direction_NS_24const_host_device_scalarIT2_EEPKiS8_PKS5_SA_S6_PS5_21rocsparse_index_base_b
                                        ; -- End function
	.set _ZN9rocsparseL19gebsrmvn_2xn_kernelILj128ELj5ELj32E21rocsparse_complex_numIfEEEvi20rocsparse_direction_NS_24const_host_device_scalarIT2_EEPKiS8_PKS5_SA_S6_PS5_21rocsparse_index_base_b.num_vgpr, 48
	.set _ZN9rocsparseL19gebsrmvn_2xn_kernelILj128ELj5ELj32E21rocsparse_complex_numIfEEEvi20rocsparse_direction_NS_24const_host_device_scalarIT2_EEPKiS8_PKS5_SA_S6_PS5_21rocsparse_index_base_b.num_agpr, 0
	.set _ZN9rocsparseL19gebsrmvn_2xn_kernelILj128ELj5ELj32E21rocsparse_complex_numIfEEEvi20rocsparse_direction_NS_24const_host_device_scalarIT2_EEPKiS8_PKS5_SA_S6_PS5_21rocsparse_index_base_b.numbered_sgpr, 16
	.set _ZN9rocsparseL19gebsrmvn_2xn_kernelILj128ELj5ELj32E21rocsparse_complex_numIfEEEvi20rocsparse_direction_NS_24const_host_device_scalarIT2_EEPKiS8_PKS5_SA_S6_PS5_21rocsparse_index_base_b.num_named_barrier, 0
	.set _ZN9rocsparseL19gebsrmvn_2xn_kernelILj128ELj5ELj32E21rocsparse_complex_numIfEEEvi20rocsparse_direction_NS_24const_host_device_scalarIT2_EEPKiS8_PKS5_SA_S6_PS5_21rocsparse_index_base_b.private_seg_size, 0
	.set _ZN9rocsparseL19gebsrmvn_2xn_kernelILj128ELj5ELj32E21rocsparse_complex_numIfEEEvi20rocsparse_direction_NS_24const_host_device_scalarIT2_EEPKiS8_PKS5_SA_S6_PS5_21rocsparse_index_base_b.uses_vcc, 1
	.set _ZN9rocsparseL19gebsrmvn_2xn_kernelILj128ELj5ELj32E21rocsparse_complex_numIfEEEvi20rocsparse_direction_NS_24const_host_device_scalarIT2_EEPKiS8_PKS5_SA_S6_PS5_21rocsparse_index_base_b.uses_flat_scratch, 0
	.set _ZN9rocsparseL19gebsrmvn_2xn_kernelILj128ELj5ELj32E21rocsparse_complex_numIfEEEvi20rocsparse_direction_NS_24const_host_device_scalarIT2_EEPKiS8_PKS5_SA_S6_PS5_21rocsparse_index_base_b.has_dyn_sized_stack, 0
	.set _ZN9rocsparseL19gebsrmvn_2xn_kernelILj128ELj5ELj32E21rocsparse_complex_numIfEEEvi20rocsparse_direction_NS_24const_host_device_scalarIT2_EEPKiS8_PKS5_SA_S6_PS5_21rocsparse_index_base_b.has_recursion, 0
	.set _ZN9rocsparseL19gebsrmvn_2xn_kernelILj128ELj5ELj32E21rocsparse_complex_numIfEEEvi20rocsparse_direction_NS_24const_host_device_scalarIT2_EEPKiS8_PKS5_SA_S6_PS5_21rocsparse_index_base_b.has_indirect_call, 0
	.section	.AMDGPU.csdata,"",@progbits
; Kernel info:
; codeLenInByte = 2584
; TotalNumSgprs: 18
; NumVgprs: 48
; ScratchSize: 0
; MemoryBound: 0
; FloatMode: 240
; IeeeMode: 1
; LDSByteSize: 0 bytes/workgroup (compile time only)
; SGPRBlocks: 0
; VGPRBlocks: 5
; NumSGPRsForWavesPerEU: 18
; NumVGPRsForWavesPerEU: 48
; Occupancy: 16
; WaveLimiterHint : 1
; COMPUTE_PGM_RSRC2:SCRATCH_EN: 0
; COMPUTE_PGM_RSRC2:USER_SGPR: 6
; COMPUTE_PGM_RSRC2:TRAP_HANDLER: 0
; COMPUTE_PGM_RSRC2:TGID_X_EN: 1
; COMPUTE_PGM_RSRC2:TGID_Y_EN: 0
; COMPUTE_PGM_RSRC2:TGID_Z_EN: 0
; COMPUTE_PGM_RSRC2:TIDIG_COMP_CNT: 0
	.section	.text._ZN9rocsparseL19gebsrmvn_2xn_kernelILj128ELj5ELj64E21rocsparse_complex_numIfEEEvi20rocsparse_direction_NS_24const_host_device_scalarIT2_EEPKiS8_PKS5_SA_S6_PS5_21rocsparse_index_base_b,"axG",@progbits,_ZN9rocsparseL19gebsrmvn_2xn_kernelILj128ELj5ELj64E21rocsparse_complex_numIfEEEvi20rocsparse_direction_NS_24const_host_device_scalarIT2_EEPKiS8_PKS5_SA_S6_PS5_21rocsparse_index_base_b,comdat
	.globl	_ZN9rocsparseL19gebsrmvn_2xn_kernelILj128ELj5ELj64E21rocsparse_complex_numIfEEEvi20rocsparse_direction_NS_24const_host_device_scalarIT2_EEPKiS8_PKS5_SA_S6_PS5_21rocsparse_index_base_b ; -- Begin function _ZN9rocsparseL19gebsrmvn_2xn_kernelILj128ELj5ELj64E21rocsparse_complex_numIfEEEvi20rocsparse_direction_NS_24const_host_device_scalarIT2_EEPKiS8_PKS5_SA_S6_PS5_21rocsparse_index_base_b
	.p2align	8
	.type	_ZN9rocsparseL19gebsrmvn_2xn_kernelILj128ELj5ELj64E21rocsparse_complex_numIfEEEvi20rocsparse_direction_NS_24const_host_device_scalarIT2_EEPKiS8_PKS5_SA_S6_PS5_21rocsparse_index_base_b,@function
_ZN9rocsparseL19gebsrmvn_2xn_kernelILj128ELj5ELj64E21rocsparse_complex_numIfEEEvi20rocsparse_direction_NS_24const_host_device_scalarIT2_EEPKiS8_PKS5_SA_S6_PS5_21rocsparse_index_base_b: ; @_ZN9rocsparseL19gebsrmvn_2xn_kernelILj128ELj5ELj64E21rocsparse_complex_numIfEEEvi20rocsparse_direction_NS_24const_host_device_scalarIT2_EEPKiS8_PKS5_SA_S6_PS5_21rocsparse_index_base_b
; %bb.0:
	s_clause 0x2
	s_load_dwordx2 s[2:3], s[4:5], 0x40
	s_load_dwordx2 s[0:1], s[4:5], 0x8
	;; [unrolled: 1-line block ×3, first 2 shown]
	s_add_u32 s7, s4, 8
	s_addc_u32 s10, s5, 0
	s_add_u32 s11, s4, 48
	s_addc_u32 s12, s5, 0
	s_waitcnt lgkmcnt(0)
	s_bitcmp1_b32 s3, 0
	s_cselect_b32 s0, s7, s0
	s_cselect_b32 s1, s10, s1
	v_mov_b32_e32 v1, s0
	v_mov_b32_e32 v2, s1
	s_cselect_b32 s0, s11, s8
	s_cselect_b32 s1, s12, s9
	v_mov_b32_e32 v3, s0
	v_mov_b32_e32 v4, s1
	flat_load_dwordx2 v[1:2], v[1:2]
	flat_load_dwordx2 v[3:4], v[3:4]
	s_waitcnt vmcnt(1) lgkmcnt(1)
	v_cmp_eq_f32_e32 vcc_lo, 0, v1
	v_cmp_eq_f32_e64 s0, 0, v2
	s_and_b32 s3, vcc_lo, s0
	s_mov_b32 s0, -1
	s_and_saveexec_b32 s1, s3
	s_cbranch_execz .LBB171_2
; %bb.1:
	s_waitcnt vmcnt(0) lgkmcnt(0)
	v_cmp_neq_f32_e32 vcc_lo, 1.0, v3
	v_cmp_neq_f32_e64 s0, 0, v4
	s_or_b32 s0, vcc_lo, s0
	s_orn2_b32 s0, s0, exec_lo
.LBB171_2:
	s_or_b32 exec_lo, exec_lo, s1
	s_and_saveexec_b32 s1, s0
	s_cbranch_execz .LBB171_21
; %bb.3:
	s_load_dwordx2 s[0:1], s[4:5], 0x0
	v_lshrrev_b32_e32 v5, 6, v0
	v_lshl_or_b32 v5, s6, 1, v5
	s_waitcnt lgkmcnt(0)
	v_cmp_gt_i32_e32 vcc_lo, s0, v5
	s_and_b32 exec_lo, exec_lo, vcc_lo
	s_cbranch_execz .LBB171_21
; %bb.4:
	s_load_dwordx8 s[8:15], s[4:5], 0x10
	v_ashrrev_i32_e32 v6, 31, v5
	v_and_b32_e32 v0, 63, v0
	s_cmp_lg_u32 s1, 0
	v_lshlrev_b64 v[6:7], 2, v[5:6]
	s_waitcnt lgkmcnt(0)
	v_add_co_u32 v6, vcc_lo, s8, v6
	v_add_co_ci_u32_e64 v7, null, s9, v7, vcc_lo
	global_load_dwordx2 v[6:7], v[6:7], off
	s_waitcnt vmcnt(0)
	v_subrev_nc_u32_e32 v6, s2, v6
	v_subrev_nc_u32_e32 v15, s2, v7
	v_add_nc_u32_e32 v6, v6, v0
	v_cmp_lt_i32_e64 s0, v6, v15
	s_cbranch_scc0 .LBB171_10
; %bb.5:
	v_mov_b32_e32 v13, 0
	v_mov_b32_e32 v16, 0
	;; [unrolled: 1-line block ×4, first 2 shown]
	s_and_saveexec_b32 s1, s0
	s_cbranch_execz .LBB171_9
; %bb.6:
	v_mad_u64_u32 v[7:8], null, v6, 10, 8
	v_mov_b32_e32 v10, 0
	v_mov_b32_e32 v11, v6
	;; [unrolled: 1-line block ×6, first 2 shown]
	s_mov_b32 s3, 0
.LBB171_7:                              ; =>This Inner Loop Header: Depth=1
	v_ashrrev_i32_e32 v12, 31, v11
	v_mov_b32_e32 v31, v10
	v_lshlrev_b64 v[8:9], 2, v[11:12]
	v_add_nc_u32_e32 v11, 64, v11
	v_add_co_u32 v8, vcc_lo, s10, v8
	v_add_co_ci_u32_e64 v9, null, s11, v9, vcc_lo
	global_load_dword v12, v[8:9], off
	v_add_nc_u32_e32 v9, -8, v7
	v_mov_b32_e32 v8, v10
	v_lshlrev_b64 v[18:19], 3, v[9:10]
	v_add_nc_u32_e32 v9, -6, v7
	v_lshlrev_b64 v[20:21], 3, v[7:8]
	v_lshlrev_b64 v[8:9], 3, v[9:10]
	v_add_co_u32 v18, vcc_lo, s12, v18
	v_add_co_ci_u32_e64 v19, null, s13, v19, vcc_lo
	v_add_co_u32 v34, vcc_lo, s12, v20
	v_add_co_ci_u32_e64 v35, null, s13, v21, vcc_lo
	;; [unrolled: 2-line block ×3, first 2 shown]
	s_clause 0x1
	global_load_dwordx4 v[18:21], v[18:19], off
	global_load_dwordx4 v[22:25], v[8:9], off
	s_waitcnt vmcnt(2)
	v_subrev_nc_u32_e32 v8, s2, v12
	v_lshl_add_u32 v30, v8, 2, v8
	v_lshlrev_b64 v[26:27], 3, v[30:31]
	v_add_nc_u32_e32 v9, 1, v30
	v_lshlrev_b64 v[28:29], 3, v[9:10]
	v_add_co_u32 v26, vcc_lo, s14, v26
	v_add_co_ci_u32_e64 v27, null, s15, v27, vcc_lo
	v_add_nc_u32_e32 v9, -4, v7
	v_add_co_u32 v28, vcc_lo, s14, v28
	global_load_dwordx2 v[38:39], v[26:27], off
	v_add_co_ci_u32_e64 v29, null, s15, v29, vcc_lo
	v_lshlrev_b64 v[31:32], 3, v[9:10]
	v_add_nc_u32_e32 v9, 2, v30
	global_load_dwordx2 v[40:41], v[28:29], off
	v_lshlrev_b64 v[26:27], 3, v[9:10]
	v_add_nc_u32_e32 v9, -2, v7
	v_add_co_u32 v28, vcc_lo, s12, v31
	v_add_co_ci_u32_e64 v29, null, s13, v32, vcc_lo
	v_lshlrev_b64 v[31:32], 3, v[9:10]
	v_add_nc_u32_e32 v9, 3, v30
	v_add_co_u32 v36, vcc_lo, s14, v26
	v_add_co_ci_u32_e64 v37, null, s15, v27, vcc_lo
	v_lshlrev_b64 v[42:43], 3, v[9:10]
	global_load_dwordx4 v[26:29], v[28:29], off
	v_add_nc_u32_e32 v9, 4, v30
	global_load_dwordx2 v[44:45], v[36:37], off
	v_add_co_u32 v30, vcc_lo, s12, v31
	v_add_co_ci_u32_e64 v31, null, s13, v32, vcc_lo
	v_add_co_u32 v36, vcc_lo, s14, v42
	v_add_co_ci_u32_e64 v37, null, s15, v43, vcc_lo
	v_lshlrev_b64 v[8:9], 3, v[9:10]
	global_load_dwordx4 v[30:33], v[30:31], off
	global_load_dwordx2 v[42:43], v[36:37], off
	v_add_nc_u32_e32 v7, 0x280, v7
	v_add_co_u32 v8, vcc_lo, s14, v8
	v_add_co_ci_u32_e64 v9, null, s15, v9, vcc_lo
	global_load_dwordx4 v[34:37], v[34:35], off
	global_load_dwordx2 v[8:9], v[8:9], off
	v_cmp_ge_i32_e32 vcc_lo, v11, v15
	s_or_b32 s3, vcc_lo, s3
	s_waitcnt vmcnt(7)
	v_fmac_f32_e32 v16, v18, v38
	v_fmac_f32_e32 v13, v19, v38
	v_fmac_f32_e32 v17, v20, v38
	v_fmac_f32_e32 v14, v21, v38
	v_fma_f32 v12, -v19, v39, v16
	v_fmac_f32_e32 v13, v18, v39
	v_fma_f32 v16, -v21, v39, v17
	v_fmac_f32_e32 v14, v20, v39
	s_waitcnt vmcnt(6)
	v_fmac_f32_e32 v12, v22, v40
	v_fmac_f32_e32 v13, v23, v40
	v_fmac_f32_e32 v16, v24, v40
	v_fmac_f32_e32 v14, v25, v40
	v_fma_f32 v12, -v23, v41, v12
	v_fmac_f32_e32 v13, v22, v41
	v_fma_f32 v16, -v25, v41, v16
	v_fmac_f32_e32 v14, v24, v41
	;; [unrolled: 9-line block ×5, first 2 shown]
	s_andn2_b32 exec_lo, exec_lo, s3
	s_cbranch_execnz .LBB171_7
; %bb.8:
	s_or_b32 exec_lo, exec_lo, s3
.LBB171_9:
	s_or_b32 exec_lo, exec_lo, s1
	s_cbranch_execz .LBB171_11
	s_branch .LBB171_16
.LBB171_10:
                                        ; implicit-def: $vgpr13
                                        ; implicit-def: $vgpr16
                                        ; implicit-def: $vgpr17
                                        ; implicit-def: $vgpr14
.LBB171_11:
	v_mov_b32_e32 v13, 0
	v_mov_b32_e32 v16, 0
	;; [unrolled: 1-line block ×4, first 2 shown]
	s_and_saveexec_b32 s1, s0
	s_cbranch_execz .LBB171_15
; %bb.12:
	v_mad_u64_u32 v[8:9], null, v6, 10, 9
	v_mov_b32_e32 v11, 0
	v_mov_b32_e32 v13, 0
	;; [unrolled: 1-line block ×5, first 2 shown]
	s_mov_b32 s0, 0
.LBB171_13:                             ; =>This Inner Loop Header: Depth=1
	v_ashrrev_i32_e32 v7, 31, v6
	v_add_nc_u32_e32 v18, -4, v8
	v_mov_b32_e32 v19, v11
	v_mov_b32_e32 v23, v11
	v_lshlrev_b64 v[9:10], 2, v[6:7]
	v_add_nc_u32_e32 v6, 64, v6
	v_lshlrev_b64 v[18:19], 3, v[18:19]
	v_add_co_u32 v9, vcc_lo, s10, v9
	v_add_co_ci_u32_e64 v10, null, s11, v10, vcc_lo
	global_load_dword v7, v[9:10], off
	v_add_nc_u32_e32 v10, -9, v8
	v_mov_b32_e32 v9, v11
	v_lshlrev_b64 v[20:21], 3, v[10:11]
	v_lshlrev_b64 v[9:10], 3, v[8:9]
	v_add_co_u32 v20, vcc_lo, s12, v20
	v_add_co_ci_u32_e64 v21, null, s13, v21, vcc_lo
	v_add_co_u32 v24, vcc_lo, s12, v18
	v_add_co_ci_u32_e64 v25, null, s13, v19, vcc_lo
	;; [unrolled: 2-line block ×3, first 2 shown]
	s_clause 0x2
	global_load_dwordx4 v[18:21], v[20:21], off
	global_load_dwordx2 v[24:25], v[24:25], off
	global_load_dwordx2 v[26:27], v[9:10], off
	s_waitcnt vmcnt(3)
	v_subrev_nc_u32_e32 v7, s2, v7
	v_lshl_add_u32 v22, v7, 2, v7
	v_add_nc_u32_e32 v10, 1, v22
	v_lshlrev_b64 v[28:29], 3, v[22:23]
	v_lshlrev_b64 v[30:31], 3, v[10:11]
	v_add_nc_u32_e32 v10, -3, v8
	v_add_co_u32 v28, vcc_lo, s14, v28
	v_add_co_ci_u32_e64 v29, null, s15, v29, vcc_lo
	v_lshlrev_b64 v[32:33], 3, v[10:11]
	v_add_nc_u32_e32 v10, -7, v8
	v_add_co_u32 v30, vcc_lo, s14, v30
	global_load_dwordx2 v[28:29], v[28:29], off
	v_add_co_ci_u32_e64 v31, null, s15, v31, vcc_lo
	v_lshlrev_b64 v[34:35], 3, v[10:11]
	v_add_nc_u32_e32 v10, 2, v22
	v_add_co_u32 v32, vcc_lo, s12, v32
	v_add_co_ci_u32_e64 v33, null, s13, v33, vcc_lo
	v_lshlrev_b64 v[36:37], 3, v[10:11]
	v_add_nc_u32_e32 v10, -2, v8
	v_add_co_u32 v34, vcc_lo, s12, v34
	global_load_dwordx2 v[30:31], v[30:31], off
	global_load_dwordx2 v[32:33], v[32:33], off
	v_lshlrev_b64 v[38:39], 3, v[10:11]
	v_add_nc_u32_e32 v10, -6, v8
	v_add_co_ci_u32_e64 v35, null, s13, v35, vcc_lo
	v_add_co_u32 v36, vcc_lo, s14, v36
	v_lshlrev_b64 v[40:41], 3, v[10:11]
	v_add_nc_u32_e32 v10, 3, v22
	v_add_co_ci_u32_e64 v37, null, s15, v37, vcc_lo
	v_add_co_u32 v38, vcc_lo, s12, v38
	v_lshlrev_b64 v[42:43], 3, v[10:11]
	v_add_nc_u32_e32 v10, -1, v8
	v_add_co_ci_u32_e64 v39, null, s13, v39, vcc_lo
	v_add_co_u32 v40, vcc_lo, s12, v40
	v_lshlrev_b64 v[44:45], 3, v[10:11]
	v_add_nc_u32_e32 v10, -5, v8
	global_load_dwordx2 v[34:35], v[34:35], off
	global_load_dwordx2 v[36:37], v[36:37], off
	;; [unrolled: 1-line block ×3, first 2 shown]
	v_add_co_ci_u32_e64 v41, null, s13, v41, vcc_lo
	v_add_co_u32 v42, vcc_lo, s14, v42
	v_add_co_ci_u32_e64 v43, null, s15, v43, vcc_lo
	v_lshlrev_b64 v[46:47], 3, v[10:11]
	v_add_nc_u32_e32 v10, 4, v22
	v_add_co_u32 v22, vcc_lo, s12, v44
	v_add_co_ci_u32_e64 v23, null, s13, v45, vcc_lo
	v_lshlrev_b64 v[9:10], 3, v[10:11]
	global_load_dwordx2 v[40:41], v[40:41], off
	global_load_dwordx2 v[42:43], v[42:43], off
	;; [unrolled: 1-line block ×3, first 2 shown]
	v_add_co_u32 v44, vcc_lo, s12, v46
	v_add_co_ci_u32_e64 v45, null, s13, v47, vcc_lo
	v_add_co_u32 v9, vcc_lo, s14, v9
	v_add_co_ci_u32_e64 v10, null, s15, v10, vcc_lo
	global_load_dwordx2 v[44:45], v[44:45], off
	global_load_dwordx2 v[9:10], v[9:10], off
	v_cmp_ge_i32_e32 vcc_lo, v6, v15
	v_add_nc_u32_e32 v8, 0x280, v8
	s_or_b32 s0, vcc_lo, s0
	s_waitcnt vmcnt(10)
	v_fmac_f32_e32 v16, v18, v28
	v_fmac_f32_e32 v13, v19, v28
	;; [unrolled: 1-line block ×4, first 2 shown]
	v_fma_f32 v7, -v19, v29, v16
	v_fmac_f32_e32 v13, v18, v29
	v_fma_f32 v12, -v25, v29, v17
	v_fmac_f32_e32 v14, v24, v29
	s_waitcnt vmcnt(9)
	v_fmac_f32_e32 v7, v20, v30
	v_fmac_f32_e32 v13, v21, v30
	s_waitcnt vmcnt(8)
	v_fmac_f32_e32 v12, v32, v30
	v_fmac_f32_e32 v14, v33, v30
	v_fma_f32 v7, -v21, v31, v7
	v_fmac_f32_e32 v13, v20, v31
	v_fma_f32 v12, -v33, v31, v12
	v_fmac_f32_e32 v14, v32, v31
	s_waitcnt vmcnt(6)
	v_fmac_f32_e32 v7, v34, v36
	v_fmac_f32_e32 v13, v35, v36
	s_waitcnt vmcnt(5)
	v_fmac_f32_e32 v12, v38, v36
	v_fmac_f32_e32 v14, v39, v36
	;; [unrolled: 10-line block ×3, first 2 shown]
	v_fma_f32 v7, -v41, v43, v7
	v_fmac_f32_e32 v13, v40, v43
	v_fma_f32 v12, -v23, v43, v12
	v_fmac_f32_e32 v14, v22, v43
	s_waitcnt vmcnt(0)
	v_fmac_f32_e32 v7, v44, v9
	v_fmac_f32_e32 v13, v45, v9
	;; [unrolled: 1-line block ×4, first 2 shown]
	v_fma_f32 v16, -v45, v10, v7
	v_fmac_f32_e32 v13, v44, v10
	v_fma_f32 v17, -v27, v10, v12
	v_fmac_f32_e32 v14, v26, v10
	s_andn2_b32 exec_lo, exec_lo, s0
	s_cbranch_execnz .LBB171_13
; %bb.14:
	s_or_b32 exec_lo, exec_lo, s0
.LBB171_15:
	s_or_b32 exec_lo, exec_lo, s1
.LBB171_16:
	v_mbcnt_lo_u32_b32 v6, -1, 0
	v_or_b32_e32 v7, 32, v6
	v_xor_b32_e32 v11, 16, v6
	v_xor_b32_e32 v15, 8, v6
	v_cmp_gt_i32_e32 vcc_lo, 32, v7
	v_cndmask_b32_e32 v7, v6, v7, vcc_lo
	v_cmp_gt_i32_e32 vcc_lo, 32, v11
	v_lshlrev_b32_e32 v7, 2, v7
	v_cndmask_b32_e32 v11, v6, v11, vcc_lo
	v_cmp_gt_i32_e32 vcc_lo, 32, v15
	ds_bpermute_b32 v8, v7, v16
	ds_bpermute_b32 v9, v7, v13
	;; [unrolled: 1-line block ×4, first 2 shown]
	v_lshlrev_b32_e32 v11, 2, v11
	v_cndmask_b32_e32 v15, v6, v15, vcc_lo
	v_lshlrev_b32_e32 v15, 2, v15
	s_waitcnt lgkmcnt(3)
	v_add_f32_e32 v8, v16, v8
	s_waitcnt lgkmcnt(2)
	v_add_f32_e32 v9, v13, v9
	;; [unrolled: 2-line block ×4, first 2 shown]
	ds_bpermute_b32 v12, v11, v8
	ds_bpermute_b32 v13, v11, v9
	;; [unrolled: 1-line block ×4, first 2 shown]
	s_waitcnt lgkmcnt(3)
	v_add_f32_e32 v8, v8, v12
	s_waitcnt lgkmcnt(2)
	v_add_f32_e32 v9, v9, v13
	s_waitcnt lgkmcnt(1)
	v_add_f32_e32 v10, v10, v14
	s_waitcnt lgkmcnt(0)
	v_add_f32_e32 v7, v7, v11
	ds_bpermute_b32 v11, v15, v8
	ds_bpermute_b32 v12, v15, v9
	;; [unrolled: 1-line block ×4, first 2 shown]
	v_xor_b32_e32 v15, 4, v6
	v_cmp_gt_i32_e32 vcc_lo, 32, v15
	v_cndmask_b32_e32 v15, v6, v15, vcc_lo
	v_lshlrev_b32_e32 v15, 2, v15
	s_waitcnt lgkmcnt(3)
	v_add_f32_e32 v8, v8, v11
	s_waitcnt lgkmcnt(2)
	v_add_f32_e32 v9, v9, v12
	;; [unrolled: 2-line block ×4, first 2 shown]
	ds_bpermute_b32 v11, v15, v8
	ds_bpermute_b32 v12, v15, v9
	ds_bpermute_b32 v13, v15, v10
	ds_bpermute_b32 v14, v15, v7
	v_xor_b32_e32 v15, 2, v6
	v_cmp_gt_i32_e32 vcc_lo, 32, v15
	v_cndmask_b32_e32 v15, v6, v15, vcc_lo
	v_lshlrev_b32_e32 v15, 2, v15
	s_waitcnt lgkmcnt(3)
	v_add_f32_e32 v8, v8, v11
	s_waitcnt lgkmcnt(2)
	v_add_f32_e32 v9, v9, v12
	;; [unrolled: 2-line block ×4, first 2 shown]
	ds_bpermute_b32 v11, v15, v8
	ds_bpermute_b32 v12, v15, v9
	;; [unrolled: 1-line block ×4, first 2 shown]
	v_xor_b32_e32 v15, 1, v6
	v_cmp_gt_i32_e32 vcc_lo, 32, v15
	v_cndmask_b32_e32 v6, v6, v15, vcc_lo
	v_cmp_eq_u32_e32 vcc_lo, 63, v0
	v_lshlrev_b32_e32 v15, 2, v6
	s_waitcnt lgkmcnt(3)
	v_add_f32_e32 v8, v8, v11
	s_waitcnt lgkmcnt(2)
	v_add_f32_e32 v9, v9, v12
	;; [unrolled: 2-line block ×4, first 2 shown]
	ds_bpermute_b32 v12, v15, v8
	ds_bpermute_b32 v13, v15, v9
	;; [unrolled: 1-line block ×4, first 2 shown]
	s_and_b32 exec_lo, exec_lo, vcc_lo
	s_cbranch_execz .LBB171_21
; %bb.17:
	s_load_dwordx2 s[2:3], s[4:5], 0x38
	v_cmp_eq_f32_e32 vcc_lo, 0, v3
	v_cmp_eq_f32_e64 s0, 0, v4
	s_waitcnt lgkmcnt(0)
	v_add_f32_e32 v0, v8, v12
	v_add_f32_e32 v8, v9, v13
	;; [unrolled: 1-line block ×4, first 2 shown]
	s_and_b32 s0, vcc_lo, s0
	s_and_saveexec_b32 s1, s0
	s_xor_b32 s0, exec_lo, s1
	s_cbranch_execz .LBB171_19
; %bb.18:
	v_lshlrev_b32_e32 v3, 1, v5
	v_mul_f32_e64 v9, v8, -v2
	v_mul_f32_e32 v10, v1, v8
	v_mul_f32_e64 v11, v7, -v2
	v_mul_f32_e32 v12, v1, v7
	v_ashrrev_i32_e32 v4, 31, v3
	v_fmac_f32_e32 v9, v1, v0
	v_fmac_f32_e32 v10, v2, v0
	;; [unrolled: 1-line block ×4, first 2 shown]
	v_lshlrev_b64 v[3:4], 3, v[3:4]
                                        ; implicit-def: $vgpr5
                                        ; implicit-def: $vgpr8
                                        ; implicit-def: $vgpr7
                                        ; implicit-def: $vgpr6
	v_add_co_u32 v0, vcc_lo, s2, v3
	v_add_co_ci_u32_e64 v1, null, s3, v4, vcc_lo
                                        ; implicit-def: $vgpr3_vgpr4
	global_store_dwordx4 v[0:1], v[9:12], off
                                        ; implicit-def: $vgpr1_vgpr2
                                        ; implicit-def: $vgpr0
.LBB171_19:
	s_andn2_saveexec_b32 s0, s0
	s_cbranch_execz .LBB171_21
; %bb.20:
	v_lshlrev_b32_e32 v9, 1, v5
	v_mul_f32_e64 v5, v8, -v2
	v_mul_f32_e32 v14, v1, v8
	v_mul_f32_e64 v8, v7, -v2
	v_mul_f32_e32 v16, v1, v7
	v_ashrrev_i32_e32 v10, 31, v9
	v_fmac_f32_e32 v5, v1, v0
	v_fmac_f32_e32 v14, v2, v0
	;; [unrolled: 1-line block ×4, first 2 shown]
	v_lshlrev_b64 v[9:10], 3, v[9:10]
	v_add_co_u32 v17, vcc_lo, s2, v9
	v_add_co_ci_u32_e64 v18, null, s3, v10, vcc_lo
	global_load_dwordx4 v[9:12], v[17:18], off
	s_waitcnt vmcnt(0)
	v_fmac_f32_e32 v5, v3, v9
	v_fmac_f32_e32 v14, v4, v9
	;; [unrolled: 1-line block ×4, first 2 shown]
	v_fma_f32 v13, -v4, v10, v5
	v_fmac_f32_e32 v14, v3, v10
	v_fma_f32 v15, -v4, v12, v8
	v_fmac_f32_e32 v16, v3, v12
	global_store_dwordx4 v[17:18], v[13:16], off
.LBB171_21:
	s_endpgm
	.section	.rodata,"a",@progbits
	.p2align	6, 0x0
	.amdhsa_kernel _ZN9rocsparseL19gebsrmvn_2xn_kernelILj128ELj5ELj64E21rocsparse_complex_numIfEEEvi20rocsparse_direction_NS_24const_host_device_scalarIT2_EEPKiS8_PKS5_SA_S6_PS5_21rocsparse_index_base_b
		.amdhsa_group_segment_fixed_size 0
		.amdhsa_private_segment_fixed_size 0
		.amdhsa_kernarg_size 72
		.amdhsa_user_sgpr_count 6
		.amdhsa_user_sgpr_private_segment_buffer 1
		.amdhsa_user_sgpr_dispatch_ptr 0
		.amdhsa_user_sgpr_queue_ptr 0
		.amdhsa_user_sgpr_kernarg_segment_ptr 1
		.amdhsa_user_sgpr_dispatch_id 0
		.amdhsa_user_sgpr_flat_scratch_init 0
		.amdhsa_user_sgpr_private_segment_size 0
		.amdhsa_wavefront_size32 1
		.amdhsa_uses_dynamic_stack 0
		.amdhsa_system_sgpr_private_segment_wavefront_offset 0
		.amdhsa_system_sgpr_workgroup_id_x 1
		.amdhsa_system_sgpr_workgroup_id_y 0
		.amdhsa_system_sgpr_workgroup_id_z 0
		.amdhsa_system_sgpr_workgroup_info 0
		.amdhsa_system_vgpr_workitem_id 0
		.amdhsa_next_free_vgpr 48
		.amdhsa_next_free_sgpr 16
		.amdhsa_reserve_vcc 1
		.amdhsa_reserve_flat_scratch 0
		.amdhsa_float_round_mode_32 0
		.amdhsa_float_round_mode_16_64 0
		.amdhsa_float_denorm_mode_32 3
		.amdhsa_float_denorm_mode_16_64 3
		.amdhsa_dx10_clamp 1
		.amdhsa_ieee_mode 1
		.amdhsa_fp16_overflow 0
		.amdhsa_workgroup_processor_mode 1
		.amdhsa_memory_ordered 1
		.amdhsa_forward_progress 1
		.amdhsa_shared_vgpr_count 0
		.amdhsa_exception_fp_ieee_invalid_op 0
		.amdhsa_exception_fp_denorm_src 0
		.amdhsa_exception_fp_ieee_div_zero 0
		.amdhsa_exception_fp_ieee_overflow 0
		.amdhsa_exception_fp_ieee_underflow 0
		.amdhsa_exception_fp_ieee_inexact 0
		.amdhsa_exception_int_div_zero 0
	.end_amdhsa_kernel
	.section	.text._ZN9rocsparseL19gebsrmvn_2xn_kernelILj128ELj5ELj64E21rocsparse_complex_numIfEEEvi20rocsparse_direction_NS_24const_host_device_scalarIT2_EEPKiS8_PKS5_SA_S6_PS5_21rocsparse_index_base_b,"axG",@progbits,_ZN9rocsparseL19gebsrmvn_2xn_kernelILj128ELj5ELj64E21rocsparse_complex_numIfEEEvi20rocsparse_direction_NS_24const_host_device_scalarIT2_EEPKiS8_PKS5_SA_S6_PS5_21rocsparse_index_base_b,comdat
.Lfunc_end171:
	.size	_ZN9rocsparseL19gebsrmvn_2xn_kernelILj128ELj5ELj64E21rocsparse_complex_numIfEEEvi20rocsparse_direction_NS_24const_host_device_scalarIT2_EEPKiS8_PKS5_SA_S6_PS5_21rocsparse_index_base_b, .Lfunc_end171-_ZN9rocsparseL19gebsrmvn_2xn_kernelILj128ELj5ELj64E21rocsparse_complex_numIfEEEvi20rocsparse_direction_NS_24const_host_device_scalarIT2_EEPKiS8_PKS5_SA_S6_PS5_21rocsparse_index_base_b
                                        ; -- End function
	.set _ZN9rocsparseL19gebsrmvn_2xn_kernelILj128ELj5ELj64E21rocsparse_complex_numIfEEEvi20rocsparse_direction_NS_24const_host_device_scalarIT2_EEPKiS8_PKS5_SA_S6_PS5_21rocsparse_index_base_b.num_vgpr, 48
	.set _ZN9rocsparseL19gebsrmvn_2xn_kernelILj128ELj5ELj64E21rocsparse_complex_numIfEEEvi20rocsparse_direction_NS_24const_host_device_scalarIT2_EEPKiS8_PKS5_SA_S6_PS5_21rocsparse_index_base_b.num_agpr, 0
	.set _ZN9rocsparseL19gebsrmvn_2xn_kernelILj128ELj5ELj64E21rocsparse_complex_numIfEEEvi20rocsparse_direction_NS_24const_host_device_scalarIT2_EEPKiS8_PKS5_SA_S6_PS5_21rocsparse_index_base_b.numbered_sgpr, 16
	.set _ZN9rocsparseL19gebsrmvn_2xn_kernelILj128ELj5ELj64E21rocsparse_complex_numIfEEEvi20rocsparse_direction_NS_24const_host_device_scalarIT2_EEPKiS8_PKS5_SA_S6_PS5_21rocsparse_index_base_b.num_named_barrier, 0
	.set _ZN9rocsparseL19gebsrmvn_2xn_kernelILj128ELj5ELj64E21rocsparse_complex_numIfEEEvi20rocsparse_direction_NS_24const_host_device_scalarIT2_EEPKiS8_PKS5_SA_S6_PS5_21rocsparse_index_base_b.private_seg_size, 0
	.set _ZN9rocsparseL19gebsrmvn_2xn_kernelILj128ELj5ELj64E21rocsparse_complex_numIfEEEvi20rocsparse_direction_NS_24const_host_device_scalarIT2_EEPKiS8_PKS5_SA_S6_PS5_21rocsparse_index_base_b.uses_vcc, 1
	.set _ZN9rocsparseL19gebsrmvn_2xn_kernelILj128ELj5ELj64E21rocsparse_complex_numIfEEEvi20rocsparse_direction_NS_24const_host_device_scalarIT2_EEPKiS8_PKS5_SA_S6_PS5_21rocsparse_index_base_b.uses_flat_scratch, 0
	.set _ZN9rocsparseL19gebsrmvn_2xn_kernelILj128ELj5ELj64E21rocsparse_complex_numIfEEEvi20rocsparse_direction_NS_24const_host_device_scalarIT2_EEPKiS8_PKS5_SA_S6_PS5_21rocsparse_index_base_b.has_dyn_sized_stack, 0
	.set _ZN9rocsparseL19gebsrmvn_2xn_kernelILj128ELj5ELj64E21rocsparse_complex_numIfEEEvi20rocsparse_direction_NS_24const_host_device_scalarIT2_EEPKiS8_PKS5_SA_S6_PS5_21rocsparse_index_base_b.has_recursion, 0
	.set _ZN9rocsparseL19gebsrmvn_2xn_kernelILj128ELj5ELj64E21rocsparse_complex_numIfEEEvi20rocsparse_direction_NS_24const_host_device_scalarIT2_EEPKiS8_PKS5_SA_S6_PS5_21rocsparse_index_base_b.has_indirect_call, 0
	.section	.AMDGPU.csdata,"",@progbits
; Kernel info:
; codeLenInByte = 2664
; TotalNumSgprs: 18
; NumVgprs: 48
; ScratchSize: 0
; MemoryBound: 0
; FloatMode: 240
; IeeeMode: 1
; LDSByteSize: 0 bytes/workgroup (compile time only)
; SGPRBlocks: 0
; VGPRBlocks: 5
; NumSGPRsForWavesPerEU: 18
; NumVGPRsForWavesPerEU: 48
; Occupancy: 16
; WaveLimiterHint : 1
; COMPUTE_PGM_RSRC2:SCRATCH_EN: 0
; COMPUTE_PGM_RSRC2:USER_SGPR: 6
; COMPUTE_PGM_RSRC2:TRAP_HANDLER: 0
; COMPUTE_PGM_RSRC2:TGID_X_EN: 1
; COMPUTE_PGM_RSRC2:TGID_Y_EN: 0
; COMPUTE_PGM_RSRC2:TGID_Z_EN: 0
; COMPUTE_PGM_RSRC2:TIDIG_COMP_CNT: 0
	.section	.text._ZN9rocsparseL19gebsrmvn_2xn_kernelILj128ELj6ELj4E21rocsparse_complex_numIfEEEvi20rocsparse_direction_NS_24const_host_device_scalarIT2_EEPKiS8_PKS5_SA_S6_PS5_21rocsparse_index_base_b,"axG",@progbits,_ZN9rocsparseL19gebsrmvn_2xn_kernelILj128ELj6ELj4E21rocsparse_complex_numIfEEEvi20rocsparse_direction_NS_24const_host_device_scalarIT2_EEPKiS8_PKS5_SA_S6_PS5_21rocsparse_index_base_b,comdat
	.globl	_ZN9rocsparseL19gebsrmvn_2xn_kernelILj128ELj6ELj4E21rocsparse_complex_numIfEEEvi20rocsparse_direction_NS_24const_host_device_scalarIT2_EEPKiS8_PKS5_SA_S6_PS5_21rocsparse_index_base_b ; -- Begin function _ZN9rocsparseL19gebsrmvn_2xn_kernelILj128ELj6ELj4E21rocsparse_complex_numIfEEEvi20rocsparse_direction_NS_24const_host_device_scalarIT2_EEPKiS8_PKS5_SA_S6_PS5_21rocsparse_index_base_b
	.p2align	8
	.type	_ZN9rocsparseL19gebsrmvn_2xn_kernelILj128ELj6ELj4E21rocsparse_complex_numIfEEEvi20rocsparse_direction_NS_24const_host_device_scalarIT2_EEPKiS8_PKS5_SA_S6_PS5_21rocsparse_index_base_b,@function
_ZN9rocsparseL19gebsrmvn_2xn_kernelILj128ELj6ELj4E21rocsparse_complex_numIfEEEvi20rocsparse_direction_NS_24const_host_device_scalarIT2_EEPKiS8_PKS5_SA_S6_PS5_21rocsparse_index_base_b: ; @_ZN9rocsparseL19gebsrmvn_2xn_kernelILj128ELj6ELj4E21rocsparse_complex_numIfEEEvi20rocsparse_direction_NS_24const_host_device_scalarIT2_EEPKiS8_PKS5_SA_S6_PS5_21rocsparse_index_base_b
; %bb.0:
	s_clause 0x2
	s_load_dwordx2 s[2:3], s[4:5], 0x40
	s_load_dwordx2 s[0:1], s[4:5], 0x8
	;; [unrolled: 1-line block ×3, first 2 shown]
	s_add_u32 s7, s4, 8
	s_addc_u32 s10, s5, 0
	s_add_u32 s11, s4, 48
	s_addc_u32 s12, s5, 0
	s_waitcnt lgkmcnt(0)
	s_bitcmp1_b32 s3, 0
	s_cselect_b32 s0, s7, s0
	s_cselect_b32 s1, s10, s1
	v_mov_b32_e32 v1, s0
	v_mov_b32_e32 v2, s1
	s_cselect_b32 s0, s11, s8
	s_cselect_b32 s1, s12, s9
	v_mov_b32_e32 v3, s0
	v_mov_b32_e32 v4, s1
	flat_load_dwordx2 v[1:2], v[1:2]
	flat_load_dwordx2 v[3:4], v[3:4]
	s_waitcnt vmcnt(1) lgkmcnt(1)
	v_cmp_eq_f32_e32 vcc_lo, 0, v1
	v_cmp_eq_f32_e64 s0, 0, v2
	s_and_b32 s3, vcc_lo, s0
	s_mov_b32 s0, -1
	s_and_saveexec_b32 s1, s3
	s_cbranch_execz .LBB172_2
; %bb.1:
	s_waitcnt vmcnt(0) lgkmcnt(0)
	v_cmp_neq_f32_e32 vcc_lo, 1.0, v3
	v_cmp_neq_f32_e64 s0, 0, v4
	s_or_b32 s0, vcc_lo, s0
	s_orn2_b32 s0, s0, exec_lo
.LBB172_2:
	s_or_b32 exec_lo, exec_lo, s1
	s_and_saveexec_b32 s1, s0
	s_cbranch_execz .LBB172_21
; %bb.3:
	s_load_dwordx2 s[0:1], s[4:5], 0x0
	v_lshrrev_b32_e32 v5, 2, v0
	v_lshl_or_b32 v5, s6, 5, v5
	s_waitcnt lgkmcnt(0)
	v_cmp_gt_i32_e32 vcc_lo, s0, v5
	s_and_b32 exec_lo, exec_lo, vcc_lo
	s_cbranch_execz .LBB172_21
; %bb.4:
	s_load_dwordx8 s[8:15], s[4:5], 0x10
	v_ashrrev_i32_e32 v6, 31, v5
	v_and_b32_e32 v0, 3, v0
	s_cmp_lg_u32 s1, 0
	v_lshlrev_b64 v[6:7], 2, v[5:6]
	s_waitcnt lgkmcnt(0)
	v_add_co_u32 v6, vcc_lo, s8, v6
	v_add_co_ci_u32_e64 v7, null, s9, v7, vcc_lo
	global_load_dwordx2 v[6:7], v[6:7], off
	s_waitcnt vmcnt(0)
	v_subrev_nc_u32_e32 v6, s2, v6
	v_subrev_nc_u32_e32 v15, s2, v7
	v_add_nc_u32_e32 v6, v6, v0
	v_cmp_lt_i32_e64 s0, v6, v15
	s_cbranch_scc0 .LBB172_10
; %bb.5:
	v_mov_b32_e32 v13, 0
	v_mov_b32_e32 v16, 0
	;; [unrolled: 1-line block ×4, first 2 shown]
	s_and_saveexec_b32 s3, s0
	s_cbranch_execz .LBB172_9
; %bb.6:
	v_mad_u64_u32 v[7:8], null, v6, 12, 10
	v_mov_b32_e32 v10, 0
	v_mov_b32_e32 v11, v6
	;; [unrolled: 1-line block ×6, first 2 shown]
	s_mov_b32 s6, 0
.LBB172_7:                              ; =>This Inner Loop Header: Depth=1
	v_ashrrev_i32_e32 v12, 31, v11
	v_mov_b32_e32 v35, v10
	v_lshlrev_b64 v[8:9], 2, v[11:12]
	v_add_nc_u32_e32 v11, 4, v11
	v_add_co_u32 v8, vcc_lo, s10, v8
	v_add_co_ci_u32_e64 v9, null, s11, v9, vcc_lo
	global_load_dword v12, v[8:9], off
	v_add_nc_u32_e32 v9, -10, v7
	v_mov_b32_e32 v8, v10
	v_lshlrev_b64 v[18:19], 3, v[9:10]
	v_add_nc_u32_e32 v9, -6, v7
	v_lshlrev_b64 v[49:50], 3, v[7:8]
	v_lshlrev_b64 v[8:9], 3, v[9:10]
	v_add_co_u32 v22, vcc_lo, s12, v18
	v_add_co_ci_u32_e64 v23, null, s13, v19, vcc_lo
	v_add_co_u32 v51, vcc_lo, s12, v49
	v_add_co_u32 v8, s1, s12, v8
	v_add_co_ci_u32_e64 v9, null, s13, v9, s1
	s_clause 0x2
	global_load_dwordx4 v[18:21], v[22:23], off offset:16
	global_load_dwordx4 v[22:25], v[22:23], off
	global_load_dwordx4 v[26:29], v[8:9], off
	v_add_co_ci_u32_e64 v52, null, s13, v50, vcc_lo
	v_cmp_ge_i32_e32 vcc_lo, v11, v15
	s_or_b32 s6, vcc_lo, s6
	s_waitcnt vmcnt(3)
	v_subrev_nc_u32_e32 v12, s2, v12
	v_mul_lo_u32 v34, v12, 6
	v_lshlrev_b64 v[30:31], 3, v[34:35]
	v_add_nc_u32_e32 v9, 2, v34
	v_lshlrev_b64 v[35:36], 3, v[9:10]
	v_add_co_u32 v30, s1, s14, v30
	v_add_co_ci_u32_e64 v31, null, s15, v31, s1
	v_add_nc_u32_e32 v9, -4, v7
	v_add_co_u32 v35, s1, s14, v35
	global_load_dwordx4 v[30:33], v[30:31], off
	v_add_co_ci_u32_e64 v36, null, s15, v36, s1
	v_lshlrev_b64 v[38:39], 3, v[9:10]
	v_add_nc_u32_e32 v9, -2, v7
	v_add_nc_u32_e32 v7, 48, v7
	v_lshlrev_b64 v[42:43], 3, v[9:10]
	v_add_nc_u32_e32 v9, 4, v34
	global_load_dwordx4 v[34:37], v[35:36], off
	v_add_co_u32 v38, s1, s12, v38
	v_add_co_ci_u32_e64 v39, null, s13, v39, s1
	v_lshlrev_b64 v[8:9], 3, v[9:10]
	v_add_co_u32 v42, s1, s12, v42
	global_load_dwordx4 v[38:41], v[38:39], off
	v_add_co_ci_u32_e64 v43, null, s13, v43, s1
	v_add_co_u32 v8, s1, s14, v8
	v_add_co_ci_u32_e64 v9, null, s15, v9, s1
	global_load_dwordx4 v[42:45], v[42:43], off
	global_load_dwordx4 v[46:49], v[8:9], off
	global_load_dwordx4 v[50:53], v[51:52], off
	s_waitcnt vmcnt(5)
	v_fmac_f32_e32 v16, v22, v30
	v_fmac_f32_e32 v13, v23, v30
	;; [unrolled: 1-line block ×4, first 2 shown]
	v_fma_f32 v8, -v23, v31, v16
	v_fmac_f32_e32 v13, v22, v31
	v_fma_f32 v9, -v25, v31, v17
	v_fmac_f32_e32 v14, v24, v31
	v_fmac_f32_e32 v8, v18, v32
	;; [unrolled: 1-line block ×5, first 2 shown]
	v_fma_f32 v8, -v19, v33, v8
	v_fmac_f32_e32 v13, v18, v33
	v_fma_f32 v9, -v21, v33, v9
	v_fmac_f32_e32 v14, v20, v33
	s_waitcnt vmcnt(4)
	v_fmac_f32_e32 v8, v26, v34
	v_fmac_f32_e32 v13, v27, v34
	v_fmac_f32_e32 v9, v28, v34
	v_fmac_f32_e32 v14, v29, v34
	v_fma_f32 v8, -v27, v35, v8
	v_fmac_f32_e32 v13, v26, v35
	v_fma_f32 v9, -v29, v35, v9
	v_fmac_f32_e32 v14, v28, v35
	s_waitcnt vmcnt(3)
	v_fmac_f32_e32 v8, v38, v36
	v_fmac_f32_e32 v13, v39, v36
	v_fmac_f32_e32 v9, v40, v36
	v_fmac_f32_e32 v14, v41, v36
	;; [unrolled: 9-line block ×4, first 2 shown]
	v_fma_f32 v16, -v51, v49, v8
	v_fmac_f32_e32 v13, v50, v49
	v_fma_f32 v17, -v53, v49, v9
	v_fmac_f32_e32 v14, v52, v49
	s_andn2_b32 exec_lo, exec_lo, s6
	s_cbranch_execnz .LBB172_7
; %bb.8:
	s_or_b32 exec_lo, exec_lo, s6
.LBB172_9:
	s_or_b32 exec_lo, exec_lo, s3
	s_cbranch_execz .LBB172_11
	s_branch .LBB172_16
.LBB172_10:
                                        ; implicit-def: $vgpr13
                                        ; implicit-def: $vgpr16
                                        ; implicit-def: $vgpr17
                                        ; implicit-def: $vgpr14
.LBB172_11:
	v_mov_b32_e32 v13, 0
	v_mov_b32_e32 v16, 0
	;; [unrolled: 1-line block ×4, first 2 shown]
	s_and_saveexec_b32 s1, s0
	s_cbranch_execz .LBB172_15
; %bb.12:
	v_mad_u64_u32 v[8:9], null, v6, 12, 11
	v_mov_b32_e32 v11, 0
	v_mov_b32_e32 v13, 0
	;; [unrolled: 1-line block ×5, first 2 shown]
	s_mov_b32 s0, 0
.LBB172_13:                             ; =>This Inner Loop Header: Depth=1
	v_ashrrev_i32_e32 v7, 31, v6
	v_add_nc_u32_e32 v18, -5, v8
	v_mov_b32_e32 v19, v11
	v_mov_b32_e32 v35, v11
	v_lshlrev_b64 v[9:10], 2, v[6:7]
	v_add_nc_u32_e32 v6, 4, v6
	v_lshlrev_b64 v[18:19], 3, v[18:19]
	v_add_co_u32 v9, vcc_lo, s10, v9
	v_add_co_ci_u32_e64 v10, null, s11, v10, vcc_lo
	global_load_dword v7, v[9:10], off
	v_add_nc_u32_e32 v10, -11, v8
	v_mov_b32_e32 v9, v11
	v_lshlrev_b64 v[20:21], 3, v[10:11]
	v_add_nc_u32_e32 v10, -4, v8
	v_lshlrev_b64 v[22:23], 3, v[8:9]
	v_lshlrev_b64 v[9:10], 3, v[10:11]
	v_add_co_u32 v24, vcc_lo, s12, v20
	v_add_co_ci_u32_e64 v25, null, s13, v21, vcc_lo
	v_add_co_u32 v26, vcc_lo, s12, v18
	v_add_co_ci_u32_e64 v27, null, s13, v19, vcc_lo
	;; [unrolled: 2-line block ×4, first 2 shown]
	s_clause 0x3
	global_load_dwordx4 v[18:21], v[24:25], off offset:16
	global_load_dwordx4 v[22:25], v[24:25], off
	global_load_dwordx2 v[40:41], v[26:27], off
	global_load_dwordx2 v[42:43], v[9:10], off
	s_waitcnt vmcnt(4)
	v_subrev_nc_u32_e32 v7, s2, v7
	v_mul_lo_u32 v34, v7, 6
	v_lshlrev_b64 v[26:27], 3, v[34:35]
	v_add_nc_u32_e32 v10, 2, v34
	v_lshlrev_b64 v[30:31], 3, v[10:11]
	v_add_co_u32 v26, vcc_lo, s14, v26
	v_add_co_ci_u32_e64 v27, null, s15, v27, vcc_lo
	v_add_nc_u32_e32 v10, -3, v8
	v_add_co_u32 v30, vcc_lo, s14, v30
	global_load_dwordx4 v[26:29], v[26:27], off
	v_add_co_ci_u32_e64 v31, null, s15, v31, vcc_lo
	v_lshlrev_b64 v[32:33], 3, v[10:11]
	v_add_nc_u32_e32 v10, -2, v8
	v_lshlrev_b64 v[35:36], 3, v[10:11]
	v_add_nc_u32_e32 v10, -7, v8
	v_add_co_u32 v44, vcc_lo, s12, v32
	v_add_co_ci_u32_e64 v45, null, s13, v33, vcc_lo
	v_lshlrev_b64 v[46:47], 3, v[10:11]
	v_add_nc_u32_e32 v10, 4, v34
	v_add_co_u32 v34, vcc_lo, s12, v35
	global_load_dwordx4 v[30:33], v[30:31], off
	global_load_dwordx2 v[44:45], v[44:45], off
	v_add_co_ci_u32_e64 v35, null, s13, v36, vcc_lo
	v_add_co_u32 v46, vcc_lo, s12, v46
	v_lshlrev_b64 v[36:37], 3, v[10:11]
	v_add_nc_u32_e32 v10, -1, v8
	v_add_co_ci_u32_e64 v47, null, s13, v47, vcc_lo
	v_add_co_u32 v36, vcc_lo, s14, v36
	s_clause 0x1
	global_load_dwordx2 v[46:47], v[46:47], off
	global_load_dwordx2 v[48:49], v[34:35], off
	v_lshlrev_b64 v[34:35], 3, v[10:11]
	v_add_nc_u32_e32 v10, -6, v8
	v_add_co_ci_u32_e64 v37, null, s15, v37, vcc_lo
	v_add_nc_u32_e32 v8, 48, v8
	v_add_co_u32 v50, vcc_lo, s12, v34
	v_add_co_ci_u32_e64 v51, null, s13, v35, vcc_lo
	v_lshlrev_b64 v[9:10], 3, v[10:11]
	global_load_dwordx4 v[34:37], v[36:37], off
	global_load_dwordx2 v[50:51], v[50:51], off
	v_add_co_u32 v9, vcc_lo, s12, v9
	v_add_co_ci_u32_e64 v10, null, s13, v10, vcc_lo
	s_clause 0x1
	global_load_dwordx2 v[9:10], v[9:10], off
	global_load_dwordx2 v[38:39], v[38:39], off
	v_cmp_ge_i32_e32 vcc_lo, v6, v15
	s_or_b32 s0, vcc_lo, s0
	s_waitcnt vmcnt(8)
	v_fmac_f32_e32 v16, v22, v26
	v_fmac_f32_e32 v13, v23, v26
	;; [unrolled: 1-line block ×4, first 2 shown]
	v_fma_f32 v7, -v23, v27, v16
	v_fmac_f32_e32 v13, v22, v27
	v_fma_f32 v12, -v41, v27, v17
	v_fmac_f32_e32 v14, v40, v27
	v_fmac_f32_e32 v7, v24, v28
	;; [unrolled: 1-line block ×5, first 2 shown]
	v_fma_f32 v7, -v25, v29, v7
	v_fmac_f32_e32 v13, v24, v29
	v_fma_f32 v12, -v43, v29, v12
	v_fmac_f32_e32 v14, v42, v29
	s_waitcnt vmcnt(7)
	v_fmac_f32_e32 v7, v18, v30
	v_fmac_f32_e32 v13, v19, v30
	s_waitcnt vmcnt(6)
	v_fmac_f32_e32 v12, v44, v30
	v_fmac_f32_e32 v14, v45, v30
	v_fma_f32 v7, -v19, v31, v7
	v_fmac_f32_e32 v13, v18, v31
	v_fma_f32 v12, -v45, v31, v12
	v_fmac_f32_e32 v14, v44, v31
	v_fmac_f32_e32 v7, v20, v32
	;; [unrolled: 1-line block ×3, first 2 shown]
	s_waitcnt vmcnt(4)
	v_fmac_f32_e32 v12, v48, v32
	v_fmac_f32_e32 v14, v49, v32
	v_fma_f32 v7, -v21, v33, v7
	v_fmac_f32_e32 v13, v20, v33
	v_fma_f32 v12, -v49, v33, v12
	v_fmac_f32_e32 v14, v48, v33
	s_waitcnt vmcnt(3)
	v_fmac_f32_e32 v7, v46, v34
	v_fmac_f32_e32 v13, v47, v34
	s_waitcnt vmcnt(2)
	v_fmac_f32_e32 v12, v50, v34
	v_fmac_f32_e32 v14, v51, v34
	v_fma_f32 v7, -v47, v35, v7
	v_fmac_f32_e32 v13, v46, v35
	v_fma_f32 v12, -v51, v35, v12
	v_fmac_f32_e32 v14, v50, v35
	s_waitcnt vmcnt(1)
	v_fmac_f32_e32 v7, v9, v36
	v_fmac_f32_e32 v13, v10, v36
	s_waitcnt vmcnt(0)
	v_fmac_f32_e32 v12, v38, v36
	v_fmac_f32_e32 v14, v39, v36
	v_fma_f32 v16, -v10, v37, v7
	v_fmac_f32_e32 v13, v9, v37
	v_fma_f32 v17, -v39, v37, v12
	v_fmac_f32_e32 v14, v38, v37
	s_andn2_b32 exec_lo, exec_lo, s0
	s_cbranch_execnz .LBB172_13
; %bb.14:
	s_or_b32 exec_lo, exec_lo, s0
.LBB172_15:
	s_or_b32 exec_lo, exec_lo, s1
.LBB172_16:
	v_mbcnt_lo_u32_b32 v6, -1, 0
	v_xor_b32_e32 v7, 2, v6
	v_xor_b32_e32 v11, 1, v6
	v_cmp_gt_i32_e32 vcc_lo, 32, v7
	v_cndmask_b32_e32 v7, v6, v7, vcc_lo
	v_cmp_gt_i32_e32 vcc_lo, 32, v11
	v_lshlrev_b32_e32 v7, 2, v7
	v_cndmask_b32_e32 v6, v6, v11, vcc_lo
	v_cmp_eq_u32_e32 vcc_lo, 3, v0
	ds_bpermute_b32 v8, v7, v16
	ds_bpermute_b32 v9, v7, v13
	;; [unrolled: 1-line block ×4, first 2 shown]
	v_lshlrev_b32_e32 v11, 2, v6
	s_waitcnt lgkmcnt(3)
	v_add_f32_e32 v8, v16, v8
	s_waitcnt lgkmcnt(2)
	v_add_f32_e32 v9, v13, v9
	s_waitcnt lgkmcnt(1)
	v_add_f32_e32 v6, v17, v10
	s_waitcnt lgkmcnt(0)
	v_add_f32_e32 v7, v14, v7
	ds_bpermute_b32 v12, v11, v8
	ds_bpermute_b32 v13, v11, v9
	;; [unrolled: 1-line block ×4, first 2 shown]
	s_and_b32 exec_lo, exec_lo, vcc_lo
	s_cbranch_execz .LBB172_21
; %bb.17:
	s_load_dwordx2 s[2:3], s[4:5], 0x38
	v_cmp_eq_f32_e32 vcc_lo, 0, v3
	v_cmp_eq_f32_e64 s0, 0, v4
	s_waitcnt lgkmcnt(0)
	v_add_f32_e32 v0, v8, v12
	v_add_f32_e32 v8, v9, v13
	;; [unrolled: 1-line block ×4, first 2 shown]
	s_and_b32 s0, vcc_lo, s0
	s_and_saveexec_b32 s1, s0
	s_xor_b32 s0, exec_lo, s1
	s_cbranch_execz .LBB172_19
; %bb.18:
	v_lshlrev_b32_e32 v3, 1, v5
	v_mul_f32_e64 v9, v8, -v2
	v_mul_f32_e32 v10, v1, v8
	v_mul_f32_e64 v11, v7, -v2
	v_mul_f32_e32 v12, v1, v7
	v_ashrrev_i32_e32 v4, 31, v3
	v_fmac_f32_e32 v9, v1, v0
	v_fmac_f32_e32 v10, v2, v0
	;; [unrolled: 1-line block ×4, first 2 shown]
	v_lshlrev_b64 v[3:4], 3, v[3:4]
                                        ; implicit-def: $vgpr5
                                        ; implicit-def: $vgpr8
                                        ; implicit-def: $vgpr7
                                        ; implicit-def: $vgpr6
	v_add_co_u32 v0, vcc_lo, s2, v3
	v_add_co_ci_u32_e64 v1, null, s3, v4, vcc_lo
                                        ; implicit-def: $vgpr3_vgpr4
	global_store_dwordx4 v[0:1], v[9:12], off
                                        ; implicit-def: $vgpr1_vgpr2
                                        ; implicit-def: $vgpr0
.LBB172_19:
	s_andn2_saveexec_b32 s0, s0
	s_cbranch_execz .LBB172_21
; %bb.20:
	v_lshlrev_b32_e32 v9, 1, v5
	v_mul_f32_e64 v5, v8, -v2
	v_mul_f32_e32 v14, v1, v8
	v_mul_f32_e64 v8, v7, -v2
	v_mul_f32_e32 v16, v1, v7
	v_ashrrev_i32_e32 v10, 31, v9
	v_fmac_f32_e32 v5, v1, v0
	v_fmac_f32_e32 v14, v2, v0
	v_fmac_f32_e32 v8, v1, v6
	v_fmac_f32_e32 v16, v2, v6
	v_lshlrev_b64 v[9:10], 3, v[9:10]
	v_add_co_u32 v17, vcc_lo, s2, v9
	v_add_co_ci_u32_e64 v18, null, s3, v10, vcc_lo
	global_load_dwordx4 v[9:12], v[17:18], off
	s_waitcnt vmcnt(0)
	v_fmac_f32_e32 v5, v3, v9
	v_fmac_f32_e32 v14, v4, v9
	;; [unrolled: 1-line block ×4, first 2 shown]
	v_fma_f32 v13, -v4, v10, v5
	v_fmac_f32_e32 v14, v3, v10
	v_fma_f32 v15, -v4, v12, v8
	v_fmac_f32_e32 v16, v3, v12
	global_store_dwordx4 v[17:18], v[13:16], off
.LBB172_21:
	s_endpgm
	.section	.rodata,"a",@progbits
	.p2align	6, 0x0
	.amdhsa_kernel _ZN9rocsparseL19gebsrmvn_2xn_kernelILj128ELj6ELj4E21rocsparse_complex_numIfEEEvi20rocsparse_direction_NS_24const_host_device_scalarIT2_EEPKiS8_PKS5_SA_S6_PS5_21rocsparse_index_base_b
		.amdhsa_group_segment_fixed_size 0
		.amdhsa_private_segment_fixed_size 0
		.amdhsa_kernarg_size 72
		.amdhsa_user_sgpr_count 6
		.amdhsa_user_sgpr_private_segment_buffer 1
		.amdhsa_user_sgpr_dispatch_ptr 0
		.amdhsa_user_sgpr_queue_ptr 0
		.amdhsa_user_sgpr_kernarg_segment_ptr 1
		.amdhsa_user_sgpr_dispatch_id 0
		.amdhsa_user_sgpr_flat_scratch_init 0
		.amdhsa_user_sgpr_private_segment_size 0
		.amdhsa_wavefront_size32 1
		.amdhsa_uses_dynamic_stack 0
		.amdhsa_system_sgpr_private_segment_wavefront_offset 0
		.amdhsa_system_sgpr_workgroup_id_x 1
		.amdhsa_system_sgpr_workgroup_id_y 0
		.amdhsa_system_sgpr_workgroup_id_z 0
		.amdhsa_system_sgpr_workgroup_info 0
		.amdhsa_system_vgpr_workitem_id 0
		.amdhsa_next_free_vgpr 54
		.amdhsa_next_free_sgpr 16
		.amdhsa_reserve_vcc 1
		.amdhsa_reserve_flat_scratch 0
		.amdhsa_float_round_mode_32 0
		.amdhsa_float_round_mode_16_64 0
		.amdhsa_float_denorm_mode_32 3
		.amdhsa_float_denorm_mode_16_64 3
		.amdhsa_dx10_clamp 1
		.amdhsa_ieee_mode 1
		.amdhsa_fp16_overflow 0
		.amdhsa_workgroup_processor_mode 1
		.amdhsa_memory_ordered 1
		.amdhsa_forward_progress 1
		.amdhsa_shared_vgpr_count 0
		.amdhsa_exception_fp_ieee_invalid_op 0
		.amdhsa_exception_fp_denorm_src 0
		.amdhsa_exception_fp_ieee_div_zero 0
		.amdhsa_exception_fp_ieee_overflow 0
		.amdhsa_exception_fp_ieee_underflow 0
		.amdhsa_exception_fp_ieee_inexact 0
		.amdhsa_exception_int_div_zero 0
	.end_amdhsa_kernel
	.section	.text._ZN9rocsparseL19gebsrmvn_2xn_kernelILj128ELj6ELj4E21rocsparse_complex_numIfEEEvi20rocsparse_direction_NS_24const_host_device_scalarIT2_EEPKiS8_PKS5_SA_S6_PS5_21rocsparse_index_base_b,"axG",@progbits,_ZN9rocsparseL19gebsrmvn_2xn_kernelILj128ELj6ELj4E21rocsparse_complex_numIfEEEvi20rocsparse_direction_NS_24const_host_device_scalarIT2_EEPKiS8_PKS5_SA_S6_PS5_21rocsparse_index_base_b,comdat
.Lfunc_end172:
	.size	_ZN9rocsparseL19gebsrmvn_2xn_kernelILj128ELj6ELj4E21rocsparse_complex_numIfEEEvi20rocsparse_direction_NS_24const_host_device_scalarIT2_EEPKiS8_PKS5_SA_S6_PS5_21rocsparse_index_base_b, .Lfunc_end172-_ZN9rocsparseL19gebsrmvn_2xn_kernelILj128ELj6ELj4E21rocsparse_complex_numIfEEEvi20rocsparse_direction_NS_24const_host_device_scalarIT2_EEPKiS8_PKS5_SA_S6_PS5_21rocsparse_index_base_b
                                        ; -- End function
	.set _ZN9rocsparseL19gebsrmvn_2xn_kernelILj128ELj6ELj4E21rocsparse_complex_numIfEEEvi20rocsparse_direction_NS_24const_host_device_scalarIT2_EEPKiS8_PKS5_SA_S6_PS5_21rocsparse_index_base_b.num_vgpr, 54
	.set _ZN9rocsparseL19gebsrmvn_2xn_kernelILj128ELj6ELj4E21rocsparse_complex_numIfEEEvi20rocsparse_direction_NS_24const_host_device_scalarIT2_EEPKiS8_PKS5_SA_S6_PS5_21rocsparse_index_base_b.num_agpr, 0
	.set _ZN9rocsparseL19gebsrmvn_2xn_kernelILj128ELj6ELj4E21rocsparse_complex_numIfEEEvi20rocsparse_direction_NS_24const_host_device_scalarIT2_EEPKiS8_PKS5_SA_S6_PS5_21rocsparse_index_base_b.numbered_sgpr, 16
	.set _ZN9rocsparseL19gebsrmvn_2xn_kernelILj128ELj6ELj4E21rocsparse_complex_numIfEEEvi20rocsparse_direction_NS_24const_host_device_scalarIT2_EEPKiS8_PKS5_SA_S6_PS5_21rocsparse_index_base_b.num_named_barrier, 0
	.set _ZN9rocsparseL19gebsrmvn_2xn_kernelILj128ELj6ELj4E21rocsparse_complex_numIfEEEvi20rocsparse_direction_NS_24const_host_device_scalarIT2_EEPKiS8_PKS5_SA_S6_PS5_21rocsparse_index_base_b.private_seg_size, 0
	.set _ZN9rocsparseL19gebsrmvn_2xn_kernelILj128ELj6ELj4E21rocsparse_complex_numIfEEEvi20rocsparse_direction_NS_24const_host_device_scalarIT2_EEPKiS8_PKS5_SA_S6_PS5_21rocsparse_index_base_b.uses_vcc, 1
	.set _ZN9rocsparseL19gebsrmvn_2xn_kernelILj128ELj6ELj4E21rocsparse_complex_numIfEEEvi20rocsparse_direction_NS_24const_host_device_scalarIT2_EEPKiS8_PKS5_SA_S6_PS5_21rocsparse_index_base_b.uses_flat_scratch, 0
	.set _ZN9rocsparseL19gebsrmvn_2xn_kernelILj128ELj6ELj4E21rocsparse_complex_numIfEEEvi20rocsparse_direction_NS_24const_host_device_scalarIT2_EEPKiS8_PKS5_SA_S6_PS5_21rocsparse_index_base_b.has_dyn_sized_stack, 0
	.set _ZN9rocsparseL19gebsrmvn_2xn_kernelILj128ELj6ELj4E21rocsparse_complex_numIfEEEvi20rocsparse_direction_NS_24const_host_device_scalarIT2_EEPKiS8_PKS5_SA_S6_PS5_21rocsparse_index_base_b.has_recursion, 0
	.set _ZN9rocsparseL19gebsrmvn_2xn_kernelILj128ELj6ELj4E21rocsparse_complex_numIfEEEvi20rocsparse_direction_NS_24const_host_device_scalarIT2_EEPKiS8_PKS5_SA_S6_PS5_21rocsparse_index_base_b.has_indirect_call, 0
	.section	.AMDGPU.csdata,"",@progbits
; Kernel info:
; codeLenInByte = 2296
; TotalNumSgprs: 18
; NumVgprs: 54
; ScratchSize: 0
; MemoryBound: 0
; FloatMode: 240
; IeeeMode: 1
; LDSByteSize: 0 bytes/workgroup (compile time only)
; SGPRBlocks: 0
; VGPRBlocks: 6
; NumSGPRsForWavesPerEU: 18
; NumVGPRsForWavesPerEU: 54
; Occupancy: 16
; WaveLimiterHint : 1
; COMPUTE_PGM_RSRC2:SCRATCH_EN: 0
; COMPUTE_PGM_RSRC2:USER_SGPR: 6
; COMPUTE_PGM_RSRC2:TRAP_HANDLER: 0
; COMPUTE_PGM_RSRC2:TGID_X_EN: 1
; COMPUTE_PGM_RSRC2:TGID_Y_EN: 0
; COMPUTE_PGM_RSRC2:TGID_Z_EN: 0
; COMPUTE_PGM_RSRC2:TIDIG_COMP_CNT: 0
	.section	.text._ZN9rocsparseL19gebsrmvn_2xn_kernelILj128ELj6ELj8E21rocsparse_complex_numIfEEEvi20rocsparse_direction_NS_24const_host_device_scalarIT2_EEPKiS8_PKS5_SA_S6_PS5_21rocsparse_index_base_b,"axG",@progbits,_ZN9rocsparseL19gebsrmvn_2xn_kernelILj128ELj6ELj8E21rocsparse_complex_numIfEEEvi20rocsparse_direction_NS_24const_host_device_scalarIT2_EEPKiS8_PKS5_SA_S6_PS5_21rocsparse_index_base_b,comdat
	.globl	_ZN9rocsparseL19gebsrmvn_2xn_kernelILj128ELj6ELj8E21rocsparse_complex_numIfEEEvi20rocsparse_direction_NS_24const_host_device_scalarIT2_EEPKiS8_PKS5_SA_S6_PS5_21rocsparse_index_base_b ; -- Begin function _ZN9rocsparseL19gebsrmvn_2xn_kernelILj128ELj6ELj8E21rocsparse_complex_numIfEEEvi20rocsparse_direction_NS_24const_host_device_scalarIT2_EEPKiS8_PKS5_SA_S6_PS5_21rocsparse_index_base_b
	.p2align	8
	.type	_ZN9rocsparseL19gebsrmvn_2xn_kernelILj128ELj6ELj8E21rocsparse_complex_numIfEEEvi20rocsparse_direction_NS_24const_host_device_scalarIT2_EEPKiS8_PKS5_SA_S6_PS5_21rocsparse_index_base_b,@function
_ZN9rocsparseL19gebsrmvn_2xn_kernelILj128ELj6ELj8E21rocsparse_complex_numIfEEEvi20rocsparse_direction_NS_24const_host_device_scalarIT2_EEPKiS8_PKS5_SA_S6_PS5_21rocsparse_index_base_b: ; @_ZN9rocsparseL19gebsrmvn_2xn_kernelILj128ELj6ELj8E21rocsparse_complex_numIfEEEvi20rocsparse_direction_NS_24const_host_device_scalarIT2_EEPKiS8_PKS5_SA_S6_PS5_21rocsparse_index_base_b
; %bb.0:
	s_clause 0x2
	s_load_dwordx2 s[2:3], s[4:5], 0x40
	s_load_dwordx2 s[0:1], s[4:5], 0x8
	;; [unrolled: 1-line block ×3, first 2 shown]
	s_add_u32 s7, s4, 8
	s_addc_u32 s10, s5, 0
	s_add_u32 s11, s4, 48
	s_addc_u32 s12, s5, 0
	s_waitcnt lgkmcnt(0)
	s_bitcmp1_b32 s3, 0
	s_cselect_b32 s0, s7, s0
	s_cselect_b32 s1, s10, s1
	v_mov_b32_e32 v1, s0
	v_mov_b32_e32 v2, s1
	s_cselect_b32 s0, s11, s8
	s_cselect_b32 s1, s12, s9
	v_mov_b32_e32 v3, s0
	v_mov_b32_e32 v4, s1
	flat_load_dwordx2 v[1:2], v[1:2]
	flat_load_dwordx2 v[3:4], v[3:4]
	s_waitcnt vmcnt(1) lgkmcnt(1)
	v_cmp_eq_f32_e32 vcc_lo, 0, v1
	v_cmp_eq_f32_e64 s0, 0, v2
	s_and_b32 s3, vcc_lo, s0
	s_mov_b32 s0, -1
	s_and_saveexec_b32 s1, s3
	s_cbranch_execz .LBB173_2
; %bb.1:
	s_waitcnt vmcnt(0) lgkmcnt(0)
	v_cmp_neq_f32_e32 vcc_lo, 1.0, v3
	v_cmp_neq_f32_e64 s0, 0, v4
	s_or_b32 s0, vcc_lo, s0
	s_orn2_b32 s0, s0, exec_lo
.LBB173_2:
	s_or_b32 exec_lo, exec_lo, s1
	s_and_saveexec_b32 s1, s0
	s_cbranch_execz .LBB173_21
; %bb.3:
	s_load_dwordx2 s[0:1], s[4:5], 0x0
	v_lshrrev_b32_e32 v5, 3, v0
	v_lshl_or_b32 v5, s6, 4, v5
	s_waitcnt lgkmcnt(0)
	v_cmp_gt_i32_e32 vcc_lo, s0, v5
	s_and_b32 exec_lo, exec_lo, vcc_lo
	s_cbranch_execz .LBB173_21
; %bb.4:
	s_load_dwordx8 s[8:15], s[4:5], 0x10
	v_ashrrev_i32_e32 v6, 31, v5
	v_and_b32_e32 v0, 7, v0
	s_cmp_lg_u32 s1, 0
	v_lshlrev_b64 v[6:7], 2, v[5:6]
	s_waitcnt lgkmcnt(0)
	v_add_co_u32 v6, vcc_lo, s8, v6
	v_add_co_ci_u32_e64 v7, null, s9, v7, vcc_lo
	global_load_dwordx2 v[6:7], v[6:7], off
	s_waitcnt vmcnt(0)
	v_subrev_nc_u32_e32 v6, s2, v6
	v_subrev_nc_u32_e32 v15, s2, v7
	v_add_nc_u32_e32 v6, v6, v0
	v_cmp_lt_i32_e64 s0, v6, v15
	s_cbranch_scc0 .LBB173_10
; %bb.5:
	v_mov_b32_e32 v13, 0
	v_mov_b32_e32 v16, 0
	;; [unrolled: 1-line block ×4, first 2 shown]
	s_and_saveexec_b32 s3, s0
	s_cbranch_execz .LBB173_9
; %bb.6:
	v_mad_u64_u32 v[7:8], null, v6, 12, 10
	v_mov_b32_e32 v10, 0
	v_mov_b32_e32 v11, v6
	;; [unrolled: 1-line block ×6, first 2 shown]
	s_mov_b32 s6, 0
.LBB173_7:                              ; =>This Inner Loop Header: Depth=1
	v_ashrrev_i32_e32 v12, 31, v11
	v_mov_b32_e32 v35, v10
	v_lshlrev_b64 v[8:9], 2, v[11:12]
	v_add_nc_u32_e32 v11, 8, v11
	v_add_co_u32 v8, vcc_lo, s10, v8
	v_add_co_ci_u32_e64 v9, null, s11, v9, vcc_lo
	global_load_dword v12, v[8:9], off
	v_add_nc_u32_e32 v9, -10, v7
	v_mov_b32_e32 v8, v10
	v_lshlrev_b64 v[18:19], 3, v[9:10]
	v_add_nc_u32_e32 v9, -6, v7
	v_lshlrev_b64 v[49:50], 3, v[7:8]
	v_lshlrev_b64 v[8:9], 3, v[9:10]
	v_add_co_u32 v22, vcc_lo, s12, v18
	v_add_co_ci_u32_e64 v23, null, s13, v19, vcc_lo
	v_add_co_u32 v51, vcc_lo, s12, v49
	v_add_co_u32 v8, s1, s12, v8
	v_add_co_ci_u32_e64 v9, null, s13, v9, s1
	s_clause 0x2
	global_load_dwordx4 v[18:21], v[22:23], off offset:16
	global_load_dwordx4 v[22:25], v[22:23], off
	global_load_dwordx4 v[26:29], v[8:9], off
	v_add_co_ci_u32_e64 v52, null, s13, v50, vcc_lo
	v_cmp_ge_i32_e32 vcc_lo, v11, v15
	s_or_b32 s6, vcc_lo, s6
	s_waitcnt vmcnt(3)
	v_subrev_nc_u32_e32 v12, s2, v12
	v_mul_lo_u32 v34, v12, 6
	v_lshlrev_b64 v[30:31], 3, v[34:35]
	v_add_nc_u32_e32 v9, 2, v34
	v_lshlrev_b64 v[35:36], 3, v[9:10]
	v_add_co_u32 v30, s1, s14, v30
	v_add_co_ci_u32_e64 v31, null, s15, v31, s1
	v_add_nc_u32_e32 v9, -4, v7
	v_add_co_u32 v35, s1, s14, v35
	global_load_dwordx4 v[30:33], v[30:31], off
	v_add_co_ci_u32_e64 v36, null, s15, v36, s1
	v_lshlrev_b64 v[38:39], 3, v[9:10]
	v_add_nc_u32_e32 v9, -2, v7
	v_add_nc_u32_e32 v7, 0x60, v7
	v_lshlrev_b64 v[42:43], 3, v[9:10]
	v_add_nc_u32_e32 v9, 4, v34
	global_load_dwordx4 v[34:37], v[35:36], off
	v_add_co_u32 v38, s1, s12, v38
	v_add_co_ci_u32_e64 v39, null, s13, v39, s1
	v_lshlrev_b64 v[8:9], 3, v[9:10]
	v_add_co_u32 v42, s1, s12, v42
	global_load_dwordx4 v[38:41], v[38:39], off
	v_add_co_ci_u32_e64 v43, null, s13, v43, s1
	v_add_co_u32 v8, s1, s14, v8
	v_add_co_ci_u32_e64 v9, null, s15, v9, s1
	global_load_dwordx4 v[42:45], v[42:43], off
	global_load_dwordx4 v[46:49], v[8:9], off
	global_load_dwordx4 v[50:53], v[51:52], off
	s_waitcnt vmcnt(5)
	v_fmac_f32_e32 v16, v22, v30
	v_fmac_f32_e32 v13, v23, v30
	;; [unrolled: 1-line block ×4, first 2 shown]
	v_fma_f32 v8, -v23, v31, v16
	v_fmac_f32_e32 v13, v22, v31
	v_fma_f32 v9, -v25, v31, v17
	v_fmac_f32_e32 v14, v24, v31
	v_fmac_f32_e32 v8, v18, v32
	;; [unrolled: 1-line block ×5, first 2 shown]
	v_fma_f32 v8, -v19, v33, v8
	v_fmac_f32_e32 v13, v18, v33
	v_fma_f32 v9, -v21, v33, v9
	v_fmac_f32_e32 v14, v20, v33
	s_waitcnt vmcnt(4)
	v_fmac_f32_e32 v8, v26, v34
	v_fmac_f32_e32 v13, v27, v34
	v_fmac_f32_e32 v9, v28, v34
	v_fmac_f32_e32 v14, v29, v34
	v_fma_f32 v8, -v27, v35, v8
	v_fmac_f32_e32 v13, v26, v35
	v_fma_f32 v9, -v29, v35, v9
	v_fmac_f32_e32 v14, v28, v35
	s_waitcnt vmcnt(3)
	v_fmac_f32_e32 v8, v38, v36
	v_fmac_f32_e32 v13, v39, v36
	v_fmac_f32_e32 v9, v40, v36
	v_fmac_f32_e32 v14, v41, v36
	;; [unrolled: 9-line block ×4, first 2 shown]
	v_fma_f32 v16, -v51, v49, v8
	v_fmac_f32_e32 v13, v50, v49
	v_fma_f32 v17, -v53, v49, v9
	v_fmac_f32_e32 v14, v52, v49
	s_andn2_b32 exec_lo, exec_lo, s6
	s_cbranch_execnz .LBB173_7
; %bb.8:
	s_or_b32 exec_lo, exec_lo, s6
.LBB173_9:
	s_or_b32 exec_lo, exec_lo, s3
	s_cbranch_execz .LBB173_11
	s_branch .LBB173_16
.LBB173_10:
                                        ; implicit-def: $vgpr13
                                        ; implicit-def: $vgpr16
                                        ; implicit-def: $vgpr17
                                        ; implicit-def: $vgpr14
.LBB173_11:
	v_mov_b32_e32 v13, 0
	v_mov_b32_e32 v16, 0
	;; [unrolled: 1-line block ×4, first 2 shown]
	s_and_saveexec_b32 s1, s0
	s_cbranch_execz .LBB173_15
; %bb.12:
	v_mad_u64_u32 v[8:9], null, v6, 12, 11
	v_mov_b32_e32 v11, 0
	v_mov_b32_e32 v13, 0
	;; [unrolled: 1-line block ×5, first 2 shown]
	s_mov_b32 s0, 0
.LBB173_13:                             ; =>This Inner Loop Header: Depth=1
	v_ashrrev_i32_e32 v7, 31, v6
	v_add_nc_u32_e32 v18, -5, v8
	v_mov_b32_e32 v19, v11
	v_mov_b32_e32 v35, v11
	v_lshlrev_b64 v[9:10], 2, v[6:7]
	v_add_nc_u32_e32 v6, 8, v6
	v_lshlrev_b64 v[18:19], 3, v[18:19]
	v_add_co_u32 v9, vcc_lo, s10, v9
	v_add_co_ci_u32_e64 v10, null, s11, v10, vcc_lo
	global_load_dword v7, v[9:10], off
	v_add_nc_u32_e32 v10, -11, v8
	v_mov_b32_e32 v9, v11
	v_lshlrev_b64 v[20:21], 3, v[10:11]
	v_add_nc_u32_e32 v10, -4, v8
	v_lshlrev_b64 v[22:23], 3, v[8:9]
	v_lshlrev_b64 v[9:10], 3, v[10:11]
	v_add_co_u32 v24, vcc_lo, s12, v20
	v_add_co_ci_u32_e64 v25, null, s13, v21, vcc_lo
	v_add_co_u32 v26, vcc_lo, s12, v18
	v_add_co_ci_u32_e64 v27, null, s13, v19, vcc_lo
	v_add_co_u32 v38, vcc_lo, s12, v22
	v_add_co_ci_u32_e64 v39, null, s13, v23, vcc_lo
	v_add_co_u32 v9, vcc_lo, s12, v9
	v_add_co_ci_u32_e64 v10, null, s13, v10, vcc_lo
	s_clause 0x3
	global_load_dwordx4 v[18:21], v[24:25], off offset:16
	global_load_dwordx4 v[22:25], v[24:25], off
	global_load_dwordx2 v[40:41], v[26:27], off
	global_load_dwordx2 v[42:43], v[9:10], off
	s_waitcnt vmcnt(4)
	v_subrev_nc_u32_e32 v7, s2, v7
	v_mul_lo_u32 v34, v7, 6
	v_lshlrev_b64 v[26:27], 3, v[34:35]
	v_add_nc_u32_e32 v10, 2, v34
	v_lshlrev_b64 v[30:31], 3, v[10:11]
	v_add_co_u32 v26, vcc_lo, s14, v26
	v_add_co_ci_u32_e64 v27, null, s15, v27, vcc_lo
	v_add_nc_u32_e32 v10, -3, v8
	v_add_co_u32 v30, vcc_lo, s14, v30
	global_load_dwordx4 v[26:29], v[26:27], off
	v_add_co_ci_u32_e64 v31, null, s15, v31, vcc_lo
	v_lshlrev_b64 v[32:33], 3, v[10:11]
	v_add_nc_u32_e32 v10, -2, v8
	v_lshlrev_b64 v[35:36], 3, v[10:11]
	v_add_nc_u32_e32 v10, -7, v8
	v_add_co_u32 v44, vcc_lo, s12, v32
	v_add_co_ci_u32_e64 v45, null, s13, v33, vcc_lo
	v_lshlrev_b64 v[46:47], 3, v[10:11]
	v_add_nc_u32_e32 v10, 4, v34
	v_add_co_u32 v34, vcc_lo, s12, v35
	global_load_dwordx4 v[30:33], v[30:31], off
	global_load_dwordx2 v[44:45], v[44:45], off
	v_add_co_ci_u32_e64 v35, null, s13, v36, vcc_lo
	v_add_co_u32 v46, vcc_lo, s12, v46
	v_lshlrev_b64 v[36:37], 3, v[10:11]
	v_add_nc_u32_e32 v10, -1, v8
	v_add_co_ci_u32_e64 v47, null, s13, v47, vcc_lo
	v_add_co_u32 v36, vcc_lo, s14, v36
	s_clause 0x1
	global_load_dwordx2 v[46:47], v[46:47], off
	global_load_dwordx2 v[48:49], v[34:35], off
	v_lshlrev_b64 v[34:35], 3, v[10:11]
	v_add_nc_u32_e32 v10, -6, v8
	v_add_co_ci_u32_e64 v37, null, s15, v37, vcc_lo
	v_add_nc_u32_e32 v8, 0x60, v8
	v_add_co_u32 v50, vcc_lo, s12, v34
	v_add_co_ci_u32_e64 v51, null, s13, v35, vcc_lo
	v_lshlrev_b64 v[9:10], 3, v[10:11]
	global_load_dwordx4 v[34:37], v[36:37], off
	global_load_dwordx2 v[50:51], v[50:51], off
	v_add_co_u32 v9, vcc_lo, s12, v9
	v_add_co_ci_u32_e64 v10, null, s13, v10, vcc_lo
	s_clause 0x1
	global_load_dwordx2 v[9:10], v[9:10], off
	global_load_dwordx2 v[38:39], v[38:39], off
	v_cmp_ge_i32_e32 vcc_lo, v6, v15
	s_or_b32 s0, vcc_lo, s0
	s_waitcnt vmcnt(8)
	v_fmac_f32_e32 v16, v22, v26
	v_fmac_f32_e32 v13, v23, v26
	;; [unrolled: 1-line block ×4, first 2 shown]
	v_fma_f32 v7, -v23, v27, v16
	v_fmac_f32_e32 v13, v22, v27
	v_fma_f32 v12, -v41, v27, v17
	v_fmac_f32_e32 v14, v40, v27
	v_fmac_f32_e32 v7, v24, v28
	;; [unrolled: 1-line block ×5, first 2 shown]
	v_fma_f32 v7, -v25, v29, v7
	v_fmac_f32_e32 v13, v24, v29
	v_fma_f32 v12, -v43, v29, v12
	v_fmac_f32_e32 v14, v42, v29
	s_waitcnt vmcnt(7)
	v_fmac_f32_e32 v7, v18, v30
	v_fmac_f32_e32 v13, v19, v30
	s_waitcnt vmcnt(6)
	v_fmac_f32_e32 v12, v44, v30
	v_fmac_f32_e32 v14, v45, v30
	v_fma_f32 v7, -v19, v31, v7
	v_fmac_f32_e32 v13, v18, v31
	v_fma_f32 v12, -v45, v31, v12
	v_fmac_f32_e32 v14, v44, v31
	v_fmac_f32_e32 v7, v20, v32
	;; [unrolled: 1-line block ×3, first 2 shown]
	s_waitcnt vmcnt(4)
	v_fmac_f32_e32 v12, v48, v32
	v_fmac_f32_e32 v14, v49, v32
	v_fma_f32 v7, -v21, v33, v7
	v_fmac_f32_e32 v13, v20, v33
	v_fma_f32 v12, -v49, v33, v12
	v_fmac_f32_e32 v14, v48, v33
	s_waitcnt vmcnt(3)
	v_fmac_f32_e32 v7, v46, v34
	v_fmac_f32_e32 v13, v47, v34
	s_waitcnt vmcnt(2)
	v_fmac_f32_e32 v12, v50, v34
	v_fmac_f32_e32 v14, v51, v34
	v_fma_f32 v7, -v47, v35, v7
	v_fmac_f32_e32 v13, v46, v35
	v_fma_f32 v12, -v51, v35, v12
	v_fmac_f32_e32 v14, v50, v35
	s_waitcnt vmcnt(1)
	v_fmac_f32_e32 v7, v9, v36
	v_fmac_f32_e32 v13, v10, v36
	s_waitcnt vmcnt(0)
	v_fmac_f32_e32 v12, v38, v36
	v_fmac_f32_e32 v14, v39, v36
	v_fma_f32 v16, -v10, v37, v7
	v_fmac_f32_e32 v13, v9, v37
	v_fma_f32 v17, -v39, v37, v12
	v_fmac_f32_e32 v14, v38, v37
	s_andn2_b32 exec_lo, exec_lo, s0
	s_cbranch_execnz .LBB173_13
; %bb.14:
	s_or_b32 exec_lo, exec_lo, s0
.LBB173_15:
	s_or_b32 exec_lo, exec_lo, s1
.LBB173_16:
	v_mbcnt_lo_u32_b32 v6, -1, 0
	v_xor_b32_e32 v7, 4, v6
	v_xor_b32_e32 v11, 2, v6
	;; [unrolled: 1-line block ×3, first 2 shown]
	v_cmp_gt_i32_e32 vcc_lo, 32, v7
	v_cndmask_b32_e32 v7, v6, v7, vcc_lo
	v_cmp_gt_i32_e32 vcc_lo, 32, v11
	v_lshlrev_b32_e32 v7, 2, v7
	v_cndmask_b32_e32 v11, v6, v11, vcc_lo
	v_cmp_gt_i32_e32 vcc_lo, 32, v15
	ds_bpermute_b32 v8, v7, v16
	ds_bpermute_b32 v9, v7, v13
	ds_bpermute_b32 v10, v7, v17
	ds_bpermute_b32 v7, v7, v14
	v_lshlrev_b32_e32 v11, 2, v11
	v_cndmask_b32_e32 v6, v6, v15, vcc_lo
	v_cmp_eq_u32_e32 vcc_lo, 7, v0
	v_lshlrev_b32_e32 v15, 2, v6
	s_waitcnt lgkmcnt(3)
	v_add_f32_e32 v8, v16, v8
	s_waitcnt lgkmcnt(2)
	v_add_f32_e32 v9, v13, v9
	;; [unrolled: 2-line block ×4, first 2 shown]
	ds_bpermute_b32 v12, v11, v8
	ds_bpermute_b32 v13, v11, v9
	;; [unrolled: 1-line block ×4, first 2 shown]
	s_waitcnt lgkmcnt(3)
	v_add_f32_e32 v8, v8, v12
	s_waitcnt lgkmcnt(2)
	v_add_f32_e32 v9, v9, v13
	;; [unrolled: 2-line block ×4, first 2 shown]
	ds_bpermute_b32 v12, v15, v8
	ds_bpermute_b32 v13, v15, v9
	;; [unrolled: 1-line block ×4, first 2 shown]
	s_and_b32 exec_lo, exec_lo, vcc_lo
	s_cbranch_execz .LBB173_21
; %bb.17:
	s_load_dwordx2 s[2:3], s[4:5], 0x38
	v_cmp_eq_f32_e32 vcc_lo, 0, v3
	v_cmp_eq_f32_e64 s0, 0, v4
	s_waitcnt lgkmcnt(0)
	v_add_f32_e32 v0, v8, v12
	v_add_f32_e32 v8, v9, v13
	;; [unrolled: 1-line block ×4, first 2 shown]
	s_and_b32 s0, vcc_lo, s0
	s_and_saveexec_b32 s1, s0
	s_xor_b32 s0, exec_lo, s1
	s_cbranch_execz .LBB173_19
; %bb.18:
	v_lshlrev_b32_e32 v3, 1, v5
	v_mul_f32_e64 v9, v8, -v2
	v_mul_f32_e32 v10, v1, v8
	v_mul_f32_e64 v11, v7, -v2
	v_mul_f32_e32 v12, v1, v7
	v_ashrrev_i32_e32 v4, 31, v3
	v_fmac_f32_e32 v9, v1, v0
	v_fmac_f32_e32 v10, v2, v0
	;; [unrolled: 1-line block ×4, first 2 shown]
	v_lshlrev_b64 v[3:4], 3, v[3:4]
                                        ; implicit-def: $vgpr5
                                        ; implicit-def: $vgpr8
                                        ; implicit-def: $vgpr7
                                        ; implicit-def: $vgpr6
	v_add_co_u32 v0, vcc_lo, s2, v3
	v_add_co_ci_u32_e64 v1, null, s3, v4, vcc_lo
                                        ; implicit-def: $vgpr3_vgpr4
	global_store_dwordx4 v[0:1], v[9:12], off
                                        ; implicit-def: $vgpr1_vgpr2
                                        ; implicit-def: $vgpr0
.LBB173_19:
	s_andn2_saveexec_b32 s0, s0
	s_cbranch_execz .LBB173_21
; %bb.20:
	v_lshlrev_b32_e32 v9, 1, v5
	v_mul_f32_e64 v5, v8, -v2
	v_mul_f32_e32 v14, v1, v8
	v_mul_f32_e64 v8, v7, -v2
	v_mul_f32_e32 v16, v1, v7
	v_ashrrev_i32_e32 v10, 31, v9
	v_fmac_f32_e32 v5, v1, v0
	v_fmac_f32_e32 v14, v2, v0
	;; [unrolled: 1-line block ×4, first 2 shown]
	v_lshlrev_b64 v[9:10], 3, v[9:10]
	v_add_co_u32 v17, vcc_lo, s2, v9
	v_add_co_ci_u32_e64 v18, null, s3, v10, vcc_lo
	global_load_dwordx4 v[9:12], v[17:18], off
	s_waitcnt vmcnt(0)
	v_fmac_f32_e32 v5, v3, v9
	v_fmac_f32_e32 v14, v4, v9
	;; [unrolled: 1-line block ×4, first 2 shown]
	v_fma_f32 v13, -v4, v10, v5
	v_fmac_f32_e32 v14, v3, v10
	v_fma_f32 v15, -v4, v12, v8
	v_fmac_f32_e32 v16, v3, v12
	global_store_dwordx4 v[17:18], v[13:16], off
.LBB173_21:
	s_endpgm
	.section	.rodata,"a",@progbits
	.p2align	6, 0x0
	.amdhsa_kernel _ZN9rocsparseL19gebsrmvn_2xn_kernelILj128ELj6ELj8E21rocsparse_complex_numIfEEEvi20rocsparse_direction_NS_24const_host_device_scalarIT2_EEPKiS8_PKS5_SA_S6_PS5_21rocsparse_index_base_b
		.amdhsa_group_segment_fixed_size 0
		.amdhsa_private_segment_fixed_size 0
		.amdhsa_kernarg_size 72
		.amdhsa_user_sgpr_count 6
		.amdhsa_user_sgpr_private_segment_buffer 1
		.amdhsa_user_sgpr_dispatch_ptr 0
		.amdhsa_user_sgpr_queue_ptr 0
		.amdhsa_user_sgpr_kernarg_segment_ptr 1
		.amdhsa_user_sgpr_dispatch_id 0
		.amdhsa_user_sgpr_flat_scratch_init 0
		.amdhsa_user_sgpr_private_segment_size 0
		.amdhsa_wavefront_size32 1
		.amdhsa_uses_dynamic_stack 0
		.amdhsa_system_sgpr_private_segment_wavefront_offset 0
		.amdhsa_system_sgpr_workgroup_id_x 1
		.amdhsa_system_sgpr_workgroup_id_y 0
		.amdhsa_system_sgpr_workgroup_id_z 0
		.amdhsa_system_sgpr_workgroup_info 0
		.amdhsa_system_vgpr_workitem_id 0
		.amdhsa_next_free_vgpr 54
		.amdhsa_next_free_sgpr 16
		.amdhsa_reserve_vcc 1
		.amdhsa_reserve_flat_scratch 0
		.amdhsa_float_round_mode_32 0
		.amdhsa_float_round_mode_16_64 0
		.amdhsa_float_denorm_mode_32 3
		.amdhsa_float_denorm_mode_16_64 3
		.amdhsa_dx10_clamp 1
		.amdhsa_ieee_mode 1
		.amdhsa_fp16_overflow 0
		.amdhsa_workgroup_processor_mode 1
		.amdhsa_memory_ordered 1
		.amdhsa_forward_progress 1
		.amdhsa_shared_vgpr_count 0
		.amdhsa_exception_fp_ieee_invalid_op 0
		.amdhsa_exception_fp_denorm_src 0
		.amdhsa_exception_fp_ieee_div_zero 0
		.amdhsa_exception_fp_ieee_overflow 0
		.amdhsa_exception_fp_ieee_underflow 0
		.amdhsa_exception_fp_ieee_inexact 0
		.amdhsa_exception_int_div_zero 0
	.end_amdhsa_kernel
	.section	.text._ZN9rocsparseL19gebsrmvn_2xn_kernelILj128ELj6ELj8E21rocsparse_complex_numIfEEEvi20rocsparse_direction_NS_24const_host_device_scalarIT2_EEPKiS8_PKS5_SA_S6_PS5_21rocsparse_index_base_b,"axG",@progbits,_ZN9rocsparseL19gebsrmvn_2xn_kernelILj128ELj6ELj8E21rocsparse_complex_numIfEEEvi20rocsparse_direction_NS_24const_host_device_scalarIT2_EEPKiS8_PKS5_SA_S6_PS5_21rocsparse_index_base_b,comdat
.Lfunc_end173:
	.size	_ZN9rocsparseL19gebsrmvn_2xn_kernelILj128ELj6ELj8E21rocsparse_complex_numIfEEEvi20rocsparse_direction_NS_24const_host_device_scalarIT2_EEPKiS8_PKS5_SA_S6_PS5_21rocsparse_index_base_b, .Lfunc_end173-_ZN9rocsparseL19gebsrmvn_2xn_kernelILj128ELj6ELj8E21rocsparse_complex_numIfEEEvi20rocsparse_direction_NS_24const_host_device_scalarIT2_EEPKiS8_PKS5_SA_S6_PS5_21rocsparse_index_base_b
                                        ; -- End function
	.set _ZN9rocsparseL19gebsrmvn_2xn_kernelILj128ELj6ELj8E21rocsparse_complex_numIfEEEvi20rocsparse_direction_NS_24const_host_device_scalarIT2_EEPKiS8_PKS5_SA_S6_PS5_21rocsparse_index_base_b.num_vgpr, 54
	.set _ZN9rocsparseL19gebsrmvn_2xn_kernelILj128ELj6ELj8E21rocsparse_complex_numIfEEEvi20rocsparse_direction_NS_24const_host_device_scalarIT2_EEPKiS8_PKS5_SA_S6_PS5_21rocsparse_index_base_b.num_agpr, 0
	.set _ZN9rocsparseL19gebsrmvn_2xn_kernelILj128ELj6ELj8E21rocsparse_complex_numIfEEEvi20rocsparse_direction_NS_24const_host_device_scalarIT2_EEPKiS8_PKS5_SA_S6_PS5_21rocsparse_index_base_b.numbered_sgpr, 16
	.set _ZN9rocsparseL19gebsrmvn_2xn_kernelILj128ELj6ELj8E21rocsparse_complex_numIfEEEvi20rocsparse_direction_NS_24const_host_device_scalarIT2_EEPKiS8_PKS5_SA_S6_PS5_21rocsparse_index_base_b.num_named_barrier, 0
	.set _ZN9rocsparseL19gebsrmvn_2xn_kernelILj128ELj6ELj8E21rocsparse_complex_numIfEEEvi20rocsparse_direction_NS_24const_host_device_scalarIT2_EEPKiS8_PKS5_SA_S6_PS5_21rocsparse_index_base_b.private_seg_size, 0
	.set _ZN9rocsparseL19gebsrmvn_2xn_kernelILj128ELj6ELj8E21rocsparse_complex_numIfEEEvi20rocsparse_direction_NS_24const_host_device_scalarIT2_EEPKiS8_PKS5_SA_S6_PS5_21rocsparse_index_base_b.uses_vcc, 1
	.set _ZN9rocsparseL19gebsrmvn_2xn_kernelILj128ELj6ELj8E21rocsparse_complex_numIfEEEvi20rocsparse_direction_NS_24const_host_device_scalarIT2_EEPKiS8_PKS5_SA_S6_PS5_21rocsparse_index_base_b.uses_flat_scratch, 0
	.set _ZN9rocsparseL19gebsrmvn_2xn_kernelILj128ELj6ELj8E21rocsparse_complex_numIfEEEvi20rocsparse_direction_NS_24const_host_device_scalarIT2_EEPKiS8_PKS5_SA_S6_PS5_21rocsparse_index_base_b.has_dyn_sized_stack, 0
	.set _ZN9rocsparseL19gebsrmvn_2xn_kernelILj128ELj6ELj8E21rocsparse_complex_numIfEEEvi20rocsparse_direction_NS_24const_host_device_scalarIT2_EEPKiS8_PKS5_SA_S6_PS5_21rocsparse_index_base_b.has_recursion, 0
	.set _ZN9rocsparseL19gebsrmvn_2xn_kernelILj128ELj6ELj8E21rocsparse_complex_numIfEEEvi20rocsparse_direction_NS_24const_host_device_scalarIT2_EEPKiS8_PKS5_SA_S6_PS5_21rocsparse_index_base_b.has_indirect_call, 0
	.section	.AMDGPU.csdata,"",@progbits
; Kernel info:
; codeLenInByte = 2384
; TotalNumSgprs: 18
; NumVgprs: 54
; ScratchSize: 0
; MemoryBound: 0
; FloatMode: 240
; IeeeMode: 1
; LDSByteSize: 0 bytes/workgroup (compile time only)
; SGPRBlocks: 0
; VGPRBlocks: 6
; NumSGPRsForWavesPerEU: 18
; NumVGPRsForWavesPerEU: 54
; Occupancy: 16
; WaveLimiterHint : 1
; COMPUTE_PGM_RSRC2:SCRATCH_EN: 0
; COMPUTE_PGM_RSRC2:USER_SGPR: 6
; COMPUTE_PGM_RSRC2:TRAP_HANDLER: 0
; COMPUTE_PGM_RSRC2:TGID_X_EN: 1
; COMPUTE_PGM_RSRC2:TGID_Y_EN: 0
; COMPUTE_PGM_RSRC2:TGID_Z_EN: 0
; COMPUTE_PGM_RSRC2:TIDIG_COMP_CNT: 0
	.section	.text._ZN9rocsparseL19gebsrmvn_2xn_kernelILj128ELj6ELj16E21rocsparse_complex_numIfEEEvi20rocsparse_direction_NS_24const_host_device_scalarIT2_EEPKiS8_PKS5_SA_S6_PS5_21rocsparse_index_base_b,"axG",@progbits,_ZN9rocsparseL19gebsrmvn_2xn_kernelILj128ELj6ELj16E21rocsparse_complex_numIfEEEvi20rocsparse_direction_NS_24const_host_device_scalarIT2_EEPKiS8_PKS5_SA_S6_PS5_21rocsparse_index_base_b,comdat
	.globl	_ZN9rocsparseL19gebsrmvn_2xn_kernelILj128ELj6ELj16E21rocsparse_complex_numIfEEEvi20rocsparse_direction_NS_24const_host_device_scalarIT2_EEPKiS8_PKS5_SA_S6_PS5_21rocsparse_index_base_b ; -- Begin function _ZN9rocsparseL19gebsrmvn_2xn_kernelILj128ELj6ELj16E21rocsparse_complex_numIfEEEvi20rocsparse_direction_NS_24const_host_device_scalarIT2_EEPKiS8_PKS5_SA_S6_PS5_21rocsparse_index_base_b
	.p2align	8
	.type	_ZN9rocsparseL19gebsrmvn_2xn_kernelILj128ELj6ELj16E21rocsparse_complex_numIfEEEvi20rocsparse_direction_NS_24const_host_device_scalarIT2_EEPKiS8_PKS5_SA_S6_PS5_21rocsparse_index_base_b,@function
_ZN9rocsparseL19gebsrmvn_2xn_kernelILj128ELj6ELj16E21rocsparse_complex_numIfEEEvi20rocsparse_direction_NS_24const_host_device_scalarIT2_EEPKiS8_PKS5_SA_S6_PS5_21rocsparse_index_base_b: ; @_ZN9rocsparseL19gebsrmvn_2xn_kernelILj128ELj6ELj16E21rocsparse_complex_numIfEEEvi20rocsparse_direction_NS_24const_host_device_scalarIT2_EEPKiS8_PKS5_SA_S6_PS5_21rocsparse_index_base_b
; %bb.0:
	s_clause 0x2
	s_load_dwordx2 s[2:3], s[4:5], 0x40
	s_load_dwordx2 s[0:1], s[4:5], 0x8
	;; [unrolled: 1-line block ×3, first 2 shown]
	s_add_u32 s7, s4, 8
	s_addc_u32 s10, s5, 0
	s_add_u32 s11, s4, 48
	s_addc_u32 s12, s5, 0
	s_waitcnt lgkmcnt(0)
	s_bitcmp1_b32 s3, 0
	s_cselect_b32 s0, s7, s0
	s_cselect_b32 s1, s10, s1
	v_mov_b32_e32 v1, s0
	v_mov_b32_e32 v2, s1
	s_cselect_b32 s0, s11, s8
	s_cselect_b32 s1, s12, s9
	v_mov_b32_e32 v3, s0
	v_mov_b32_e32 v4, s1
	flat_load_dwordx2 v[1:2], v[1:2]
	flat_load_dwordx2 v[3:4], v[3:4]
	s_waitcnt vmcnt(1) lgkmcnt(1)
	v_cmp_eq_f32_e32 vcc_lo, 0, v1
	v_cmp_eq_f32_e64 s0, 0, v2
	s_and_b32 s3, vcc_lo, s0
	s_mov_b32 s0, -1
	s_and_saveexec_b32 s1, s3
	s_cbranch_execz .LBB174_2
; %bb.1:
	s_waitcnt vmcnt(0) lgkmcnt(0)
	v_cmp_neq_f32_e32 vcc_lo, 1.0, v3
	v_cmp_neq_f32_e64 s0, 0, v4
	s_or_b32 s0, vcc_lo, s0
	s_orn2_b32 s0, s0, exec_lo
.LBB174_2:
	s_or_b32 exec_lo, exec_lo, s1
	s_and_saveexec_b32 s1, s0
	s_cbranch_execz .LBB174_21
; %bb.3:
	s_load_dwordx2 s[0:1], s[4:5], 0x0
	v_lshrrev_b32_e32 v5, 4, v0
	v_lshl_or_b32 v5, s6, 3, v5
	s_waitcnt lgkmcnt(0)
	v_cmp_gt_i32_e32 vcc_lo, s0, v5
	s_and_b32 exec_lo, exec_lo, vcc_lo
	s_cbranch_execz .LBB174_21
; %bb.4:
	s_load_dwordx8 s[8:15], s[4:5], 0x10
	v_ashrrev_i32_e32 v6, 31, v5
	v_and_b32_e32 v0, 15, v0
	s_cmp_lg_u32 s1, 0
	v_lshlrev_b64 v[6:7], 2, v[5:6]
	s_waitcnt lgkmcnt(0)
	v_add_co_u32 v6, vcc_lo, s8, v6
	v_add_co_ci_u32_e64 v7, null, s9, v7, vcc_lo
	global_load_dwordx2 v[6:7], v[6:7], off
	s_waitcnt vmcnt(0)
	v_subrev_nc_u32_e32 v6, s2, v6
	v_subrev_nc_u32_e32 v15, s2, v7
	v_add_nc_u32_e32 v6, v6, v0
	v_cmp_lt_i32_e64 s0, v6, v15
	s_cbranch_scc0 .LBB174_10
; %bb.5:
	v_mov_b32_e32 v13, 0
	v_mov_b32_e32 v16, 0
	;; [unrolled: 1-line block ×4, first 2 shown]
	s_and_saveexec_b32 s3, s0
	s_cbranch_execz .LBB174_9
; %bb.6:
	v_mad_u64_u32 v[7:8], null, v6, 12, 10
	v_mov_b32_e32 v10, 0
	v_mov_b32_e32 v11, v6
	v_mov_b32_e32 v13, 0
	v_mov_b32_e32 v16, 0
	v_mov_b32_e32 v17, 0
	v_mov_b32_e32 v14, 0
	s_mov_b32 s6, 0
.LBB174_7:                              ; =>This Inner Loop Header: Depth=1
	v_ashrrev_i32_e32 v12, 31, v11
	v_mov_b32_e32 v35, v10
	v_lshlrev_b64 v[8:9], 2, v[11:12]
	v_add_nc_u32_e32 v11, 16, v11
	v_add_co_u32 v8, vcc_lo, s10, v8
	v_add_co_ci_u32_e64 v9, null, s11, v9, vcc_lo
	global_load_dword v12, v[8:9], off
	v_add_nc_u32_e32 v9, -10, v7
	v_mov_b32_e32 v8, v10
	v_lshlrev_b64 v[18:19], 3, v[9:10]
	v_add_nc_u32_e32 v9, -6, v7
	v_lshlrev_b64 v[49:50], 3, v[7:8]
	v_lshlrev_b64 v[8:9], 3, v[9:10]
	v_add_co_u32 v22, vcc_lo, s12, v18
	v_add_co_ci_u32_e64 v23, null, s13, v19, vcc_lo
	v_add_co_u32 v51, vcc_lo, s12, v49
	v_add_co_u32 v8, s1, s12, v8
	v_add_co_ci_u32_e64 v9, null, s13, v9, s1
	s_clause 0x2
	global_load_dwordx4 v[18:21], v[22:23], off offset:16
	global_load_dwordx4 v[22:25], v[22:23], off
	global_load_dwordx4 v[26:29], v[8:9], off
	v_add_co_ci_u32_e64 v52, null, s13, v50, vcc_lo
	v_cmp_ge_i32_e32 vcc_lo, v11, v15
	s_or_b32 s6, vcc_lo, s6
	s_waitcnt vmcnt(3)
	v_subrev_nc_u32_e32 v12, s2, v12
	v_mul_lo_u32 v34, v12, 6
	v_lshlrev_b64 v[30:31], 3, v[34:35]
	v_add_nc_u32_e32 v9, 2, v34
	v_lshlrev_b64 v[35:36], 3, v[9:10]
	v_add_co_u32 v30, s1, s14, v30
	v_add_co_ci_u32_e64 v31, null, s15, v31, s1
	v_add_nc_u32_e32 v9, -4, v7
	v_add_co_u32 v35, s1, s14, v35
	global_load_dwordx4 v[30:33], v[30:31], off
	v_add_co_ci_u32_e64 v36, null, s15, v36, s1
	v_lshlrev_b64 v[38:39], 3, v[9:10]
	v_add_nc_u32_e32 v9, -2, v7
	v_add_nc_u32_e32 v7, 0xc0, v7
	v_lshlrev_b64 v[42:43], 3, v[9:10]
	v_add_nc_u32_e32 v9, 4, v34
	global_load_dwordx4 v[34:37], v[35:36], off
	v_add_co_u32 v38, s1, s12, v38
	v_add_co_ci_u32_e64 v39, null, s13, v39, s1
	v_lshlrev_b64 v[8:9], 3, v[9:10]
	v_add_co_u32 v42, s1, s12, v42
	global_load_dwordx4 v[38:41], v[38:39], off
	v_add_co_ci_u32_e64 v43, null, s13, v43, s1
	v_add_co_u32 v8, s1, s14, v8
	v_add_co_ci_u32_e64 v9, null, s15, v9, s1
	global_load_dwordx4 v[42:45], v[42:43], off
	global_load_dwordx4 v[46:49], v[8:9], off
	;; [unrolled: 1-line block ×3, first 2 shown]
	s_waitcnt vmcnt(5)
	v_fmac_f32_e32 v16, v22, v30
	v_fmac_f32_e32 v13, v23, v30
	v_fmac_f32_e32 v17, v24, v30
	v_fmac_f32_e32 v14, v25, v30
	v_fma_f32 v8, -v23, v31, v16
	v_fmac_f32_e32 v13, v22, v31
	v_fma_f32 v9, -v25, v31, v17
	v_fmac_f32_e32 v14, v24, v31
	v_fmac_f32_e32 v8, v18, v32
	;; [unrolled: 1-line block ×5, first 2 shown]
	v_fma_f32 v8, -v19, v33, v8
	v_fmac_f32_e32 v13, v18, v33
	v_fma_f32 v9, -v21, v33, v9
	v_fmac_f32_e32 v14, v20, v33
	s_waitcnt vmcnt(4)
	v_fmac_f32_e32 v8, v26, v34
	v_fmac_f32_e32 v13, v27, v34
	v_fmac_f32_e32 v9, v28, v34
	v_fmac_f32_e32 v14, v29, v34
	v_fma_f32 v8, -v27, v35, v8
	v_fmac_f32_e32 v13, v26, v35
	v_fma_f32 v9, -v29, v35, v9
	v_fmac_f32_e32 v14, v28, v35
	s_waitcnt vmcnt(3)
	v_fmac_f32_e32 v8, v38, v36
	v_fmac_f32_e32 v13, v39, v36
	v_fmac_f32_e32 v9, v40, v36
	v_fmac_f32_e32 v14, v41, v36
	;; [unrolled: 9-line block ×4, first 2 shown]
	v_fma_f32 v16, -v51, v49, v8
	v_fmac_f32_e32 v13, v50, v49
	v_fma_f32 v17, -v53, v49, v9
	v_fmac_f32_e32 v14, v52, v49
	s_andn2_b32 exec_lo, exec_lo, s6
	s_cbranch_execnz .LBB174_7
; %bb.8:
	s_or_b32 exec_lo, exec_lo, s6
.LBB174_9:
	s_or_b32 exec_lo, exec_lo, s3
	s_cbranch_execz .LBB174_11
	s_branch .LBB174_16
.LBB174_10:
                                        ; implicit-def: $vgpr13
                                        ; implicit-def: $vgpr16
                                        ; implicit-def: $vgpr17
                                        ; implicit-def: $vgpr14
.LBB174_11:
	v_mov_b32_e32 v13, 0
	v_mov_b32_e32 v16, 0
	;; [unrolled: 1-line block ×4, first 2 shown]
	s_and_saveexec_b32 s1, s0
	s_cbranch_execz .LBB174_15
; %bb.12:
	v_mad_u64_u32 v[8:9], null, v6, 12, 11
	v_mov_b32_e32 v11, 0
	v_mov_b32_e32 v13, 0
	;; [unrolled: 1-line block ×5, first 2 shown]
	s_mov_b32 s0, 0
.LBB174_13:                             ; =>This Inner Loop Header: Depth=1
	v_ashrrev_i32_e32 v7, 31, v6
	v_add_nc_u32_e32 v18, -5, v8
	v_mov_b32_e32 v19, v11
	v_mov_b32_e32 v35, v11
	v_lshlrev_b64 v[9:10], 2, v[6:7]
	v_add_nc_u32_e32 v6, 16, v6
	v_lshlrev_b64 v[18:19], 3, v[18:19]
	v_add_co_u32 v9, vcc_lo, s10, v9
	v_add_co_ci_u32_e64 v10, null, s11, v10, vcc_lo
	global_load_dword v7, v[9:10], off
	v_add_nc_u32_e32 v10, -11, v8
	v_mov_b32_e32 v9, v11
	v_lshlrev_b64 v[20:21], 3, v[10:11]
	v_add_nc_u32_e32 v10, -4, v8
	v_lshlrev_b64 v[22:23], 3, v[8:9]
	v_lshlrev_b64 v[9:10], 3, v[10:11]
	v_add_co_u32 v24, vcc_lo, s12, v20
	v_add_co_ci_u32_e64 v25, null, s13, v21, vcc_lo
	v_add_co_u32 v26, vcc_lo, s12, v18
	v_add_co_ci_u32_e64 v27, null, s13, v19, vcc_lo
	;; [unrolled: 2-line block ×4, first 2 shown]
	s_clause 0x3
	global_load_dwordx4 v[18:21], v[24:25], off offset:16
	global_load_dwordx4 v[22:25], v[24:25], off
	global_load_dwordx2 v[40:41], v[26:27], off
	global_load_dwordx2 v[42:43], v[9:10], off
	s_waitcnt vmcnt(4)
	v_subrev_nc_u32_e32 v7, s2, v7
	v_mul_lo_u32 v34, v7, 6
	v_lshlrev_b64 v[26:27], 3, v[34:35]
	v_add_nc_u32_e32 v10, 2, v34
	v_lshlrev_b64 v[30:31], 3, v[10:11]
	v_add_co_u32 v26, vcc_lo, s14, v26
	v_add_co_ci_u32_e64 v27, null, s15, v27, vcc_lo
	v_add_nc_u32_e32 v10, -3, v8
	v_add_co_u32 v30, vcc_lo, s14, v30
	global_load_dwordx4 v[26:29], v[26:27], off
	v_add_co_ci_u32_e64 v31, null, s15, v31, vcc_lo
	v_lshlrev_b64 v[32:33], 3, v[10:11]
	v_add_nc_u32_e32 v10, -2, v8
	v_lshlrev_b64 v[35:36], 3, v[10:11]
	v_add_nc_u32_e32 v10, -7, v8
	v_add_co_u32 v44, vcc_lo, s12, v32
	v_add_co_ci_u32_e64 v45, null, s13, v33, vcc_lo
	v_lshlrev_b64 v[46:47], 3, v[10:11]
	v_add_nc_u32_e32 v10, 4, v34
	v_add_co_u32 v34, vcc_lo, s12, v35
	global_load_dwordx4 v[30:33], v[30:31], off
	global_load_dwordx2 v[44:45], v[44:45], off
	v_add_co_ci_u32_e64 v35, null, s13, v36, vcc_lo
	v_add_co_u32 v46, vcc_lo, s12, v46
	v_lshlrev_b64 v[36:37], 3, v[10:11]
	v_add_nc_u32_e32 v10, -1, v8
	v_add_co_ci_u32_e64 v47, null, s13, v47, vcc_lo
	v_add_co_u32 v36, vcc_lo, s14, v36
	s_clause 0x1
	global_load_dwordx2 v[46:47], v[46:47], off
	global_load_dwordx2 v[48:49], v[34:35], off
	v_lshlrev_b64 v[34:35], 3, v[10:11]
	v_add_nc_u32_e32 v10, -6, v8
	v_add_co_ci_u32_e64 v37, null, s15, v37, vcc_lo
	v_add_nc_u32_e32 v8, 0xc0, v8
	v_add_co_u32 v50, vcc_lo, s12, v34
	v_add_co_ci_u32_e64 v51, null, s13, v35, vcc_lo
	v_lshlrev_b64 v[9:10], 3, v[10:11]
	global_load_dwordx4 v[34:37], v[36:37], off
	global_load_dwordx2 v[50:51], v[50:51], off
	v_add_co_u32 v9, vcc_lo, s12, v9
	v_add_co_ci_u32_e64 v10, null, s13, v10, vcc_lo
	s_clause 0x1
	global_load_dwordx2 v[9:10], v[9:10], off
	global_load_dwordx2 v[38:39], v[38:39], off
	v_cmp_ge_i32_e32 vcc_lo, v6, v15
	s_or_b32 s0, vcc_lo, s0
	s_waitcnt vmcnt(8)
	v_fmac_f32_e32 v16, v22, v26
	v_fmac_f32_e32 v13, v23, v26
	v_fmac_f32_e32 v17, v40, v26
	v_fmac_f32_e32 v14, v41, v26
	v_fma_f32 v7, -v23, v27, v16
	v_fmac_f32_e32 v13, v22, v27
	v_fma_f32 v12, -v41, v27, v17
	v_fmac_f32_e32 v14, v40, v27
	v_fmac_f32_e32 v7, v24, v28
	;; [unrolled: 1-line block ×5, first 2 shown]
	v_fma_f32 v7, -v25, v29, v7
	v_fmac_f32_e32 v13, v24, v29
	v_fma_f32 v12, -v43, v29, v12
	v_fmac_f32_e32 v14, v42, v29
	s_waitcnt vmcnt(7)
	v_fmac_f32_e32 v7, v18, v30
	v_fmac_f32_e32 v13, v19, v30
	s_waitcnt vmcnt(6)
	v_fmac_f32_e32 v12, v44, v30
	v_fmac_f32_e32 v14, v45, v30
	v_fma_f32 v7, -v19, v31, v7
	v_fmac_f32_e32 v13, v18, v31
	v_fma_f32 v12, -v45, v31, v12
	v_fmac_f32_e32 v14, v44, v31
	v_fmac_f32_e32 v7, v20, v32
	;; [unrolled: 1-line block ×3, first 2 shown]
	s_waitcnt vmcnt(4)
	v_fmac_f32_e32 v12, v48, v32
	v_fmac_f32_e32 v14, v49, v32
	v_fma_f32 v7, -v21, v33, v7
	v_fmac_f32_e32 v13, v20, v33
	v_fma_f32 v12, -v49, v33, v12
	v_fmac_f32_e32 v14, v48, v33
	s_waitcnt vmcnt(3)
	v_fmac_f32_e32 v7, v46, v34
	v_fmac_f32_e32 v13, v47, v34
	s_waitcnt vmcnt(2)
	v_fmac_f32_e32 v12, v50, v34
	v_fmac_f32_e32 v14, v51, v34
	v_fma_f32 v7, -v47, v35, v7
	v_fmac_f32_e32 v13, v46, v35
	v_fma_f32 v12, -v51, v35, v12
	v_fmac_f32_e32 v14, v50, v35
	s_waitcnt vmcnt(1)
	v_fmac_f32_e32 v7, v9, v36
	v_fmac_f32_e32 v13, v10, v36
	s_waitcnt vmcnt(0)
	v_fmac_f32_e32 v12, v38, v36
	v_fmac_f32_e32 v14, v39, v36
	v_fma_f32 v16, -v10, v37, v7
	v_fmac_f32_e32 v13, v9, v37
	v_fma_f32 v17, -v39, v37, v12
	v_fmac_f32_e32 v14, v38, v37
	s_andn2_b32 exec_lo, exec_lo, s0
	s_cbranch_execnz .LBB174_13
; %bb.14:
	s_or_b32 exec_lo, exec_lo, s0
.LBB174_15:
	s_or_b32 exec_lo, exec_lo, s1
.LBB174_16:
	v_mbcnt_lo_u32_b32 v6, -1, 0
	v_xor_b32_e32 v7, 8, v6
	v_xor_b32_e32 v11, 4, v6
	;; [unrolled: 1-line block ×3, first 2 shown]
	v_cmp_gt_i32_e32 vcc_lo, 32, v7
	v_cndmask_b32_e32 v7, v6, v7, vcc_lo
	v_cmp_gt_i32_e32 vcc_lo, 32, v11
	v_lshlrev_b32_e32 v7, 2, v7
	v_cndmask_b32_e32 v11, v6, v11, vcc_lo
	v_cmp_gt_i32_e32 vcc_lo, 32, v15
	ds_bpermute_b32 v8, v7, v16
	ds_bpermute_b32 v9, v7, v13
	;; [unrolled: 1-line block ×4, first 2 shown]
	v_lshlrev_b32_e32 v11, 2, v11
	v_cndmask_b32_e32 v15, v6, v15, vcc_lo
	v_lshlrev_b32_e32 v15, 2, v15
	s_waitcnt lgkmcnt(3)
	v_add_f32_e32 v8, v16, v8
	s_waitcnt lgkmcnt(2)
	v_add_f32_e32 v9, v13, v9
	;; [unrolled: 2-line block ×4, first 2 shown]
	ds_bpermute_b32 v12, v11, v8
	ds_bpermute_b32 v13, v11, v9
	;; [unrolled: 1-line block ×4, first 2 shown]
	s_waitcnt lgkmcnt(3)
	v_add_f32_e32 v8, v8, v12
	s_waitcnt lgkmcnt(2)
	v_add_f32_e32 v9, v9, v13
	;; [unrolled: 2-line block ×4, first 2 shown]
	ds_bpermute_b32 v11, v15, v8
	ds_bpermute_b32 v12, v15, v9
	;; [unrolled: 1-line block ×4, first 2 shown]
	v_xor_b32_e32 v15, 1, v6
	v_cmp_gt_i32_e32 vcc_lo, 32, v15
	v_cndmask_b32_e32 v6, v6, v15, vcc_lo
	v_cmp_eq_u32_e32 vcc_lo, 15, v0
	v_lshlrev_b32_e32 v15, 2, v6
	s_waitcnt lgkmcnt(3)
	v_add_f32_e32 v8, v8, v11
	s_waitcnt lgkmcnt(2)
	v_add_f32_e32 v9, v9, v12
	;; [unrolled: 2-line block ×4, first 2 shown]
	ds_bpermute_b32 v12, v15, v8
	ds_bpermute_b32 v13, v15, v9
	;; [unrolled: 1-line block ×4, first 2 shown]
	s_and_b32 exec_lo, exec_lo, vcc_lo
	s_cbranch_execz .LBB174_21
; %bb.17:
	s_load_dwordx2 s[2:3], s[4:5], 0x38
	v_cmp_eq_f32_e32 vcc_lo, 0, v3
	v_cmp_eq_f32_e64 s0, 0, v4
	s_waitcnt lgkmcnt(0)
	v_add_f32_e32 v0, v8, v12
	v_add_f32_e32 v8, v9, v13
	;; [unrolled: 1-line block ×4, first 2 shown]
	s_and_b32 s0, vcc_lo, s0
	s_and_saveexec_b32 s1, s0
	s_xor_b32 s0, exec_lo, s1
	s_cbranch_execz .LBB174_19
; %bb.18:
	v_lshlrev_b32_e32 v3, 1, v5
	v_mul_f32_e64 v9, v8, -v2
	v_mul_f32_e32 v10, v1, v8
	v_mul_f32_e64 v11, v7, -v2
	v_mul_f32_e32 v12, v1, v7
	v_ashrrev_i32_e32 v4, 31, v3
	v_fmac_f32_e32 v9, v1, v0
	v_fmac_f32_e32 v10, v2, v0
	;; [unrolled: 1-line block ×4, first 2 shown]
	v_lshlrev_b64 v[3:4], 3, v[3:4]
                                        ; implicit-def: $vgpr5
                                        ; implicit-def: $vgpr8
                                        ; implicit-def: $vgpr7
                                        ; implicit-def: $vgpr6
	v_add_co_u32 v0, vcc_lo, s2, v3
	v_add_co_ci_u32_e64 v1, null, s3, v4, vcc_lo
                                        ; implicit-def: $vgpr3_vgpr4
	global_store_dwordx4 v[0:1], v[9:12], off
                                        ; implicit-def: $vgpr1_vgpr2
                                        ; implicit-def: $vgpr0
.LBB174_19:
	s_andn2_saveexec_b32 s0, s0
	s_cbranch_execz .LBB174_21
; %bb.20:
	v_lshlrev_b32_e32 v9, 1, v5
	v_mul_f32_e64 v5, v8, -v2
	v_mul_f32_e32 v14, v1, v8
	v_mul_f32_e64 v8, v7, -v2
	v_mul_f32_e32 v16, v1, v7
	v_ashrrev_i32_e32 v10, 31, v9
	v_fmac_f32_e32 v5, v1, v0
	v_fmac_f32_e32 v14, v2, v0
	;; [unrolled: 1-line block ×4, first 2 shown]
	v_lshlrev_b64 v[9:10], 3, v[9:10]
	v_add_co_u32 v17, vcc_lo, s2, v9
	v_add_co_ci_u32_e64 v18, null, s3, v10, vcc_lo
	global_load_dwordx4 v[9:12], v[17:18], off
	s_waitcnt vmcnt(0)
	v_fmac_f32_e32 v5, v3, v9
	v_fmac_f32_e32 v14, v4, v9
	;; [unrolled: 1-line block ×4, first 2 shown]
	v_fma_f32 v13, -v4, v10, v5
	v_fmac_f32_e32 v14, v3, v10
	v_fma_f32 v15, -v4, v12, v8
	v_fmac_f32_e32 v16, v3, v12
	global_store_dwordx4 v[17:18], v[13:16], off
.LBB174_21:
	s_endpgm
	.section	.rodata,"a",@progbits
	.p2align	6, 0x0
	.amdhsa_kernel _ZN9rocsparseL19gebsrmvn_2xn_kernelILj128ELj6ELj16E21rocsparse_complex_numIfEEEvi20rocsparse_direction_NS_24const_host_device_scalarIT2_EEPKiS8_PKS5_SA_S6_PS5_21rocsparse_index_base_b
		.amdhsa_group_segment_fixed_size 0
		.amdhsa_private_segment_fixed_size 0
		.amdhsa_kernarg_size 72
		.amdhsa_user_sgpr_count 6
		.amdhsa_user_sgpr_private_segment_buffer 1
		.amdhsa_user_sgpr_dispatch_ptr 0
		.amdhsa_user_sgpr_queue_ptr 0
		.amdhsa_user_sgpr_kernarg_segment_ptr 1
		.amdhsa_user_sgpr_dispatch_id 0
		.amdhsa_user_sgpr_flat_scratch_init 0
		.amdhsa_user_sgpr_private_segment_size 0
		.amdhsa_wavefront_size32 1
		.amdhsa_uses_dynamic_stack 0
		.amdhsa_system_sgpr_private_segment_wavefront_offset 0
		.amdhsa_system_sgpr_workgroup_id_x 1
		.amdhsa_system_sgpr_workgroup_id_y 0
		.amdhsa_system_sgpr_workgroup_id_z 0
		.amdhsa_system_sgpr_workgroup_info 0
		.amdhsa_system_vgpr_workitem_id 0
		.amdhsa_next_free_vgpr 54
		.amdhsa_next_free_sgpr 16
		.amdhsa_reserve_vcc 1
		.amdhsa_reserve_flat_scratch 0
		.amdhsa_float_round_mode_32 0
		.amdhsa_float_round_mode_16_64 0
		.amdhsa_float_denorm_mode_32 3
		.amdhsa_float_denorm_mode_16_64 3
		.amdhsa_dx10_clamp 1
		.amdhsa_ieee_mode 1
		.amdhsa_fp16_overflow 0
		.amdhsa_workgroup_processor_mode 1
		.amdhsa_memory_ordered 1
		.amdhsa_forward_progress 1
		.amdhsa_shared_vgpr_count 0
		.amdhsa_exception_fp_ieee_invalid_op 0
		.amdhsa_exception_fp_denorm_src 0
		.amdhsa_exception_fp_ieee_div_zero 0
		.amdhsa_exception_fp_ieee_overflow 0
		.amdhsa_exception_fp_ieee_underflow 0
		.amdhsa_exception_fp_ieee_inexact 0
		.amdhsa_exception_int_div_zero 0
	.end_amdhsa_kernel
	.section	.text._ZN9rocsparseL19gebsrmvn_2xn_kernelILj128ELj6ELj16E21rocsparse_complex_numIfEEEvi20rocsparse_direction_NS_24const_host_device_scalarIT2_EEPKiS8_PKS5_SA_S6_PS5_21rocsparse_index_base_b,"axG",@progbits,_ZN9rocsparseL19gebsrmvn_2xn_kernelILj128ELj6ELj16E21rocsparse_complex_numIfEEEvi20rocsparse_direction_NS_24const_host_device_scalarIT2_EEPKiS8_PKS5_SA_S6_PS5_21rocsparse_index_base_b,comdat
.Lfunc_end174:
	.size	_ZN9rocsparseL19gebsrmvn_2xn_kernelILj128ELj6ELj16E21rocsparse_complex_numIfEEEvi20rocsparse_direction_NS_24const_host_device_scalarIT2_EEPKiS8_PKS5_SA_S6_PS5_21rocsparse_index_base_b, .Lfunc_end174-_ZN9rocsparseL19gebsrmvn_2xn_kernelILj128ELj6ELj16E21rocsparse_complex_numIfEEEvi20rocsparse_direction_NS_24const_host_device_scalarIT2_EEPKiS8_PKS5_SA_S6_PS5_21rocsparse_index_base_b
                                        ; -- End function
	.set _ZN9rocsparseL19gebsrmvn_2xn_kernelILj128ELj6ELj16E21rocsparse_complex_numIfEEEvi20rocsparse_direction_NS_24const_host_device_scalarIT2_EEPKiS8_PKS5_SA_S6_PS5_21rocsparse_index_base_b.num_vgpr, 54
	.set _ZN9rocsparseL19gebsrmvn_2xn_kernelILj128ELj6ELj16E21rocsparse_complex_numIfEEEvi20rocsparse_direction_NS_24const_host_device_scalarIT2_EEPKiS8_PKS5_SA_S6_PS5_21rocsparse_index_base_b.num_agpr, 0
	.set _ZN9rocsparseL19gebsrmvn_2xn_kernelILj128ELj6ELj16E21rocsparse_complex_numIfEEEvi20rocsparse_direction_NS_24const_host_device_scalarIT2_EEPKiS8_PKS5_SA_S6_PS5_21rocsparse_index_base_b.numbered_sgpr, 16
	.set _ZN9rocsparseL19gebsrmvn_2xn_kernelILj128ELj6ELj16E21rocsparse_complex_numIfEEEvi20rocsparse_direction_NS_24const_host_device_scalarIT2_EEPKiS8_PKS5_SA_S6_PS5_21rocsparse_index_base_b.num_named_barrier, 0
	.set _ZN9rocsparseL19gebsrmvn_2xn_kernelILj128ELj6ELj16E21rocsparse_complex_numIfEEEvi20rocsparse_direction_NS_24const_host_device_scalarIT2_EEPKiS8_PKS5_SA_S6_PS5_21rocsparse_index_base_b.private_seg_size, 0
	.set _ZN9rocsparseL19gebsrmvn_2xn_kernelILj128ELj6ELj16E21rocsparse_complex_numIfEEEvi20rocsparse_direction_NS_24const_host_device_scalarIT2_EEPKiS8_PKS5_SA_S6_PS5_21rocsparse_index_base_b.uses_vcc, 1
	.set _ZN9rocsparseL19gebsrmvn_2xn_kernelILj128ELj6ELj16E21rocsparse_complex_numIfEEEvi20rocsparse_direction_NS_24const_host_device_scalarIT2_EEPKiS8_PKS5_SA_S6_PS5_21rocsparse_index_base_b.uses_flat_scratch, 0
	.set _ZN9rocsparseL19gebsrmvn_2xn_kernelILj128ELj6ELj16E21rocsparse_complex_numIfEEEvi20rocsparse_direction_NS_24const_host_device_scalarIT2_EEPKiS8_PKS5_SA_S6_PS5_21rocsparse_index_base_b.has_dyn_sized_stack, 0
	.set _ZN9rocsparseL19gebsrmvn_2xn_kernelILj128ELj6ELj16E21rocsparse_complex_numIfEEEvi20rocsparse_direction_NS_24const_host_device_scalarIT2_EEPKiS8_PKS5_SA_S6_PS5_21rocsparse_index_base_b.has_recursion, 0
	.set _ZN9rocsparseL19gebsrmvn_2xn_kernelILj128ELj6ELj16E21rocsparse_complex_numIfEEEvi20rocsparse_direction_NS_24const_host_device_scalarIT2_EEPKiS8_PKS5_SA_S6_PS5_21rocsparse_index_base_b.has_indirect_call, 0
	.section	.AMDGPU.csdata,"",@progbits
; Kernel info:
; codeLenInByte = 2464
; TotalNumSgprs: 18
; NumVgprs: 54
; ScratchSize: 0
; MemoryBound: 0
; FloatMode: 240
; IeeeMode: 1
; LDSByteSize: 0 bytes/workgroup (compile time only)
; SGPRBlocks: 0
; VGPRBlocks: 6
; NumSGPRsForWavesPerEU: 18
; NumVGPRsForWavesPerEU: 54
; Occupancy: 16
; WaveLimiterHint : 1
; COMPUTE_PGM_RSRC2:SCRATCH_EN: 0
; COMPUTE_PGM_RSRC2:USER_SGPR: 6
; COMPUTE_PGM_RSRC2:TRAP_HANDLER: 0
; COMPUTE_PGM_RSRC2:TGID_X_EN: 1
; COMPUTE_PGM_RSRC2:TGID_Y_EN: 0
; COMPUTE_PGM_RSRC2:TGID_Z_EN: 0
; COMPUTE_PGM_RSRC2:TIDIG_COMP_CNT: 0
	.section	.text._ZN9rocsparseL19gebsrmvn_2xn_kernelILj128ELj6ELj32E21rocsparse_complex_numIfEEEvi20rocsparse_direction_NS_24const_host_device_scalarIT2_EEPKiS8_PKS5_SA_S6_PS5_21rocsparse_index_base_b,"axG",@progbits,_ZN9rocsparseL19gebsrmvn_2xn_kernelILj128ELj6ELj32E21rocsparse_complex_numIfEEEvi20rocsparse_direction_NS_24const_host_device_scalarIT2_EEPKiS8_PKS5_SA_S6_PS5_21rocsparse_index_base_b,comdat
	.globl	_ZN9rocsparseL19gebsrmvn_2xn_kernelILj128ELj6ELj32E21rocsparse_complex_numIfEEEvi20rocsparse_direction_NS_24const_host_device_scalarIT2_EEPKiS8_PKS5_SA_S6_PS5_21rocsparse_index_base_b ; -- Begin function _ZN9rocsparseL19gebsrmvn_2xn_kernelILj128ELj6ELj32E21rocsparse_complex_numIfEEEvi20rocsparse_direction_NS_24const_host_device_scalarIT2_EEPKiS8_PKS5_SA_S6_PS5_21rocsparse_index_base_b
	.p2align	8
	.type	_ZN9rocsparseL19gebsrmvn_2xn_kernelILj128ELj6ELj32E21rocsparse_complex_numIfEEEvi20rocsparse_direction_NS_24const_host_device_scalarIT2_EEPKiS8_PKS5_SA_S6_PS5_21rocsparse_index_base_b,@function
_ZN9rocsparseL19gebsrmvn_2xn_kernelILj128ELj6ELj32E21rocsparse_complex_numIfEEEvi20rocsparse_direction_NS_24const_host_device_scalarIT2_EEPKiS8_PKS5_SA_S6_PS5_21rocsparse_index_base_b: ; @_ZN9rocsparseL19gebsrmvn_2xn_kernelILj128ELj6ELj32E21rocsparse_complex_numIfEEEvi20rocsparse_direction_NS_24const_host_device_scalarIT2_EEPKiS8_PKS5_SA_S6_PS5_21rocsparse_index_base_b
; %bb.0:
	s_clause 0x2
	s_load_dwordx2 s[2:3], s[4:5], 0x40
	s_load_dwordx2 s[0:1], s[4:5], 0x8
	;; [unrolled: 1-line block ×3, first 2 shown]
	s_add_u32 s7, s4, 8
	s_addc_u32 s10, s5, 0
	s_add_u32 s11, s4, 48
	s_addc_u32 s12, s5, 0
	s_waitcnt lgkmcnt(0)
	s_bitcmp1_b32 s3, 0
	s_cselect_b32 s0, s7, s0
	s_cselect_b32 s1, s10, s1
	v_mov_b32_e32 v1, s0
	v_mov_b32_e32 v2, s1
	s_cselect_b32 s0, s11, s8
	s_cselect_b32 s1, s12, s9
	v_mov_b32_e32 v3, s0
	v_mov_b32_e32 v4, s1
	flat_load_dwordx2 v[1:2], v[1:2]
	flat_load_dwordx2 v[3:4], v[3:4]
	s_waitcnt vmcnt(1) lgkmcnt(1)
	v_cmp_eq_f32_e32 vcc_lo, 0, v1
	v_cmp_eq_f32_e64 s0, 0, v2
	s_and_b32 s3, vcc_lo, s0
	s_mov_b32 s0, -1
	s_and_saveexec_b32 s1, s3
	s_cbranch_execz .LBB175_2
; %bb.1:
	s_waitcnt vmcnt(0) lgkmcnt(0)
	v_cmp_neq_f32_e32 vcc_lo, 1.0, v3
	v_cmp_neq_f32_e64 s0, 0, v4
	s_or_b32 s0, vcc_lo, s0
	s_orn2_b32 s0, s0, exec_lo
.LBB175_2:
	s_or_b32 exec_lo, exec_lo, s1
	s_and_saveexec_b32 s1, s0
	s_cbranch_execz .LBB175_21
; %bb.3:
	s_load_dwordx2 s[0:1], s[4:5], 0x0
	v_lshrrev_b32_e32 v5, 5, v0
	v_lshl_or_b32 v5, s6, 2, v5
	s_waitcnt lgkmcnt(0)
	v_cmp_gt_i32_e32 vcc_lo, s0, v5
	s_and_b32 exec_lo, exec_lo, vcc_lo
	s_cbranch_execz .LBB175_21
; %bb.4:
	s_load_dwordx8 s[8:15], s[4:5], 0x10
	v_ashrrev_i32_e32 v6, 31, v5
	v_and_b32_e32 v0, 31, v0
	s_cmp_lg_u32 s1, 0
	v_lshlrev_b64 v[6:7], 2, v[5:6]
	s_waitcnt lgkmcnt(0)
	v_add_co_u32 v6, vcc_lo, s8, v6
	v_add_co_ci_u32_e64 v7, null, s9, v7, vcc_lo
	global_load_dwordx2 v[6:7], v[6:7], off
	s_waitcnt vmcnt(0)
	v_subrev_nc_u32_e32 v6, s2, v6
	v_subrev_nc_u32_e32 v15, s2, v7
	v_add_nc_u32_e32 v6, v6, v0
	v_cmp_lt_i32_e64 s0, v6, v15
	s_cbranch_scc0 .LBB175_10
; %bb.5:
	v_mov_b32_e32 v13, 0
	v_mov_b32_e32 v16, 0
	;; [unrolled: 1-line block ×4, first 2 shown]
	s_and_saveexec_b32 s3, s0
	s_cbranch_execz .LBB175_9
; %bb.6:
	v_mad_u64_u32 v[7:8], null, v6, 12, 10
	v_mov_b32_e32 v10, 0
	v_mov_b32_e32 v11, v6
	;; [unrolled: 1-line block ×6, first 2 shown]
	s_mov_b32 s6, 0
.LBB175_7:                              ; =>This Inner Loop Header: Depth=1
	v_ashrrev_i32_e32 v12, 31, v11
	v_mov_b32_e32 v35, v10
	v_lshlrev_b64 v[8:9], 2, v[11:12]
	v_add_nc_u32_e32 v11, 32, v11
	v_add_co_u32 v8, vcc_lo, s10, v8
	v_add_co_ci_u32_e64 v9, null, s11, v9, vcc_lo
	global_load_dword v12, v[8:9], off
	v_add_nc_u32_e32 v9, -10, v7
	v_mov_b32_e32 v8, v10
	v_lshlrev_b64 v[18:19], 3, v[9:10]
	v_add_nc_u32_e32 v9, -6, v7
	v_lshlrev_b64 v[49:50], 3, v[7:8]
	v_lshlrev_b64 v[8:9], 3, v[9:10]
	v_add_co_u32 v22, vcc_lo, s12, v18
	v_add_co_ci_u32_e64 v23, null, s13, v19, vcc_lo
	v_add_co_u32 v51, vcc_lo, s12, v49
	v_add_co_u32 v8, s1, s12, v8
	v_add_co_ci_u32_e64 v9, null, s13, v9, s1
	s_clause 0x2
	global_load_dwordx4 v[18:21], v[22:23], off offset:16
	global_load_dwordx4 v[22:25], v[22:23], off
	global_load_dwordx4 v[26:29], v[8:9], off
	v_add_co_ci_u32_e64 v52, null, s13, v50, vcc_lo
	v_cmp_ge_i32_e32 vcc_lo, v11, v15
	s_or_b32 s6, vcc_lo, s6
	s_waitcnt vmcnt(3)
	v_subrev_nc_u32_e32 v12, s2, v12
	v_mul_lo_u32 v34, v12, 6
	v_lshlrev_b64 v[30:31], 3, v[34:35]
	v_add_nc_u32_e32 v9, 2, v34
	v_lshlrev_b64 v[35:36], 3, v[9:10]
	v_add_co_u32 v30, s1, s14, v30
	v_add_co_ci_u32_e64 v31, null, s15, v31, s1
	v_add_nc_u32_e32 v9, -4, v7
	v_add_co_u32 v35, s1, s14, v35
	global_load_dwordx4 v[30:33], v[30:31], off
	v_add_co_ci_u32_e64 v36, null, s15, v36, s1
	v_lshlrev_b64 v[38:39], 3, v[9:10]
	v_add_nc_u32_e32 v9, -2, v7
	v_add_nc_u32_e32 v7, 0x180, v7
	v_lshlrev_b64 v[42:43], 3, v[9:10]
	v_add_nc_u32_e32 v9, 4, v34
	global_load_dwordx4 v[34:37], v[35:36], off
	v_add_co_u32 v38, s1, s12, v38
	v_add_co_ci_u32_e64 v39, null, s13, v39, s1
	v_lshlrev_b64 v[8:9], 3, v[9:10]
	v_add_co_u32 v42, s1, s12, v42
	global_load_dwordx4 v[38:41], v[38:39], off
	v_add_co_ci_u32_e64 v43, null, s13, v43, s1
	v_add_co_u32 v8, s1, s14, v8
	v_add_co_ci_u32_e64 v9, null, s15, v9, s1
	global_load_dwordx4 v[42:45], v[42:43], off
	global_load_dwordx4 v[46:49], v[8:9], off
	;; [unrolled: 1-line block ×3, first 2 shown]
	s_waitcnt vmcnt(5)
	v_fmac_f32_e32 v16, v22, v30
	v_fmac_f32_e32 v13, v23, v30
	;; [unrolled: 1-line block ×4, first 2 shown]
	v_fma_f32 v8, -v23, v31, v16
	v_fmac_f32_e32 v13, v22, v31
	v_fma_f32 v9, -v25, v31, v17
	v_fmac_f32_e32 v14, v24, v31
	v_fmac_f32_e32 v8, v18, v32
	;; [unrolled: 1-line block ×5, first 2 shown]
	v_fma_f32 v8, -v19, v33, v8
	v_fmac_f32_e32 v13, v18, v33
	v_fma_f32 v9, -v21, v33, v9
	v_fmac_f32_e32 v14, v20, v33
	s_waitcnt vmcnt(4)
	v_fmac_f32_e32 v8, v26, v34
	v_fmac_f32_e32 v13, v27, v34
	v_fmac_f32_e32 v9, v28, v34
	v_fmac_f32_e32 v14, v29, v34
	v_fma_f32 v8, -v27, v35, v8
	v_fmac_f32_e32 v13, v26, v35
	v_fma_f32 v9, -v29, v35, v9
	v_fmac_f32_e32 v14, v28, v35
	s_waitcnt vmcnt(3)
	v_fmac_f32_e32 v8, v38, v36
	v_fmac_f32_e32 v13, v39, v36
	v_fmac_f32_e32 v9, v40, v36
	v_fmac_f32_e32 v14, v41, v36
	v_fma_f32 v8, -v39, v37, v8
	v_fmac_f32_e32 v13, v38, v37
	v_fma_f32 v9, -v41, v37, v9
	v_fmac_f32_e32 v14, v40, v37
	s_waitcnt vmcnt(1)
	v_fmac_f32_e32 v8, v42, v46
	v_fmac_f32_e32 v13, v43, v46
	v_fmac_f32_e32 v9, v44, v46
	v_fmac_f32_e32 v14, v45, v46
	v_fma_f32 v8, -v43, v47, v8
	v_fmac_f32_e32 v13, v42, v47
	v_fma_f32 v9, -v45, v47, v9
	v_fmac_f32_e32 v14, v44, v47
	s_waitcnt vmcnt(0)
	v_fmac_f32_e32 v8, v50, v48
	v_fmac_f32_e32 v13, v51, v48
	v_fmac_f32_e32 v9, v52, v48
	v_fmac_f32_e32 v14, v53, v48
	v_fma_f32 v16, -v51, v49, v8
	v_fmac_f32_e32 v13, v50, v49
	v_fma_f32 v17, -v53, v49, v9
	v_fmac_f32_e32 v14, v52, v49
	s_andn2_b32 exec_lo, exec_lo, s6
	s_cbranch_execnz .LBB175_7
; %bb.8:
	s_or_b32 exec_lo, exec_lo, s6
.LBB175_9:
	s_or_b32 exec_lo, exec_lo, s3
	s_cbranch_execz .LBB175_11
	s_branch .LBB175_16
.LBB175_10:
                                        ; implicit-def: $vgpr13
                                        ; implicit-def: $vgpr16
                                        ; implicit-def: $vgpr17
                                        ; implicit-def: $vgpr14
.LBB175_11:
	v_mov_b32_e32 v13, 0
	v_mov_b32_e32 v16, 0
	v_mov_b32_e32 v17, 0
	v_mov_b32_e32 v14, 0
	s_and_saveexec_b32 s1, s0
	s_cbranch_execz .LBB175_15
; %bb.12:
	v_mad_u64_u32 v[8:9], null, v6, 12, 11
	v_mov_b32_e32 v11, 0
	v_mov_b32_e32 v13, 0
	;; [unrolled: 1-line block ×5, first 2 shown]
	s_mov_b32 s0, 0
.LBB175_13:                             ; =>This Inner Loop Header: Depth=1
	v_ashrrev_i32_e32 v7, 31, v6
	v_add_nc_u32_e32 v18, -5, v8
	v_mov_b32_e32 v19, v11
	v_mov_b32_e32 v35, v11
	v_lshlrev_b64 v[9:10], 2, v[6:7]
	v_add_nc_u32_e32 v6, 32, v6
	v_lshlrev_b64 v[18:19], 3, v[18:19]
	v_add_co_u32 v9, vcc_lo, s10, v9
	v_add_co_ci_u32_e64 v10, null, s11, v10, vcc_lo
	global_load_dword v7, v[9:10], off
	v_add_nc_u32_e32 v10, -11, v8
	v_mov_b32_e32 v9, v11
	v_lshlrev_b64 v[20:21], 3, v[10:11]
	v_add_nc_u32_e32 v10, -4, v8
	v_lshlrev_b64 v[22:23], 3, v[8:9]
	v_lshlrev_b64 v[9:10], 3, v[10:11]
	v_add_co_u32 v24, vcc_lo, s12, v20
	v_add_co_ci_u32_e64 v25, null, s13, v21, vcc_lo
	v_add_co_u32 v26, vcc_lo, s12, v18
	v_add_co_ci_u32_e64 v27, null, s13, v19, vcc_lo
	;; [unrolled: 2-line block ×4, first 2 shown]
	s_clause 0x3
	global_load_dwordx4 v[18:21], v[24:25], off offset:16
	global_load_dwordx4 v[22:25], v[24:25], off
	global_load_dwordx2 v[40:41], v[26:27], off
	global_load_dwordx2 v[42:43], v[9:10], off
	s_waitcnt vmcnt(4)
	v_subrev_nc_u32_e32 v7, s2, v7
	v_mul_lo_u32 v34, v7, 6
	v_lshlrev_b64 v[26:27], 3, v[34:35]
	v_add_nc_u32_e32 v10, 2, v34
	v_lshlrev_b64 v[30:31], 3, v[10:11]
	v_add_co_u32 v26, vcc_lo, s14, v26
	v_add_co_ci_u32_e64 v27, null, s15, v27, vcc_lo
	v_add_nc_u32_e32 v10, -3, v8
	v_add_co_u32 v30, vcc_lo, s14, v30
	global_load_dwordx4 v[26:29], v[26:27], off
	v_add_co_ci_u32_e64 v31, null, s15, v31, vcc_lo
	v_lshlrev_b64 v[32:33], 3, v[10:11]
	v_add_nc_u32_e32 v10, -2, v8
	v_lshlrev_b64 v[35:36], 3, v[10:11]
	v_add_nc_u32_e32 v10, -7, v8
	v_add_co_u32 v44, vcc_lo, s12, v32
	v_add_co_ci_u32_e64 v45, null, s13, v33, vcc_lo
	v_lshlrev_b64 v[46:47], 3, v[10:11]
	v_add_nc_u32_e32 v10, 4, v34
	v_add_co_u32 v34, vcc_lo, s12, v35
	global_load_dwordx4 v[30:33], v[30:31], off
	global_load_dwordx2 v[44:45], v[44:45], off
	v_add_co_ci_u32_e64 v35, null, s13, v36, vcc_lo
	v_add_co_u32 v46, vcc_lo, s12, v46
	v_lshlrev_b64 v[36:37], 3, v[10:11]
	v_add_nc_u32_e32 v10, -1, v8
	v_add_co_ci_u32_e64 v47, null, s13, v47, vcc_lo
	v_add_co_u32 v36, vcc_lo, s14, v36
	s_clause 0x1
	global_load_dwordx2 v[46:47], v[46:47], off
	global_load_dwordx2 v[48:49], v[34:35], off
	v_lshlrev_b64 v[34:35], 3, v[10:11]
	v_add_nc_u32_e32 v10, -6, v8
	v_add_co_ci_u32_e64 v37, null, s15, v37, vcc_lo
	v_add_nc_u32_e32 v8, 0x180, v8
	v_add_co_u32 v50, vcc_lo, s12, v34
	v_add_co_ci_u32_e64 v51, null, s13, v35, vcc_lo
	v_lshlrev_b64 v[9:10], 3, v[10:11]
	global_load_dwordx4 v[34:37], v[36:37], off
	global_load_dwordx2 v[50:51], v[50:51], off
	v_add_co_u32 v9, vcc_lo, s12, v9
	v_add_co_ci_u32_e64 v10, null, s13, v10, vcc_lo
	s_clause 0x1
	global_load_dwordx2 v[9:10], v[9:10], off
	global_load_dwordx2 v[38:39], v[38:39], off
	v_cmp_ge_i32_e32 vcc_lo, v6, v15
	s_or_b32 s0, vcc_lo, s0
	s_waitcnt vmcnt(8)
	v_fmac_f32_e32 v16, v22, v26
	v_fmac_f32_e32 v13, v23, v26
	;; [unrolled: 1-line block ×4, first 2 shown]
	v_fma_f32 v7, -v23, v27, v16
	v_fmac_f32_e32 v13, v22, v27
	v_fma_f32 v12, -v41, v27, v17
	v_fmac_f32_e32 v14, v40, v27
	v_fmac_f32_e32 v7, v24, v28
	;; [unrolled: 1-line block ×5, first 2 shown]
	v_fma_f32 v7, -v25, v29, v7
	v_fmac_f32_e32 v13, v24, v29
	v_fma_f32 v12, -v43, v29, v12
	v_fmac_f32_e32 v14, v42, v29
	s_waitcnt vmcnt(7)
	v_fmac_f32_e32 v7, v18, v30
	v_fmac_f32_e32 v13, v19, v30
	s_waitcnt vmcnt(6)
	v_fmac_f32_e32 v12, v44, v30
	v_fmac_f32_e32 v14, v45, v30
	v_fma_f32 v7, -v19, v31, v7
	v_fmac_f32_e32 v13, v18, v31
	v_fma_f32 v12, -v45, v31, v12
	v_fmac_f32_e32 v14, v44, v31
	v_fmac_f32_e32 v7, v20, v32
	;; [unrolled: 1-line block ×3, first 2 shown]
	s_waitcnt vmcnt(4)
	v_fmac_f32_e32 v12, v48, v32
	v_fmac_f32_e32 v14, v49, v32
	v_fma_f32 v7, -v21, v33, v7
	v_fmac_f32_e32 v13, v20, v33
	v_fma_f32 v12, -v49, v33, v12
	v_fmac_f32_e32 v14, v48, v33
	s_waitcnt vmcnt(3)
	v_fmac_f32_e32 v7, v46, v34
	v_fmac_f32_e32 v13, v47, v34
	s_waitcnt vmcnt(2)
	v_fmac_f32_e32 v12, v50, v34
	v_fmac_f32_e32 v14, v51, v34
	v_fma_f32 v7, -v47, v35, v7
	v_fmac_f32_e32 v13, v46, v35
	v_fma_f32 v12, -v51, v35, v12
	v_fmac_f32_e32 v14, v50, v35
	s_waitcnt vmcnt(1)
	v_fmac_f32_e32 v7, v9, v36
	v_fmac_f32_e32 v13, v10, v36
	s_waitcnt vmcnt(0)
	v_fmac_f32_e32 v12, v38, v36
	v_fmac_f32_e32 v14, v39, v36
	v_fma_f32 v16, -v10, v37, v7
	v_fmac_f32_e32 v13, v9, v37
	v_fma_f32 v17, -v39, v37, v12
	v_fmac_f32_e32 v14, v38, v37
	s_andn2_b32 exec_lo, exec_lo, s0
	s_cbranch_execnz .LBB175_13
; %bb.14:
	s_or_b32 exec_lo, exec_lo, s0
.LBB175_15:
	s_or_b32 exec_lo, exec_lo, s1
.LBB175_16:
	v_mbcnt_lo_u32_b32 v6, -1, 0
	v_xor_b32_e32 v7, 16, v6
	v_xor_b32_e32 v11, 8, v6
	;; [unrolled: 1-line block ×3, first 2 shown]
	v_cmp_gt_i32_e32 vcc_lo, 32, v7
	v_cndmask_b32_e32 v7, v6, v7, vcc_lo
	v_cmp_gt_i32_e32 vcc_lo, 32, v11
	v_lshlrev_b32_e32 v7, 2, v7
	v_cndmask_b32_e32 v11, v6, v11, vcc_lo
	v_cmp_gt_i32_e32 vcc_lo, 32, v15
	ds_bpermute_b32 v8, v7, v16
	ds_bpermute_b32 v9, v7, v13
	;; [unrolled: 1-line block ×4, first 2 shown]
	v_lshlrev_b32_e32 v11, 2, v11
	v_cndmask_b32_e32 v15, v6, v15, vcc_lo
	v_lshlrev_b32_e32 v15, 2, v15
	s_waitcnt lgkmcnt(3)
	v_add_f32_e32 v8, v16, v8
	s_waitcnt lgkmcnt(2)
	v_add_f32_e32 v9, v13, v9
	;; [unrolled: 2-line block ×4, first 2 shown]
	ds_bpermute_b32 v12, v11, v8
	ds_bpermute_b32 v13, v11, v9
	;; [unrolled: 1-line block ×4, first 2 shown]
	s_waitcnt lgkmcnt(3)
	v_add_f32_e32 v8, v8, v12
	s_waitcnt lgkmcnt(2)
	v_add_f32_e32 v9, v9, v13
	;; [unrolled: 2-line block ×4, first 2 shown]
	ds_bpermute_b32 v11, v15, v8
	ds_bpermute_b32 v12, v15, v9
	ds_bpermute_b32 v13, v15, v10
	ds_bpermute_b32 v14, v15, v7
	v_xor_b32_e32 v15, 2, v6
	v_cmp_gt_i32_e32 vcc_lo, 32, v15
	v_cndmask_b32_e32 v15, v6, v15, vcc_lo
	v_lshlrev_b32_e32 v15, 2, v15
	s_waitcnt lgkmcnt(3)
	v_add_f32_e32 v8, v8, v11
	s_waitcnt lgkmcnt(2)
	v_add_f32_e32 v9, v9, v12
	;; [unrolled: 2-line block ×4, first 2 shown]
	ds_bpermute_b32 v11, v15, v8
	ds_bpermute_b32 v12, v15, v9
	;; [unrolled: 1-line block ×4, first 2 shown]
	v_xor_b32_e32 v15, 1, v6
	v_cmp_gt_i32_e32 vcc_lo, 32, v15
	v_cndmask_b32_e32 v6, v6, v15, vcc_lo
	v_cmp_eq_u32_e32 vcc_lo, 31, v0
	v_lshlrev_b32_e32 v15, 2, v6
	s_waitcnt lgkmcnt(3)
	v_add_f32_e32 v8, v8, v11
	s_waitcnt lgkmcnt(2)
	v_add_f32_e32 v9, v9, v12
	s_waitcnt lgkmcnt(1)
	v_add_f32_e32 v6, v10, v13
	s_waitcnt lgkmcnt(0)
	v_add_f32_e32 v7, v7, v14
	ds_bpermute_b32 v12, v15, v8
	ds_bpermute_b32 v13, v15, v9
	;; [unrolled: 1-line block ×4, first 2 shown]
	s_and_b32 exec_lo, exec_lo, vcc_lo
	s_cbranch_execz .LBB175_21
; %bb.17:
	s_load_dwordx2 s[2:3], s[4:5], 0x38
	v_cmp_eq_f32_e32 vcc_lo, 0, v3
	v_cmp_eq_f32_e64 s0, 0, v4
	s_waitcnt lgkmcnt(0)
	v_add_f32_e32 v0, v8, v12
	v_add_f32_e32 v8, v9, v13
	;; [unrolled: 1-line block ×4, first 2 shown]
	s_and_b32 s0, vcc_lo, s0
	s_and_saveexec_b32 s1, s0
	s_xor_b32 s0, exec_lo, s1
	s_cbranch_execz .LBB175_19
; %bb.18:
	v_lshlrev_b32_e32 v3, 1, v5
	v_mul_f32_e64 v9, v8, -v2
	v_mul_f32_e32 v10, v1, v8
	v_mul_f32_e64 v11, v7, -v2
	v_mul_f32_e32 v12, v1, v7
	v_ashrrev_i32_e32 v4, 31, v3
	v_fmac_f32_e32 v9, v1, v0
	v_fmac_f32_e32 v10, v2, v0
	v_fmac_f32_e32 v11, v1, v6
	v_fmac_f32_e32 v12, v2, v6
	v_lshlrev_b64 v[3:4], 3, v[3:4]
                                        ; implicit-def: $vgpr5
                                        ; implicit-def: $vgpr8
                                        ; implicit-def: $vgpr7
                                        ; implicit-def: $vgpr6
	v_add_co_u32 v0, vcc_lo, s2, v3
	v_add_co_ci_u32_e64 v1, null, s3, v4, vcc_lo
                                        ; implicit-def: $vgpr3_vgpr4
	global_store_dwordx4 v[0:1], v[9:12], off
                                        ; implicit-def: $vgpr1_vgpr2
                                        ; implicit-def: $vgpr0
.LBB175_19:
	s_andn2_saveexec_b32 s0, s0
	s_cbranch_execz .LBB175_21
; %bb.20:
	v_lshlrev_b32_e32 v9, 1, v5
	v_mul_f32_e64 v5, v8, -v2
	v_mul_f32_e32 v14, v1, v8
	v_mul_f32_e64 v8, v7, -v2
	v_mul_f32_e32 v16, v1, v7
	v_ashrrev_i32_e32 v10, 31, v9
	v_fmac_f32_e32 v5, v1, v0
	v_fmac_f32_e32 v14, v2, v0
	;; [unrolled: 1-line block ×4, first 2 shown]
	v_lshlrev_b64 v[9:10], 3, v[9:10]
	v_add_co_u32 v17, vcc_lo, s2, v9
	v_add_co_ci_u32_e64 v18, null, s3, v10, vcc_lo
	global_load_dwordx4 v[9:12], v[17:18], off
	s_waitcnt vmcnt(0)
	v_fmac_f32_e32 v5, v3, v9
	v_fmac_f32_e32 v14, v4, v9
	;; [unrolled: 1-line block ×4, first 2 shown]
	v_fma_f32 v13, -v4, v10, v5
	v_fmac_f32_e32 v14, v3, v10
	v_fma_f32 v15, -v4, v12, v8
	v_fmac_f32_e32 v16, v3, v12
	global_store_dwordx4 v[17:18], v[13:16], off
.LBB175_21:
	s_endpgm
	.section	.rodata,"a",@progbits
	.p2align	6, 0x0
	.amdhsa_kernel _ZN9rocsparseL19gebsrmvn_2xn_kernelILj128ELj6ELj32E21rocsparse_complex_numIfEEEvi20rocsparse_direction_NS_24const_host_device_scalarIT2_EEPKiS8_PKS5_SA_S6_PS5_21rocsparse_index_base_b
		.amdhsa_group_segment_fixed_size 0
		.amdhsa_private_segment_fixed_size 0
		.amdhsa_kernarg_size 72
		.amdhsa_user_sgpr_count 6
		.amdhsa_user_sgpr_private_segment_buffer 1
		.amdhsa_user_sgpr_dispatch_ptr 0
		.amdhsa_user_sgpr_queue_ptr 0
		.amdhsa_user_sgpr_kernarg_segment_ptr 1
		.amdhsa_user_sgpr_dispatch_id 0
		.amdhsa_user_sgpr_flat_scratch_init 0
		.amdhsa_user_sgpr_private_segment_size 0
		.amdhsa_wavefront_size32 1
		.amdhsa_uses_dynamic_stack 0
		.amdhsa_system_sgpr_private_segment_wavefront_offset 0
		.amdhsa_system_sgpr_workgroup_id_x 1
		.amdhsa_system_sgpr_workgroup_id_y 0
		.amdhsa_system_sgpr_workgroup_id_z 0
		.amdhsa_system_sgpr_workgroup_info 0
		.amdhsa_system_vgpr_workitem_id 0
		.amdhsa_next_free_vgpr 54
		.amdhsa_next_free_sgpr 16
		.amdhsa_reserve_vcc 1
		.amdhsa_reserve_flat_scratch 0
		.amdhsa_float_round_mode_32 0
		.amdhsa_float_round_mode_16_64 0
		.amdhsa_float_denorm_mode_32 3
		.amdhsa_float_denorm_mode_16_64 3
		.amdhsa_dx10_clamp 1
		.amdhsa_ieee_mode 1
		.amdhsa_fp16_overflow 0
		.amdhsa_workgroup_processor_mode 1
		.amdhsa_memory_ordered 1
		.amdhsa_forward_progress 1
		.amdhsa_shared_vgpr_count 0
		.amdhsa_exception_fp_ieee_invalid_op 0
		.amdhsa_exception_fp_denorm_src 0
		.amdhsa_exception_fp_ieee_div_zero 0
		.amdhsa_exception_fp_ieee_overflow 0
		.amdhsa_exception_fp_ieee_underflow 0
		.amdhsa_exception_fp_ieee_inexact 0
		.amdhsa_exception_int_div_zero 0
	.end_amdhsa_kernel
	.section	.text._ZN9rocsparseL19gebsrmvn_2xn_kernelILj128ELj6ELj32E21rocsparse_complex_numIfEEEvi20rocsparse_direction_NS_24const_host_device_scalarIT2_EEPKiS8_PKS5_SA_S6_PS5_21rocsparse_index_base_b,"axG",@progbits,_ZN9rocsparseL19gebsrmvn_2xn_kernelILj128ELj6ELj32E21rocsparse_complex_numIfEEEvi20rocsparse_direction_NS_24const_host_device_scalarIT2_EEPKiS8_PKS5_SA_S6_PS5_21rocsparse_index_base_b,comdat
.Lfunc_end175:
	.size	_ZN9rocsparseL19gebsrmvn_2xn_kernelILj128ELj6ELj32E21rocsparse_complex_numIfEEEvi20rocsparse_direction_NS_24const_host_device_scalarIT2_EEPKiS8_PKS5_SA_S6_PS5_21rocsparse_index_base_b, .Lfunc_end175-_ZN9rocsparseL19gebsrmvn_2xn_kernelILj128ELj6ELj32E21rocsparse_complex_numIfEEEvi20rocsparse_direction_NS_24const_host_device_scalarIT2_EEPKiS8_PKS5_SA_S6_PS5_21rocsparse_index_base_b
                                        ; -- End function
	.set _ZN9rocsparseL19gebsrmvn_2xn_kernelILj128ELj6ELj32E21rocsparse_complex_numIfEEEvi20rocsparse_direction_NS_24const_host_device_scalarIT2_EEPKiS8_PKS5_SA_S6_PS5_21rocsparse_index_base_b.num_vgpr, 54
	.set _ZN9rocsparseL19gebsrmvn_2xn_kernelILj128ELj6ELj32E21rocsparse_complex_numIfEEEvi20rocsparse_direction_NS_24const_host_device_scalarIT2_EEPKiS8_PKS5_SA_S6_PS5_21rocsparse_index_base_b.num_agpr, 0
	.set _ZN9rocsparseL19gebsrmvn_2xn_kernelILj128ELj6ELj32E21rocsparse_complex_numIfEEEvi20rocsparse_direction_NS_24const_host_device_scalarIT2_EEPKiS8_PKS5_SA_S6_PS5_21rocsparse_index_base_b.numbered_sgpr, 16
	.set _ZN9rocsparseL19gebsrmvn_2xn_kernelILj128ELj6ELj32E21rocsparse_complex_numIfEEEvi20rocsparse_direction_NS_24const_host_device_scalarIT2_EEPKiS8_PKS5_SA_S6_PS5_21rocsparse_index_base_b.num_named_barrier, 0
	.set _ZN9rocsparseL19gebsrmvn_2xn_kernelILj128ELj6ELj32E21rocsparse_complex_numIfEEEvi20rocsparse_direction_NS_24const_host_device_scalarIT2_EEPKiS8_PKS5_SA_S6_PS5_21rocsparse_index_base_b.private_seg_size, 0
	.set _ZN9rocsparseL19gebsrmvn_2xn_kernelILj128ELj6ELj32E21rocsparse_complex_numIfEEEvi20rocsparse_direction_NS_24const_host_device_scalarIT2_EEPKiS8_PKS5_SA_S6_PS5_21rocsparse_index_base_b.uses_vcc, 1
	.set _ZN9rocsparseL19gebsrmvn_2xn_kernelILj128ELj6ELj32E21rocsparse_complex_numIfEEEvi20rocsparse_direction_NS_24const_host_device_scalarIT2_EEPKiS8_PKS5_SA_S6_PS5_21rocsparse_index_base_b.uses_flat_scratch, 0
	.set _ZN9rocsparseL19gebsrmvn_2xn_kernelILj128ELj6ELj32E21rocsparse_complex_numIfEEEvi20rocsparse_direction_NS_24const_host_device_scalarIT2_EEPKiS8_PKS5_SA_S6_PS5_21rocsparse_index_base_b.has_dyn_sized_stack, 0
	.set _ZN9rocsparseL19gebsrmvn_2xn_kernelILj128ELj6ELj32E21rocsparse_complex_numIfEEEvi20rocsparse_direction_NS_24const_host_device_scalarIT2_EEPKiS8_PKS5_SA_S6_PS5_21rocsparse_index_base_b.has_recursion, 0
	.set _ZN9rocsparseL19gebsrmvn_2xn_kernelILj128ELj6ELj32E21rocsparse_complex_numIfEEEvi20rocsparse_direction_NS_24const_host_device_scalarIT2_EEPKiS8_PKS5_SA_S6_PS5_21rocsparse_index_base_b.has_indirect_call, 0
	.section	.AMDGPU.csdata,"",@progbits
; Kernel info:
; codeLenInByte = 2544
; TotalNumSgprs: 18
; NumVgprs: 54
; ScratchSize: 0
; MemoryBound: 0
; FloatMode: 240
; IeeeMode: 1
; LDSByteSize: 0 bytes/workgroup (compile time only)
; SGPRBlocks: 0
; VGPRBlocks: 6
; NumSGPRsForWavesPerEU: 18
; NumVGPRsForWavesPerEU: 54
; Occupancy: 16
; WaveLimiterHint : 1
; COMPUTE_PGM_RSRC2:SCRATCH_EN: 0
; COMPUTE_PGM_RSRC2:USER_SGPR: 6
; COMPUTE_PGM_RSRC2:TRAP_HANDLER: 0
; COMPUTE_PGM_RSRC2:TGID_X_EN: 1
; COMPUTE_PGM_RSRC2:TGID_Y_EN: 0
; COMPUTE_PGM_RSRC2:TGID_Z_EN: 0
; COMPUTE_PGM_RSRC2:TIDIG_COMP_CNT: 0
	.section	.text._ZN9rocsparseL19gebsrmvn_2xn_kernelILj128ELj6ELj64E21rocsparse_complex_numIfEEEvi20rocsparse_direction_NS_24const_host_device_scalarIT2_EEPKiS8_PKS5_SA_S6_PS5_21rocsparse_index_base_b,"axG",@progbits,_ZN9rocsparseL19gebsrmvn_2xn_kernelILj128ELj6ELj64E21rocsparse_complex_numIfEEEvi20rocsparse_direction_NS_24const_host_device_scalarIT2_EEPKiS8_PKS5_SA_S6_PS5_21rocsparse_index_base_b,comdat
	.globl	_ZN9rocsparseL19gebsrmvn_2xn_kernelILj128ELj6ELj64E21rocsparse_complex_numIfEEEvi20rocsparse_direction_NS_24const_host_device_scalarIT2_EEPKiS8_PKS5_SA_S6_PS5_21rocsparse_index_base_b ; -- Begin function _ZN9rocsparseL19gebsrmvn_2xn_kernelILj128ELj6ELj64E21rocsparse_complex_numIfEEEvi20rocsparse_direction_NS_24const_host_device_scalarIT2_EEPKiS8_PKS5_SA_S6_PS5_21rocsparse_index_base_b
	.p2align	8
	.type	_ZN9rocsparseL19gebsrmvn_2xn_kernelILj128ELj6ELj64E21rocsparse_complex_numIfEEEvi20rocsparse_direction_NS_24const_host_device_scalarIT2_EEPKiS8_PKS5_SA_S6_PS5_21rocsparse_index_base_b,@function
_ZN9rocsparseL19gebsrmvn_2xn_kernelILj128ELj6ELj64E21rocsparse_complex_numIfEEEvi20rocsparse_direction_NS_24const_host_device_scalarIT2_EEPKiS8_PKS5_SA_S6_PS5_21rocsparse_index_base_b: ; @_ZN9rocsparseL19gebsrmvn_2xn_kernelILj128ELj6ELj64E21rocsparse_complex_numIfEEEvi20rocsparse_direction_NS_24const_host_device_scalarIT2_EEPKiS8_PKS5_SA_S6_PS5_21rocsparse_index_base_b
; %bb.0:
	s_clause 0x2
	s_load_dwordx2 s[2:3], s[4:5], 0x40
	s_load_dwordx2 s[0:1], s[4:5], 0x8
	;; [unrolled: 1-line block ×3, first 2 shown]
	s_add_u32 s7, s4, 8
	s_addc_u32 s10, s5, 0
	s_add_u32 s11, s4, 48
	s_addc_u32 s12, s5, 0
	s_waitcnt lgkmcnt(0)
	s_bitcmp1_b32 s3, 0
	s_cselect_b32 s0, s7, s0
	s_cselect_b32 s1, s10, s1
	v_mov_b32_e32 v1, s0
	v_mov_b32_e32 v2, s1
	s_cselect_b32 s0, s11, s8
	s_cselect_b32 s1, s12, s9
	v_mov_b32_e32 v3, s0
	v_mov_b32_e32 v4, s1
	flat_load_dwordx2 v[1:2], v[1:2]
	flat_load_dwordx2 v[3:4], v[3:4]
	s_waitcnt vmcnt(1) lgkmcnt(1)
	v_cmp_eq_f32_e32 vcc_lo, 0, v1
	v_cmp_eq_f32_e64 s0, 0, v2
	s_and_b32 s3, vcc_lo, s0
	s_mov_b32 s0, -1
	s_and_saveexec_b32 s1, s3
	s_cbranch_execz .LBB176_2
; %bb.1:
	s_waitcnt vmcnt(0) lgkmcnt(0)
	v_cmp_neq_f32_e32 vcc_lo, 1.0, v3
	v_cmp_neq_f32_e64 s0, 0, v4
	s_or_b32 s0, vcc_lo, s0
	s_orn2_b32 s0, s0, exec_lo
.LBB176_2:
	s_or_b32 exec_lo, exec_lo, s1
	s_and_saveexec_b32 s1, s0
	s_cbranch_execz .LBB176_21
; %bb.3:
	s_load_dwordx2 s[0:1], s[4:5], 0x0
	v_lshrrev_b32_e32 v5, 6, v0
	v_lshl_or_b32 v5, s6, 1, v5
	s_waitcnt lgkmcnt(0)
	v_cmp_gt_i32_e32 vcc_lo, s0, v5
	s_and_b32 exec_lo, exec_lo, vcc_lo
	s_cbranch_execz .LBB176_21
; %bb.4:
	s_load_dwordx8 s[8:15], s[4:5], 0x10
	v_ashrrev_i32_e32 v6, 31, v5
	v_and_b32_e32 v0, 63, v0
	s_cmp_lg_u32 s1, 0
	v_lshlrev_b64 v[6:7], 2, v[5:6]
	s_waitcnt lgkmcnt(0)
	v_add_co_u32 v6, vcc_lo, s8, v6
	v_add_co_ci_u32_e64 v7, null, s9, v7, vcc_lo
	global_load_dwordx2 v[6:7], v[6:7], off
	s_waitcnt vmcnt(0)
	v_subrev_nc_u32_e32 v6, s2, v6
	v_subrev_nc_u32_e32 v15, s2, v7
	v_add_nc_u32_e32 v6, v6, v0
	v_cmp_lt_i32_e64 s0, v6, v15
	s_cbranch_scc0 .LBB176_10
; %bb.5:
	v_mov_b32_e32 v13, 0
	v_mov_b32_e32 v16, 0
	;; [unrolled: 1-line block ×4, first 2 shown]
	s_and_saveexec_b32 s3, s0
	s_cbranch_execz .LBB176_9
; %bb.6:
	v_mad_u64_u32 v[7:8], null, v6, 12, 10
	v_mov_b32_e32 v10, 0
	v_mov_b32_e32 v11, v6
	;; [unrolled: 1-line block ×6, first 2 shown]
	s_mov_b32 s6, 0
.LBB176_7:                              ; =>This Inner Loop Header: Depth=1
	v_ashrrev_i32_e32 v12, 31, v11
	v_mov_b32_e32 v35, v10
	v_lshlrev_b64 v[8:9], 2, v[11:12]
	v_add_nc_u32_e32 v11, 64, v11
	v_add_co_u32 v8, vcc_lo, s10, v8
	v_add_co_ci_u32_e64 v9, null, s11, v9, vcc_lo
	global_load_dword v12, v[8:9], off
	v_add_nc_u32_e32 v9, -10, v7
	v_mov_b32_e32 v8, v10
	v_lshlrev_b64 v[18:19], 3, v[9:10]
	v_add_nc_u32_e32 v9, -6, v7
	v_lshlrev_b64 v[49:50], 3, v[7:8]
	v_lshlrev_b64 v[8:9], 3, v[9:10]
	v_add_co_u32 v22, vcc_lo, s12, v18
	v_add_co_ci_u32_e64 v23, null, s13, v19, vcc_lo
	v_add_co_u32 v51, vcc_lo, s12, v49
	v_add_co_u32 v8, s1, s12, v8
	v_add_co_ci_u32_e64 v9, null, s13, v9, s1
	s_clause 0x2
	global_load_dwordx4 v[18:21], v[22:23], off offset:16
	global_load_dwordx4 v[22:25], v[22:23], off
	global_load_dwordx4 v[26:29], v[8:9], off
	v_add_co_ci_u32_e64 v52, null, s13, v50, vcc_lo
	v_cmp_ge_i32_e32 vcc_lo, v11, v15
	s_or_b32 s6, vcc_lo, s6
	s_waitcnt vmcnt(3)
	v_subrev_nc_u32_e32 v12, s2, v12
	v_mul_lo_u32 v34, v12, 6
	v_lshlrev_b64 v[30:31], 3, v[34:35]
	v_add_nc_u32_e32 v9, 2, v34
	v_lshlrev_b64 v[35:36], 3, v[9:10]
	v_add_co_u32 v30, s1, s14, v30
	v_add_co_ci_u32_e64 v31, null, s15, v31, s1
	v_add_nc_u32_e32 v9, -4, v7
	v_add_co_u32 v35, s1, s14, v35
	global_load_dwordx4 v[30:33], v[30:31], off
	v_add_co_ci_u32_e64 v36, null, s15, v36, s1
	v_lshlrev_b64 v[38:39], 3, v[9:10]
	v_add_nc_u32_e32 v9, -2, v7
	v_add_nc_u32_e32 v7, 0x300, v7
	v_lshlrev_b64 v[42:43], 3, v[9:10]
	v_add_nc_u32_e32 v9, 4, v34
	global_load_dwordx4 v[34:37], v[35:36], off
	v_add_co_u32 v38, s1, s12, v38
	v_add_co_ci_u32_e64 v39, null, s13, v39, s1
	v_lshlrev_b64 v[8:9], 3, v[9:10]
	v_add_co_u32 v42, s1, s12, v42
	global_load_dwordx4 v[38:41], v[38:39], off
	v_add_co_ci_u32_e64 v43, null, s13, v43, s1
	v_add_co_u32 v8, s1, s14, v8
	v_add_co_ci_u32_e64 v9, null, s15, v9, s1
	global_load_dwordx4 v[42:45], v[42:43], off
	global_load_dwordx4 v[46:49], v[8:9], off
	;; [unrolled: 1-line block ×3, first 2 shown]
	s_waitcnt vmcnt(5)
	v_fmac_f32_e32 v16, v22, v30
	v_fmac_f32_e32 v13, v23, v30
	;; [unrolled: 1-line block ×4, first 2 shown]
	v_fma_f32 v8, -v23, v31, v16
	v_fmac_f32_e32 v13, v22, v31
	v_fma_f32 v9, -v25, v31, v17
	v_fmac_f32_e32 v14, v24, v31
	v_fmac_f32_e32 v8, v18, v32
	;; [unrolled: 1-line block ×5, first 2 shown]
	v_fma_f32 v8, -v19, v33, v8
	v_fmac_f32_e32 v13, v18, v33
	v_fma_f32 v9, -v21, v33, v9
	v_fmac_f32_e32 v14, v20, v33
	s_waitcnt vmcnt(4)
	v_fmac_f32_e32 v8, v26, v34
	v_fmac_f32_e32 v13, v27, v34
	v_fmac_f32_e32 v9, v28, v34
	v_fmac_f32_e32 v14, v29, v34
	v_fma_f32 v8, -v27, v35, v8
	v_fmac_f32_e32 v13, v26, v35
	v_fma_f32 v9, -v29, v35, v9
	v_fmac_f32_e32 v14, v28, v35
	s_waitcnt vmcnt(3)
	v_fmac_f32_e32 v8, v38, v36
	v_fmac_f32_e32 v13, v39, v36
	v_fmac_f32_e32 v9, v40, v36
	v_fmac_f32_e32 v14, v41, v36
	;; [unrolled: 9-line block ×4, first 2 shown]
	v_fma_f32 v16, -v51, v49, v8
	v_fmac_f32_e32 v13, v50, v49
	v_fma_f32 v17, -v53, v49, v9
	v_fmac_f32_e32 v14, v52, v49
	s_andn2_b32 exec_lo, exec_lo, s6
	s_cbranch_execnz .LBB176_7
; %bb.8:
	s_or_b32 exec_lo, exec_lo, s6
.LBB176_9:
	s_or_b32 exec_lo, exec_lo, s3
	s_cbranch_execz .LBB176_11
	s_branch .LBB176_16
.LBB176_10:
                                        ; implicit-def: $vgpr13
                                        ; implicit-def: $vgpr16
                                        ; implicit-def: $vgpr17
                                        ; implicit-def: $vgpr14
.LBB176_11:
	v_mov_b32_e32 v13, 0
	v_mov_b32_e32 v16, 0
	;; [unrolled: 1-line block ×4, first 2 shown]
	s_and_saveexec_b32 s1, s0
	s_cbranch_execz .LBB176_15
; %bb.12:
	v_mad_u64_u32 v[8:9], null, v6, 12, 11
	v_mov_b32_e32 v11, 0
	v_mov_b32_e32 v13, 0
	;; [unrolled: 1-line block ×5, first 2 shown]
	s_mov_b32 s0, 0
.LBB176_13:                             ; =>This Inner Loop Header: Depth=1
	v_ashrrev_i32_e32 v7, 31, v6
	v_add_nc_u32_e32 v18, -5, v8
	v_mov_b32_e32 v19, v11
	v_mov_b32_e32 v35, v11
	v_lshlrev_b64 v[9:10], 2, v[6:7]
	v_add_nc_u32_e32 v6, 64, v6
	v_lshlrev_b64 v[18:19], 3, v[18:19]
	v_add_co_u32 v9, vcc_lo, s10, v9
	v_add_co_ci_u32_e64 v10, null, s11, v10, vcc_lo
	global_load_dword v7, v[9:10], off
	v_add_nc_u32_e32 v10, -11, v8
	v_mov_b32_e32 v9, v11
	v_lshlrev_b64 v[20:21], 3, v[10:11]
	v_add_nc_u32_e32 v10, -4, v8
	v_lshlrev_b64 v[22:23], 3, v[8:9]
	v_lshlrev_b64 v[9:10], 3, v[10:11]
	v_add_co_u32 v24, vcc_lo, s12, v20
	v_add_co_ci_u32_e64 v25, null, s13, v21, vcc_lo
	v_add_co_u32 v26, vcc_lo, s12, v18
	v_add_co_ci_u32_e64 v27, null, s13, v19, vcc_lo
	;; [unrolled: 2-line block ×4, first 2 shown]
	s_clause 0x3
	global_load_dwordx4 v[18:21], v[24:25], off offset:16
	global_load_dwordx4 v[22:25], v[24:25], off
	global_load_dwordx2 v[40:41], v[26:27], off
	global_load_dwordx2 v[42:43], v[9:10], off
	s_waitcnt vmcnt(4)
	v_subrev_nc_u32_e32 v7, s2, v7
	v_mul_lo_u32 v34, v7, 6
	v_lshlrev_b64 v[26:27], 3, v[34:35]
	v_add_nc_u32_e32 v10, 2, v34
	v_lshlrev_b64 v[30:31], 3, v[10:11]
	v_add_co_u32 v26, vcc_lo, s14, v26
	v_add_co_ci_u32_e64 v27, null, s15, v27, vcc_lo
	v_add_nc_u32_e32 v10, -3, v8
	v_add_co_u32 v30, vcc_lo, s14, v30
	global_load_dwordx4 v[26:29], v[26:27], off
	v_add_co_ci_u32_e64 v31, null, s15, v31, vcc_lo
	v_lshlrev_b64 v[32:33], 3, v[10:11]
	v_add_nc_u32_e32 v10, -2, v8
	v_lshlrev_b64 v[35:36], 3, v[10:11]
	v_add_nc_u32_e32 v10, -7, v8
	v_add_co_u32 v44, vcc_lo, s12, v32
	v_add_co_ci_u32_e64 v45, null, s13, v33, vcc_lo
	v_lshlrev_b64 v[46:47], 3, v[10:11]
	v_add_nc_u32_e32 v10, 4, v34
	v_add_co_u32 v34, vcc_lo, s12, v35
	global_load_dwordx4 v[30:33], v[30:31], off
	global_load_dwordx2 v[44:45], v[44:45], off
	v_add_co_ci_u32_e64 v35, null, s13, v36, vcc_lo
	v_add_co_u32 v46, vcc_lo, s12, v46
	v_lshlrev_b64 v[36:37], 3, v[10:11]
	v_add_nc_u32_e32 v10, -1, v8
	v_add_co_ci_u32_e64 v47, null, s13, v47, vcc_lo
	v_add_co_u32 v36, vcc_lo, s14, v36
	s_clause 0x1
	global_load_dwordx2 v[46:47], v[46:47], off
	global_load_dwordx2 v[48:49], v[34:35], off
	v_lshlrev_b64 v[34:35], 3, v[10:11]
	v_add_nc_u32_e32 v10, -6, v8
	v_add_co_ci_u32_e64 v37, null, s15, v37, vcc_lo
	v_add_nc_u32_e32 v8, 0x300, v8
	v_add_co_u32 v50, vcc_lo, s12, v34
	v_add_co_ci_u32_e64 v51, null, s13, v35, vcc_lo
	v_lshlrev_b64 v[9:10], 3, v[10:11]
	global_load_dwordx4 v[34:37], v[36:37], off
	global_load_dwordx2 v[50:51], v[50:51], off
	v_add_co_u32 v9, vcc_lo, s12, v9
	v_add_co_ci_u32_e64 v10, null, s13, v10, vcc_lo
	s_clause 0x1
	global_load_dwordx2 v[9:10], v[9:10], off
	global_load_dwordx2 v[38:39], v[38:39], off
	v_cmp_ge_i32_e32 vcc_lo, v6, v15
	s_or_b32 s0, vcc_lo, s0
	s_waitcnt vmcnt(8)
	v_fmac_f32_e32 v16, v22, v26
	v_fmac_f32_e32 v13, v23, v26
	;; [unrolled: 1-line block ×4, first 2 shown]
	v_fma_f32 v7, -v23, v27, v16
	v_fmac_f32_e32 v13, v22, v27
	v_fma_f32 v12, -v41, v27, v17
	v_fmac_f32_e32 v14, v40, v27
	v_fmac_f32_e32 v7, v24, v28
	;; [unrolled: 1-line block ×5, first 2 shown]
	v_fma_f32 v7, -v25, v29, v7
	v_fmac_f32_e32 v13, v24, v29
	v_fma_f32 v12, -v43, v29, v12
	v_fmac_f32_e32 v14, v42, v29
	s_waitcnt vmcnt(7)
	v_fmac_f32_e32 v7, v18, v30
	v_fmac_f32_e32 v13, v19, v30
	s_waitcnt vmcnt(6)
	v_fmac_f32_e32 v12, v44, v30
	v_fmac_f32_e32 v14, v45, v30
	v_fma_f32 v7, -v19, v31, v7
	v_fmac_f32_e32 v13, v18, v31
	v_fma_f32 v12, -v45, v31, v12
	v_fmac_f32_e32 v14, v44, v31
	v_fmac_f32_e32 v7, v20, v32
	;; [unrolled: 1-line block ×3, first 2 shown]
	s_waitcnt vmcnt(4)
	v_fmac_f32_e32 v12, v48, v32
	v_fmac_f32_e32 v14, v49, v32
	v_fma_f32 v7, -v21, v33, v7
	v_fmac_f32_e32 v13, v20, v33
	v_fma_f32 v12, -v49, v33, v12
	v_fmac_f32_e32 v14, v48, v33
	s_waitcnt vmcnt(3)
	v_fmac_f32_e32 v7, v46, v34
	v_fmac_f32_e32 v13, v47, v34
	s_waitcnt vmcnt(2)
	v_fmac_f32_e32 v12, v50, v34
	v_fmac_f32_e32 v14, v51, v34
	v_fma_f32 v7, -v47, v35, v7
	v_fmac_f32_e32 v13, v46, v35
	v_fma_f32 v12, -v51, v35, v12
	v_fmac_f32_e32 v14, v50, v35
	s_waitcnt vmcnt(1)
	v_fmac_f32_e32 v7, v9, v36
	v_fmac_f32_e32 v13, v10, v36
	s_waitcnt vmcnt(0)
	v_fmac_f32_e32 v12, v38, v36
	v_fmac_f32_e32 v14, v39, v36
	v_fma_f32 v16, -v10, v37, v7
	v_fmac_f32_e32 v13, v9, v37
	v_fma_f32 v17, -v39, v37, v12
	v_fmac_f32_e32 v14, v38, v37
	s_andn2_b32 exec_lo, exec_lo, s0
	s_cbranch_execnz .LBB176_13
; %bb.14:
	s_or_b32 exec_lo, exec_lo, s0
.LBB176_15:
	s_or_b32 exec_lo, exec_lo, s1
.LBB176_16:
	v_mbcnt_lo_u32_b32 v6, -1, 0
	v_or_b32_e32 v7, 32, v6
	v_xor_b32_e32 v11, 16, v6
	v_xor_b32_e32 v15, 8, v6
	v_cmp_gt_i32_e32 vcc_lo, 32, v7
	v_cndmask_b32_e32 v7, v6, v7, vcc_lo
	v_cmp_gt_i32_e32 vcc_lo, 32, v11
	v_lshlrev_b32_e32 v7, 2, v7
	v_cndmask_b32_e32 v11, v6, v11, vcc_lo
	v_cmp_gt_i32_e32 vcc_lo, 32, v15
	ds_bpermute_b32 v8, v7, v16
	ds_bpermute_b32 v9, v7, v13
	ds_bpermute_b32 v10, v7, v17
	ds_bpermute_b32 v7, v7, v14
	v_lshlrev_b32_e32 v11, 2, v11
	v_cndmask_b32_e32 v15, v6, v15, vcc_lo
	v_lshlrev_b32_e32 v15, 2, v15
	s_waitcnt lgkmcnt(3)
	v_add_f32_e32 v8, v16, v8
	s_waitcnt lgkmcnt(2)
	v_add_f32_e32 v9, v13, v9
	;; [unrolled: 2-line block ×4, first 2 shown]
	ds_bpermute_b32 v12, v11, v8
	ds_bpermute_b32 v13, v11, v9
	;; [unrolled: 1-line block ×4, first 2 shown]
	s_waitcnt lgkmcnt(3)
	v_add_f32_e32 v8, v8, v12
	s_waitcnt lgkmcnt(2)
	v_add_f32_e32 v9, v9, v13
	;; [unrolled: 2-line block ×4, first 2 shown]
	ds_bpermute_b32 v11, v15, v8
	ds_bpermute_b32 v12, v15, v9
	;; [unrolled: 1-line block ×4, first 2 shown]
	v_xor_b32_e32 v15, 4, v6
	v_cmp_gt_i32_e32 vcc_lo, 32, v15
	v_cndmask_b32_e32 v15, v6, v15, vcc_lo
	v_lshlrev_b32_e32 v15, 2, v15
	s_waitcnt lgkmcnt(3)
	v_add_f32_e32 v8, v8, v11
	s_waitcnt lgkmcnt(2)
	v_add_f32_e32 v9, v9, v12
	;; [unrolled: 2-line block ×4, first 2 shown]
	ds_bpermute_b32 v11, v15, v8
	ds_bpermute_b32 v12, v15, v9
	;; [unrolled: 1-line block ×4, first 2 shown]
	v_xor_b32_e32 v15, 2, v6
	v_cmp_gt_i32_e32 vcc_lo, 32, v15
	v_cndmask_b32_e32 v15, v6, v15, vcc_lo
	v_lshlrev_b32_e32 v15, 2, v15
	s_waitcnt lgkmcnt(3)
	v_add_f32_e32 v8, v8, v11
	s_waitcnt lgkmcnt(2)
	v_add_f32_e32 v9, v9, v12
	s_waitcnt lgkmcnt(1)
	v_add_f32_e32 v10, v10, v13
	s_waitcnt lgkmcnt(0)
	v_add_f32_e32 v7, v7, v14
	ds_bpermute_b32 v11, v15, v8
	ds_bpermute_b32 v12, v15, v9
	;; [unrolled: 1-line block ×4, first 2 shown]
	v_xor_b32_e32 v15, 1, v6
	v_cmp_gt_i32_e32 vcc_lo, 32, v15
	v_cndmask_b32_e32 v6, v6, v15, vcc_lo
	v_cmp_eq_u32_e32 vcc_lo, 63, v0
	v_lshlrev_b32_e32 v15, 2, v6
	s_waitcnt lgkmcnt(3)
	v_add_f32_e32 v8, v8, v11
	s_waitcnt lgkmcnt(2)
	v_add_f32_e32 v9, v9, v12
	;; [unrolled: 2-line block ×4, first 2 shown]
	ds_bpermute_b32 v12, v15, v8
	ds_bpermute_b32 v13, v15, v9
	;; [unrolled: 1-line block ×4, first 2 shown]
	s_and_b32 exec_lo, exec_lo, vcc_lo
	s_cbranch_execz .LBB176_21
; %bb.17:
	s_load_dwordx2 s[2:3], s[4:5], 0x38
	v_cmp_eq_f32_e32 vcc_lo, 0, v3
	v_cmp_eq_f32_e64 s0, 0, v4
	s_waitcnt lgkmcnt(0)
	v_add_f32_e32 v0, v8, v12
	v_add_f32_e32 v8, v9, v13
	;; [unrolled: 1-line block ×4, first 2 shown]
	s_and_b32 s0, vcc_lo, s0
	s_and_saveexec_b32 s1, s0
	s_xor_b32 s0, exec_lo, s1
	s_cbranch_execz .LBB176_19
; %bb.18:
	v_lshlrev_b32_e32 v3, 1, v5
	v_mul_f32_e64 v9, v8, -v2
	v_mul_f32_e32 v10, v1, v8
	v_mul_f32_e64 v11, v7, -v2
	v_mul_f32_e32 v12, v1, v7
	v_ashrrev_i32_e32 v4, 31, v3
	v_fmac_f32_e32 v9, v1, v0
	v_fmac_f32_e32 v10, v2, v0
	;; [unrolled: 1-line block ×4, first 2 shown]
	v_lshlrev_b64 v[3:4], 3, v[3:4]
                                        ; implicit-def: $vgpr5
                                        ; implicit-def: $vgpr8
                                        ; implicit-def: $vgpr7
                                        ; implicit-def: $vgpr6
	v_add_co_u32 v0, vcc_lo, s2, v3
	v_add_co_ci_u32_e64 v1, null, s3, v4, vcc_lo
                                        ; implicit-def: $vgpr3_vgpr4
	global_store_dwordx4 v[0:1], v[9:12], off
                                        ; implicit-def: $vgpr1_vgpr2
                                        ; implicit-def: $vgpr0
.LBB176_19:
	s_andn2_saveexec_b32 s0, s0
	s_cbranch_execz .LBB176_21
; %bb.20:
	v_lshlrev_b32_e32 v9, 1, v5
	v_mul_f32_e64 v5, v8, -v2
	v_mul_f32_e32 v14, v1, v8
	v_mul_f32_e64 v8, v7, -v2
	v_mul_f32_e32 v16, v1, v7
	v_ashrrev_i32_e32 v10, 31, v9
	v_fmac_f32_e32 v5, v1, v0
	v_fmac_f32_e32 v14, v2, v0
	;; [unrolled: 1-line block ×4, first 2 shown]
	v_lshlrev_b64 v[9:10], 3, v[9:10]
	v_add_co_u32 v17, vcc_lo, s2, v9
	v_add_co_ci_u32_e64 v18, null, s3, v10, vcc_lo
	global_load_dwordx4 v[9:12], v[17:18], off
	s_waitcnt vmcnt(0)
	v_fmac_f32_e32 v5, v3, v9
	v_fmac_f32_e32 v14, v4, v9
	;; [unrolled: 1-line block ×4, first 2 shown]
	v_fma_f32 v13, -v4, v10, v5
	v_fmac_f32_e32 v14, v3, v10
	v_fma_f32 v15, -v4, v12, v8
	v_fmac_f32_e32 v16, v3, v12
	global_store_dwordx4 v[17:18], v[13:16], off
.LBB176_21:
	s_endpgm
	.section	.rodata,"a",@progbits
	.p2align	6, 0x0
	.amdhsa_kernel _ZN9rocsparseL19gebsrmvn_2xn_kernelILj128ELj6ELj64E21rocsparse_complex_numIfEEEvi20rocsparse_direction_NS_24const_host_device_scalarIT2_EEPKiS8_PKS5_SA_S6_PS5_21rocsparse_index_base_b
		.amdhsa_group_segment_fixed_size 0
		.amdhsa_private_segment_fixed_size 0
		.amdhsa_kernarg_size 72
		.amdhsa_user_sgpr_count 6
		.amdhsa_user_sgpr_private_segment_buffer 1
		.amdhsa_user_sgpr_dispatch_ptr 0
		.amdhsa_user_sgpr_queue_ptr 0
		.amdhsa_user_sgpr_kernarg_segment_ptr 1
		.amdhsa_user_sgpr_dispatch_id 0
		.amdhsa_user_sgpr_flat_scratch_init 0
		.amdhsa_user_sgpr_private_segment_size 0
		.amdhsa_wavefront_size32 1
		.amdhsa_uses_dynamic_stack 0
		.amdhsa_system_sgpr_private_segment_wavefront_offset 0
		.amdhsa_system_sgpr_workgroup_id_x 1
		.amdhsa_system_sgpr_workgroup_id_y 0
		.amdhsa_system_sgpr_workgroup_id_z 0
		.amdhsa_system_sgpr_workgroup_info 0
		.amdhsa_system_vgpr_workitem_id 0
		.amdhsa_next_free_vgpr 54
		.amdhsa_next_free_sgpr 16
		.amdhsa_reserve_vcc 1
		.amdhsa_reserve_flat_scratch 0
		.amdhsa_float_round_mode_32 0
		.amdhsa_float_round_mode_16_64 0
		.amdhsa_float_denorm_mode_32 3
		.amdhsa_float_denorm_mode_16_64 3
		.amdhsa_dx10_clamp 1
		.amdhsa_ieee_mode 1
		.amdhsa_fp16_overflow 0
		.amdhsa_workgroup_processor_mode 1
		.amdhsa_memory_ordered 1
		.amdhsa_forward_progress 1
		.amdhsa_shared_vgpr_count 0
		.amdhsa_exception_fp_ieee_invalid_op 0
		.amdhsa_exception_fp_denorm_src 0
		.amdhsa_exception_fp_ieee_div_zero 0
		.amdhsa_exception_fp_ieee_overflow 0
		.amdhsa_exception_fp_ieee_underflow 0
		.amdhsa_exception_fp_ieee_inexact 0
		.amdhsa_exception_int_div_zero 0
	.end_amdhsa_kernel
	.section	.text._ZN9rocsparseL19gebsrmvn_2xn_kernelILj128ELj6ELj64E21rocsparse_complex_numIfEEEvi20rocsparse_direction_NS_24const_host_device_scalarIT2_EEPKiS8_PKS5_SA_S6_PS5_21rocsparse_index_base_b,"axG",@progbits,_ZN9rocsparseL19gebsrmvn_2xn_kernelILj128ELj6ELj64E21rocsparse_complex_numIfEEEvi20rocsparse_direction_NS_24const_host_device_scalarIT2_EEPKiS8_PKS5_SA_S6_PS5_21rocsparse_index_base_b,comdat
.Lfunc_end176:
	.size	_ZN9rocsparseL19gebsrmvn_2xn_kernelILj128ELj6ELj64E21rocsparse_complex_numIfEEEvi20rocsparse_direction_NS_24const_host_device_scalarIT2_EEPKiS8_PKS5_SA_S6_PS5_21rocsparse_index_base_b, .Lfunc_end176-_ZN9rocsparseL19gebsrmvn_2xn_kernelILj128ELj6ELj64E21rocsparse_complex_numIfEEEvi20rocsparse_direction_NS_24const_host_device_scalarIT2_EEPKiS8_PKS5_SA_S6_PS5_21rocsparse_index_base_b
                                        ; -- End function
	.set _ZN9rocsparseL19gebsrmvn_2xn_kernelILj128ELj6ELj64E21rocsparse_complex_numIfEEEvi20rocsparse_direction_NS_24const_host_device_scalarIT2_EEPKiS8_PKS5_SA_S6_PS5_21rocsparse_index_base_b.num_vgpr, 54
	.set _ZN9rocsparseL19gebsrmvn_2xn_kernelILj128ELj6ELj64E21rocsparse_complex_numIfEEEvi20rocsparse_direction_NS_24const_host_device_scalarIT2_EEPKiS8_PKS5_SA_S6_PS5_21rocsparse_index_base_b.num_agpr, 0
	.set _ZN9rocsparseL19gebsrmvn_2xn_kernelILj128ELj6ELj64E21rocsparse_complex_numIfEEEvi20rocsparse_direction_NS_24const_host_device_scalarIT2_EEPKiS8_PKS5_SA_S6_PS5_21rocsparse_index_base_b.numbered_sgpr, 16
	.set _ZN9rocsparseL19gebsrmvn_2xn_kernelILj128ELj6ELj64E21rocsparse_complex_numIfEEEvi20rocsparse_direction_NS_24const_host_device_scalarIT2_EEPKiS8_PKS5_SA_S6_PS5_21rocsparse_index_base_b.num_named_barrier, 0
	.set _ZN9rocsparseL19gebsrmvn_2xn_kernelILj128ELj6ELj64E21rocsparse_complex_numIfEEEvi20rocsparse_direction_NS_24const_host_device_scalarIT2_EEPKiS8_PKS5_SA_S6_PS5_21rocsparse_index_base_b.private_seg_size, 0
	.set _ZN9rocsparseL19gebsrmvn_2xn_kernelILj128ELj6ELj64E21rocsparse_complex_numIfEEEvi20rocsparse_direction_NS_24const_host_device_scalarIT2_EEPKiS8_PKS5_SA_S6_PS5_21rocsparse_index_base_b.uses_vcc, 1
	.set _ZN9rocsparseL19gebsrmvn_2xn_kernelILj128ELj6ELj64E21rocsparse_complex_numIfEEEvi20rocsparse_direction_NS_24const_host_device_scalarIT2_EEPKiS8_PKS5_SA_S6_PS5_21rocsparse_index_base_b.uses_flat_scratch, 0
	.set _ZN9rocsparseL19gebsrmvn_2xn_kernelILj128ELj6ELj64E21rocsparse_complex_numIfEEEvi20rocsparse_direction_NS_24const_host_device_scalarIT2_EEPKiS8_PKS5_SA_S6_PS5_21rocsparse_index_base_b.has_dyn_sized_stack, 0
	.set _ZN9rocsparseL19gebsrmvn_2xn_kernelILj128ELj6ELj64E21rocsparse_complex_numIfEEEvi20rocsparse_direction_NS_24const_host_device_scalarIT2_EEPKiS8_PKS5_SA_S6_PS5_21rocsparse_index_base_b.has_recursion, 0
	.set _ZN9rocsparseL19gebsrmvn_2xn_kernelILj128ELj6ELj64E21rocsparse_complex_numIfEEEvi20rocsparse_direction_NS_24const_host_device_scalarIT2_EEPKiS8_PKS5_SA_S6_PS5_21rocsparse_index_base_b.has_indirect_call, 0
	.section	.AMDGPU.csdata,"",@progbits
; Kernel info:
; codeLenInByte = 2624
; TotalNumSgprs: 18
; NumVgprs: 54
; ScratchSize: 0
; MemoryBound: 0
; FloatMode: 240
; IeeeMode: 1
; LDSByteSize: 0 bytes/workgroup (compile time only)
; SGPRBlocks: 0
; VGPRBlocks: 6
; NumSGPRsForWavesPerEU: 18
; NumVGPRsForWavesPerEU: 54
; Occupancy: 16
; WaveLimiterHint : 1
; COMPUTE_PGM_RSRC2:SCRATCH_EN: 0
; COMPUTE_PGM_RSRC2:USER_SGPR: 6
; COMPUTE_PGM_RSRC2:TRAP_HANDLER: 0
; COMPUTE_PGM_RSRC2:TGID_X_EN: 1
; COMPUTE_PGM_RSRC2:TGID_Y_EN: 0
; COMPUTE_PGM_RSRC2:TGID_Z_EN: 0
; COMPUTE_PGM_RSRC2:TIDIG_COMP_CNT: 0
	.section	.text._ZN9rocsparseL19gebsrmvn_2xn_kernelILj128ELj7ELj4E21rocsparse_complex_numIfEEEvi20rocsparse_direction_NS_24const_host_device_scalarIT2_EEPKiS8_PKS5_SA_S6_PS5_21rocsparse_index_base_b,"axG",@progbits,_ZN9rocsparseL19gebsrmvn_2xn_kernelILj128ELj7ELj4E21rocsparse_complex_numIfEEEvi20rocsparse_direction_NS_24const_host_device_scalarIT2_EEPKiS8_PKS5_SA_S6_PS5_21rocsparse_index_base_b,comdat
	.globl	_ZN9rocsparseL19gebsrmvn_2xn_kernelILj128ELj7ELj4E21rocsparse_complex_numIfEEEvi20rocsparse_direction_NS_24const_host_device_scalarIT2_EEPKiS8_PKS5_SA_S6_PS5_21rocsparse_index_base_b ; -- Begin function _ZN9rocsparseL19gebsrmvn_2xn_kernelILj128ELj7ELj4E21rocsparse_complex_numIfEEEvi20rocsparse_direction_NS_24const_host_device_scalarIT2_EEPKiS8_PKS5_SA_S6_PS5_21rocsparse_index_base_b
	.p2align	8
	.type	_ZN9rocsparseL19gebsrmvn_2xn_kernelILj128ELj7ELj4E21rocsparse_complex_numIfEEEvi20rocsparse_direction_NS_24const_host_device_scalarIT2_EEPKiS8_PKS5_SA_S6_PS5_21rocsparse_index_base_b,@function
_ZN9rocsparseL19gebsrmvn_2xn_kernelILj128ELj7ELj4E21rocsparse_complex_numIfEEEvi20rocsparse_direction_NS_24const_host_device_scalarIT2_EEPKiS8_PKS5_SA_S6_PS5_21rocsparse_index_base_b: ; @_ZN9rocsparseL19gebsrmvn_2xn_kernelILj128ELj7ELj4E21rocsparse_complex_numIfEEEvi20rocsparse_direction_NS_24const_host_device_scalarIT2_EEPKiS8_PKS5_SA_S6_PS5_21rocsparse_index_base_b
; %bb.0:
	s_clause 0x2
	s_load_dwordx2 s[2:3], s[4:5], 0x40
	s_load_dwordx2 s[0:1], s[4:5], 0x8
	;; [unrolled: 1-line block ×3, first 2 shown]
	s_add_u32 s7, s4, 8
	s_addc_u32 s10, s5, 0
	s_add_u32 s11, s4, 48
	s_addc_u32 s12, s5, 0
	s_waitcnt lgkmcnt(0)
	s_bitcmp1_b32 s3, 0
	s_cselect_b32 s0, s7, s0
	s_cselect_b32 s1, s10, s1
	v_mov_b32_e32 v1, s0
	v_mov_b32_e32 v2, s1
	s_cselect_b32 s0, s11, s8
	s_cselect_b32 s1, s12, s9
	v_mov_b32_e32 v3, s0
	v_mov_b32_e32 v4, s1
	flat_load_dwordx2 v[1:2], v[1:2]
	flat_load_dwordx2 v[3:4], v[3:4]
	s_waitcnt vmcnt(1) lgkmcnt(1)
	v_cmp_eq_f32_e32 vcc_lo, 0, v1
	v_cmp_eq_f32_e64 s0, 0, v2
	s_and_b32 s3, vcc_lo, s0
	s_mov_b32 s0, -1
	s_and_saveexec_b32 s1, s3
	s_cbranch_execz .LBB177_2
; %bb.1:
	s_waitcnt vmcnt(0) lgkmcnt(0)
	v_cmp_neq_f32_e32 vcc_lo, 1.0, v3
	v_cmp_neq_f32_e64 s0, 0, v4
	s_or_b32 s0, vcc_lo, s0
	s_orn2_b32 s0, s0, exec_lo
.LBB177_2:
	s_or_b32 exec_lo, exec_lo, s1
	s_and_saveexec_b32 s1, s0
	s_cbranch_execz .LBB177_21
; %bb.3:
	s_load_dwordx2 s[0:1], s[4:5], 0x0
	v_lshrrev_b32_e32 v5, 2, v0
	v_lshl_or_b32 v5, s6, 5, v5
	s_waitcnt lgkmcnt(0)
	v_cmp_gt_i32_e32 vcc_lo, s0, v5
	s_and_b32 exec_lo, exec_lo, vcc_lo
	s_cbranch_execz .LBB177_21
; %bb.4:
	s_load_dwordx8 s[8:15], s[4:5], 0x10
	v_ashrrev_i32_e32 v6, 31, v5
	v_and_b32_e32 v0, 3, v0
	s_cmp_lg_u32 s1, 0
	v_lshlrev_b64 v[6:7], 2, v[5:6]
	s_waitcnt lgkmcnt(0)
	v_add_co_u32 v6, vcc_lo, s8, v6
	v_add_co_ci_u32_e64 v7, null, s9, v7, vcc_lo
	global_load_dwordx2 v[6:7], v[6:7], off
	s_waitcnt vmcnt(0)
	v_subrev_nc_u32_e32 v6, s2, v6
	v_subrev_nc_u32_e32 v15, s2, v7
	v_add_nc_u32_e32 v6, v6, v0
	v_cmp_lt_i32_e64 s0, v6, v15
	s_cbranch_scc0 .LBB177_10
; %bb.5:
	v_mov_b32_e32 v13, 0
	v_mov_b32_e32 v16, 0
	;; [unrolled: 1-line block ×4, first 2 shown]
	s_and_saveexec_b32 s1, s0
	s_cbranch_execz .LBB177_9
; %bb.6:
	v_mad_u64_u32 v[7:8], null, v6, 14, 12
	v_mov_b32_e32 v10, 0
	v_mov_b32_e32 v11, v6
	;; [unrolled: 1-line block ×6, first 2 shown]
	s_mov_b32 s3, 0
.LBB177_7:                              ; =>This Inner Loop Header: Depth=1
	v_ashrrev_i32_e32 v12, 31, v11
	v_mov_b32_e32 v39, v10
	v_lshlrev_b64 v[8:9], 2, v[11:12]
	v_add_nc_u32_e32 v11, 4, v11
	v_add_co_u32 v8, vcc_lo, s10, v8
	v_add_co_ci_u32_e64 v9, null, s11, v9, vcc_lo
	global_load_dword v12, v[8:9], off
	v_add_nc_u32_e32 v9, -12, v7
	v_mov_b32_e32 v8, v10
	v_lshlrev_b64 v[18:19], 3, v[9:10]
	v_add_nc_u32_e32 v9, -10, v7
	v_lshlrev_b64 v[20:21], 3, v[7:8]
	v_lshlrev_b64 v[8:9], 3, v[9:10]
	v_add_co_u32 v18, vcc_lo, s12, v18
	v_add_co_ci_u32_e64 v19, null, s13, v19, vcc_lo
	v_add_co_u32 v42, vcc_lo, s12, v20
	v_add_co_ci_u32_e64 v43, null, s13, v21, vcc_lo
	;; [unrolled: 2-line block ×3, first 2 shown]
	s_clause 0x1
	global_load_dwordx4 v[18:21], v[18:19], off
	global_load_dwordx4 v[22:25], v[8:9], off
	s_waitcnt vmcnt(2)
	v_subrev_nc_u32_e32 v8, s2, v12
	v_mul_lo_u32 v38, v8, 7
	v_lshlrev_b64 v[26:27], 3, v[38:39]
	v_add_nc_u32_e32 v9, 1, v38
	v_lshlrev_b64 v[28:29], 3, v[9:10]
	v_add_co_u32 v26, vcc_lo, s14, v26
	v_add_co_ci_u32_e64 v27, null, s15, v27, vcc_lo
	v_add_nc_u32_e32 v9, -8, v7
	v_add_co_u32 v28, vcc_lo, s14, v28
	global_load_dwordx2 v[46:47], v[26:27], off
	v_add_co_ci_u32_e64 v29, null, s15, v29, vcc_lo
	v_lshlrev_b64 v[30:31], 3, v[9:10]
	v_add_nc_u32_e32 v9, 2, v38
	global_load_dwordx2 v[48:49], v[28:29], off
	v_lshlrev_b64 v[26:27], 3, v[9:10]
	v_add_nc_u32_e32 v9, -6, v7
	v_add_co_u32 v28, vcc_lo, s12, v30
	v_add_co_ci_u32_e64 v29, null, s13, v31, vcc_lo
	v_lshlrev_b64 v[30:31], 3, v[9:10]
	v_add_nc_u32_e32 v9, 3, v38
	v_add_co_u32 v32, vcc_lo, s14, v26
	v_add_co_ci_u32_e64 v33, null, s15, v27, vcc_lo
	v_lshlrev_b64 v[34:35], 3, v[9:10]
	v_add_nc_u32_e32 v9, -4, v7
	global_load_dwordx4 v[26:29], v[28:29], off
	global_load_dwordx2 v[50:51], v[32:33], off
	v_add_co_u32 v30, vcc_lo, s12, v30
	v_lshlrev_b64 v[36:37], 3, v[9:10]
	v_add_nc_u32_e32 v9, 4, v38
	v_add_co_ci_u32_e64 v31, null, s13, v31, vcc_lo
	v_add_co_u32 v34, vcc_lo, s14, v34
	v_add_co_ci_u32_e64 v35, null, s15, v35, vcc_lo
	v_lshlrev_b64 v[39:40], 3, v[9:10]
	v_add_nc_u32_e32 v9, -2, v7
	v_add_nc_u32_e32 v7, 56, v7
	global_load_dwordx2 v[52:53], v[34:35], off
	global_load_dwordx4 v[30:33], v[30:31], off
	v_add_co_u32 v34, vcc_lo, s12, v36
	v_add_co_ci_u32_e64 v35, null, s13, v37, vcc_lo
	v_lshlrev_b64 v[44:45], 3, v[9:10]
	v_add_nc_u32_e32 v9, 5, v38
	v_add_co_u32 v39, vcc_lo, s14, v39
	v_add_co_ci_u32_e64 v40, null, s15, v40, vcc_lo
	v_lshlrev_b64 v[54:55], 3, v[9:10]
	global_load_dwordx4 v[34:37], v[34:35], off
	v_add_nc_u32_e32 v9, 6, v38
	global_load_dwordx2 v[56:57], v[39:40], off
	v_add_co_u32 v38, vcc_lo, s12, v44
	v_add_co_ci_u32_e64 v39, null, s13, v45, vcc_lo
	v_add_co_u32 v44, vcc_lo, s14, v54
	v_add_co_ci_u32_e64 v45, null, s15, v55, vcc_lo
	v_lshlrev_b64 v[8:9], 3, v[9:10]
	global_load_dwordx4 v[38:41], v[38:39], off
	global_load_dwordx2 v[54:55], v[44:45], off
	v_add_co_u32 v8, vcc_lo, s14, v8
	v_add_co_ci_u32_e64 v9, null, s15, v9, vcc_lo
	global_load_dwordx4 v[42:45], v[42:43], off
	global_load_dwordx2 v[8:9], v[8:9], off
	v_cmp_ge_i32_e32 vcc_lo, v11, v15
	s_or_b32 s3, vcc_lo, s3
	s_waitcnt vmcnt(11)
	v_fmac_f32_e32 v16, v18, v46
	v_fmac_f32_e32 v13, v19, v46
	v_fmac_f32_e32 v17, v20, v46
	v_fmac_f32_e32 v14, v21, v46
	v_fma_f32 v12, -v19, v47, v16
	v_fmac_f32_e32 v13, v18, v47
	v_fma_f32 v16, -v21, v47, v17
	v_fmac_f32_e32 v14, v20, v47
	s_waitcnt vmcnt(10)
	v_fmac_f32_e32 v12, v22, v48
	v_fmac_f32_e32 v13, v23, v48
	v_fmac_f32_e32 v16, v24, v48
	v_fmac_f32_e32 v14, v25, v48
	v_fma_f32 v12, -v23, v49, v12
	v_fmac_f32_e32 v13, v22, v49
	v_fma_f32 v16, -v25, v49, v16
	v_fmac_f32_e32 v14, v24, v49
	;; [unrolled: 9-line block ×7, first 2 shown]
	s_andn2_b32 exec_lo, exec_lo, s3
	s_cbranch_execnz .LBB177_7
; %bb.8:
	s_or_b32 exec_lo, exec_lo, s3
.LBB177_9:
	s_or_b32 exec_lo, exec_lo, s1
	s_cbranch_execz .LBB177_11
	s_branch .LBB177_16
.LBB177_10:
                                        ; implicit-def: $vgpr13
                                        ; implicit-def: $vgpr16
                                        ; implicit-def: $vgpr17
                                        ; implicit-def: $vgpr14
.LBB177_11:
	v_mov_b32_e32 v13, 0
	v_mov_b32_e32 v16, 0
	;; [unrolled: 1-line block ×4, first 2 shown]
	s_and_saveexec_b32 s1, s0
	s_cbranch_execz .LBB177_15
; %bb.12:
	v_mad_u64_u32 v[8:9], null, v6, 14, 13
	v_mov_b32_e32 v11, 0
	v_mov_b32_e32 v13, 0
	;; [unrolled: 1-line block ×5, first 2 shown]
	s_mov_b32 s0, 0
.LBB177_13:                             ; =>This Inner Loop Header: Depth=1
	v_ashrrev_i32_e32 v7, 31, v6
	v_add_nc_u32_e32 v18, -6, v8
	v_mov_b32_e32 v19, v11
	v_mov_b32_e32 v23, v11
	v_lshlrev_b64 v[9:10], 2, v[6:7]
	v_add_nc_u32_e32 v6, 4, v6
	v_lshlrev_b64 v[18:19], 3, v[18:19]
	v_add_co_u32 v9, vcc_lo, s10, v9
	v_add_co_ci_u32_e64 v10, null, s11, v10, vcc_lo
	global_load_dword v7, v[9:10], off
	v_add_nc_u32_e32 v10, -13, v8
	v_mov_b32_e32 v9, v11
	v_lshlrev_b64 v[20:21], 3, v[10:11]
	v_lshlrev_b64 v[9:10], 3, v[8:9]
	v_add_co_u32 v20, vcc_lo, s12, v20
	v_add_co_ci_u32_e64 v21, null, s13, v21, vcc_lo
	v_add_co_u32 v24, vcc_lo, s12, v18
	v_add_co_ci_u32_e64 v25, null, s13, v19, vcc_lo
	;; [unrolled: 2-line block ×3, first 2 shown]
	s_clause 0x2
	global_load_dwordx4 v[18:21], v[20:21], off
	global_load_dwordx2 v[24:25], v[24:25], off
	global_load_dwordx2 v[26:27], v[9:10], off
	s_waitcnt vmcnt(3)
	v_subrev_nc_u32_e32 v7, s2, v7
	v_mul_lo_u32 v22, v7, 7
	v_add_nc_u32_e32 v10, 1, v22
	v_lshlrev_b64 v[28:29], 3, v[22:23]
	v_lshlrev_b64 v[30:31], 3, v[10:11]
	v_add_nc_u32_e32 v10, -5, v8
	v_add_co_u32 v28, vcc_lo, s14, v28
	v_add_co_ci_u32_e64 v29, null, s15, v29, vcc_lo
	v_lshlrev_b64 v[32:33], 3, v[10:11]
	v_add_nc_u32_e32 v10, -11, v8
	v_add_co_u32 v30, vcc_lo, s14, v30
	global_load_dwordx2 v[28:29], v[28:29], off
	v_add_co_ci_u32_e64 v31, null, s15, v31, vcc_lo
	v_lshlrev_b64 v[34:35], 3, v[10:11]
	v_add_nc_u32_e32 v10, 2, v22
	v_add_co_u32 v32, vcc_lo, s12, v32
	v_add_co_ci_u32_e64 v33, null, s13, v33, vcc_lo
	v_lshlrev_b64 v[36:37], 3, v[10:11]
	v_add_nc_u32_e32 v10, -4, v8
	v_add_co_u32 v34, vcc_lo, s12, v34
	global_load_dwordx2 v[30:31], v[30:31], off
	global_load_dwordx2 v[32:33], v[32:33], off
	v_lshlrev_b64 v[38:39], 3, v[10:11]
	v_add_nc_u32_e32 v10, -10, v8
	v_add_co_ci_u32_e64 v35, null, s13, v35, vcc_lo
	v_add_co_u32 v36, vcc_lo, s14, v36
	v_lshlrev_b64 v[40:41], 3, v[10:11]
	v_add_nc_u32_e32 v10, 3, v22
	v_add_co_ci_u32_e64 v37, null, s15, v37, vcc_lo
	v_add_co_u32 v38, vcc_lo, s12, v38
	v_lshlrev_b64 v[42:43], 3, v[10:11]
	v_add_nc_u32_e32 v10, -3, v8
	v_add_co_ci_u32_e64 v39, null, s13, v39, vcc_lo
	v_add_co_u32 v40, vcc_lo, s12, v40
	v_lshlrev_b64 v[44:45], 3, v[10:11]
	v_add_nc_u32_e32 v10, -9, v8
	global_load_dwordx2 v[34:35], v[34:35], off
	global_load_dwordx2 v[36:37], v[36:37], off
	;; [unrolled: 1-line block ×3, first 2 shown]
	v_add_co_ci_u32_e64 v41, null, s13, v41, vcc_lo
	v_lshlrev_b64 v[46:47], 3, v[10:11]
	v_add_nc_u32_e32 v10, 4, v22
	v_add_co_u32 v42, vcc_lo, s14, v42
	v_add_co_ci_u32_e64 v43, null, s15, v43, vcc_lo
	v_lshlrev_b64 v[48:49], 3, v[10:11]
	v_add_nc_u32_e32 v10, -2, v8
	v_add_co_u32 v44, vcc_lo, s12, v44
	v_add_co_ci_u32_e64 v45, null, s13, v45, vcc_lo
	v_lshlrev_b64 v[50:51], 3, v[10:11]
	v_add_nc_u32_e32 v10, -8, v8
	v_add_co_u32 v46, vcc_lo, s12, v46
	global_load_dwordx2 v[40:41], v[40:41], off
	global_load_dwordx2 v[42:43], v[42:43], off
	v_lshlrev_b64 v[52:53], 3, v[10:11]
	v_add_nc_u32_e32 v10, 5, v22
	global_load_dwordx2 v[44:45], v[44:45], off
	v_add_co_ci_u32_e64 v47, null, s13, v47, vcc_lo
	v_add_co_u32 v48, vcc_lo, s14, v48
	v_lshlrev_b64 v[54:55], 3, v[10:11]
	v_add_nc_u32_e32 v10, -1, v8
	v_add_co_ci_u32_e64 v49, null, s15, v49, vcc_lo
	v_add_co_u32 v50, vcc_lo, s12, v50
	v_add_co_ci_u32_e64 v51, null, s13, v51, vcc_lo
	v_lshlrev_b64 v[56:57], 3, v[10:11]
	v_add_nc_u32_e32 v10, -7, v8
	v_add_co_u32 v52, vcc_lo, s12, v52
	global_load_dwordx2 v[46:47], v[46:47], off
	global_load_dwordx2 v[48:49], v[48:49], off
	;; [unrolled: 1-line block ×3, first 2 shown]
	v_add_co_ci_u32_e64 v53, null, s13, v53, vcc_lo
	v_add_co_u32 v54, vcc_lo, s14, v54
	v_add_co_ci_u32_e64 v55, null, s15, v55, vcc_lo
	v_lshlrev_b64 v[58:59], 3, v[10:11]
	v_add_nc_u32_e32 v10, 6, v22
	v_add_co_u32 v22, vcc_lo, s12, v56
	v_add_co_ci_u32_e64 v23, null, s13, v57, vcc_lo
	v_lshlrev_b64 v[9:10], 3, v[10:11]
	global_load_dwordx2 v[52:53], v[52:53], off
	global_load_dwordx2 v[54:55], v[54:55], off
	;; [unrolled: 1-line block ×3, first 2 shown]
	v_add_co_u32 v56, vcc_lo, s12, v58
	v_add_co_ci_u32_e64 v57, null, s13, v59, vcc_lo
	v_add_co_u32 v9, vcc_lo, s14, v9
	v_add_co_ci_u32_e64 v10, null, s15, v10, vcc_lo
	global_load_dwordx2 v[56:57], v[56:57], off
	global_load_dwordx2 v[9:10], v[9:10], off
	v_cmp_ge_i32_e32 vcc_lo, v6, v15
	v_add_nc_u32_e32 v8, 56, v8
	s_or_b32 s0, vcc_lo, s0
	s_waitcnt vmcnt(16)
	v_fmac_f32_e32 v16, v18, v28
	v_fmac_f32_e32 v13, v19, v28
	;; [unrolled: 1-line block ×4, first 2 shown]
	v_fma_f32 v7, -v19, v29, v16
	v_fmac_f32_e32 v13, v18, v29
	v_fma_f32 v12, -v25, v29, v17
	v_fmac_f32_e32 v14, v24, v29
	s_waitcnt vmcnt(15)
	v_fmac_f32_e32 v7, v20, v30
	v_fmac_f32_e32 v13, v21, v30
	s_waitcnt vmcnt(14)
	v_fmac_f32_e32 v12, v32, v30
	v_fmac_f32_e32 v14, v33, v30
	v_fma_f32 v7, -v21, v31, v7
	v_fmac_f32_e32 v13, v20, v31
	v_fma_f32 v12, -v33, v31, v12
	v_fmac_f32_e32 v14, v32, v31
	s_waitcnt vmcnt(12)
	v_fmac_f32_e32 v7, v34, v36
	v_fmac_f32_e32 v13, v35, v36
	s_waitcnt vmcnt(11)
	v_fmac_f32_e32 v12, v38, v36
	v_fmac_f32_e32 v14, v39, v36
	;; [unrolled: 10-line block ×5, first 2 shown]
	v_fma_f32 v7, -v53, v55, v7
	v_fmac_f32_e32 v13, v52, v55
	v_fma_f32 v12, -v23, v55, v12
	v_fmac_f32_e32 v14, v22, v55
	s_waitcnt vmcnt(0)
	v_fmac_f32_e32 v7, v56, v9
	v_fmac_f32_e32 v13, v57, v9
	;; [unrolled: 1-line block ×4, first 2 shown]
	v_fma_f32 v16, -v57, v10, v7
	v_fmac_f32_e32 v13, v56, v10
	v_fma_f32 v17, -v27, v10, v12
	v_fmac_f32_e32 v14, v26, v10
	s_andn2_b32 exec_lo, exec_lo, s0
	s_cbranch_execnz .LBB177_13
; %bb.14:
	s_or_b32 exec_lo, exec_lo, s0
.LBB177_15:
	s_or_b32 exec_lo, exec_lo, s1
.LBB177_16:
	v_mbcnt_lo_u32_b32 v6, -1, 0
	v_xor_b32_e32 v7, 2, v6
	v_xor_b32_e32 v11, 1, v6
	v_cmp_gt_i32_e32 vcc_lo, 32, v7
	v_cndmask_b32_e32 v7, v6, v7, vcc_lo
	v_cmp_gt_i32_e32 vcc_lo, 32, v11
	v_lshlrev_b32_e32 v7, 2, v7
	v_cndmask_b32_e32 v6, v6, v11, vcc_lo
	v_cmp_eq_u32_e32 vcc_lo, 3, v0
	ds_bpermute_b32 v8, v7, v16
	ds_bpermute_b32 v9, v7, v13
	ds_bpermute_b32 v10, v7, v17
	ds_bpermute_b32 v7, v7, v14
	v_lshlrev_b32_e32 v11, 2, v6
	s_waitcnt lgkmcnt(3)
	v_add_f32_e32 v8, v16, v8
	s_waitcnt lgkmcnt(2)
	v_add_f32_e32 v9, v13, v9
	;; [unrolled: 2-line block ×4, first 2 shown]
	ds_bpermute_b32 v12, v11, v8
	ds_bpermute_b32 v13, v11, v9
	ds_bpermute_b32 v10, v11, v6
	ds_bpermute_b32 v11, v11, v7
	s_and_b32 exec_lo, exec_lo, vcc_lo
	s_cbranch_execz .LBB177_21
; %bb.17:
	s_load_dwordx2 s[2:3], s[4:5], 0x38
	v_cmp_eq_f32_e32 vcc_lo, 0, v3
	v_cmp_eq_f32_e64 s0, 0, v4
	s_waitcnt lgkmcnt(0)
	v_add_f32_e32 v0, v8, v12
	v_add_f32_e32 v8, v9, v13
	;; [unrolled: 1-line block ×4, first 2 shown]
	s_and_b32 s0, vcc_lo, s0
	s_and_saveexec_b32 s1, s0
	s_xor_b32 s0, exec_lo, s1
	s_cbranch_execz .LBB177_19
; %bb.18:
	v_lshlrev_b32_e32 v3, 1, v5
	v_mul_f32_e64 v9, v8, -v2
	v_mul_f32_e32 v10, v1, v8
	v_mul_f32_e64 v11, v7, -v2
	v_mul_f32_e32 v12, v1, v7
	v_ashrrev_i32_e32 v4, 31, v3
	v_fmac_f32_e32 v9, v1, v0
	v_fmac_f32_e32 v10, v2, v0
	v_fmac_f32_e32 v11, v1, v6
	v_fmac_f32_e32 v12, v2, v6
	v_lshlrev_b64 v[3:4], 3, v[3:4]
                                        ; implicit-def: $vgpr5
                                        ; implicit-def: $vgpr8
                                        ; implicit-def: $vgpr7
                                        ; implicit-def: $vgpr6
	v_add_co_u32 v0, vcc_lo, s2, v3
	v_add_co_ci_u32_e64 v1, null, s3, v4, vcc_lo
                                        ; implicit-def: $vgpr3_vgpr4
	global_store_dwordx4 v[0:1], v[9:12], off
                                        ; implicit-def: $vgpr1_vgpr2
                                        ; implicit-def: $vgpr0
.LBB177_19:
	s_andn2_saveexec_b32 s0, s0
	s_cbranch_execz .LBB177_21
; %bb.20:
	v_lshlrev_b32_e32 v9, 1, v5
	v_mul_f32_e64 v5, v8, -v2
	v_mul_f32_e32 v14, v1, v8
	v_mul_f32_e64 v8, v7, -v2
	v_mul_f32_e32 v16, v1, v7
	v_ashrrev_i32_e32 v10, 31, v9
	v_fmac_f32_e32 v5, v1, v0
	v_fmac_f32_e32 v14, v2, v0
	;; [unrolled: 1-line block ×4, first 2 shown]
	v_lshlrev_b64 v[9:10], 3, v[9:10]
	v_add_co_u32 v17, vcc_lo, s2, v9
	v_add_co_ci_u32_e64 v18, null, s3, v10, vcc_lo
	global_load_dwordx4 v[9:12], v[17:18], off
	s_waitcnt vmcnt(0)
	v_fmac_f32_e32 v5, v3, v9
	v_fmac_f32_e32 v14, v4, v9
	;; [unrolled: 1-line block ×4, first 2 shown]
	v_fma_f32 v13, -v4, v10, v5
	v_fmac_f32_e32 v14, v3, v10
	v_fma_f32 v15, -v4, v12, v8
	v_fmac_f32_e32 v16, v3, v12
	global_store_dwordx4 v[17:18], v[13:16], off
.LBB177_21:
	s_endpgm
	.section	.rodata,"a",@progbits
	.p2align	6, 0x0
	.amdhsa_kernel _ZN9rocsparseL19gebsrmvn_2xn_kernelILj128ELj7ELj4E21rocsparse_complex_numIfEEEvi20rocsparse_direction_NS_24const_host_device_scalarIT2_EEPKiS8_PKS5_SA_S6_PS5_21rocsparse_index_base_b
		.amdhsa_group_segment_fixed_size 0
		.amdhsa_private_segment_fixed_size 0
		.amdhsa_kernarg_size 72
		.amdhsa_user_sgpr_count 6
		.amdhsa_user_sgpr_private_segment_buffer 1
		.amdhsa_user_sgpr_dispatch_ptr 0
		.amdhsa_user_sgpr_queue_ptr 0
		.amdhsa_user_sgpr_kernarg_segment_ptr 1
		.amdhsa_user_sgpr_dispatch_id 0
		.amdhsa_user_sgpr_flat_scratch_init 0
		.amdhsa_user_sgpr_private_segment_size 0
		.amdhsa_wavefront_size32 1
		.amdhsa_uses_dynamic_stack 0
		.amdhsa_system_sgpr_private_segment_wavefront_offset 0
		.amdhsa_system_sgpr_workgroup_id_x 1
		.amdhsa_system_sgpr_workgroup_id_y 0
		.amdhsa_system_sgpr_workgroup_id_z 0
		.amdhsa_system_sgpr_workgroup_info 0
		.amdhsa_system_vgpr_workitem_id 0
		.amdhsa_next_free_vgpr 60
		.amdhsa_next_free_sgpr 16
		.amdhsa_reserve_vcc 1
		.amdhsa_reserve_flat_scratch 0
		.amdhsa_float_round_mode_32 0
		.amdhsa_float_round_mode_16_64 0
		.amdhsa_float_denorm_mode_32 3
		.amdhsa_float_denorm_mode_16_64 3
		.amdhsa_dx10_clamp 1
		.amdhsa_ieee_mode 1
		.amdhsa_fp16_overflow 0
		.amdhsa_workgroup_processor_mode 1
		.amdhsa_memory_ordered 1
		.amdhsa_forward_progress 1
		.amdhsa_shared_vgpr_count 0
		.amdhsa_exception_fp_ieee_invalid_op 0
		.amdhsa_exception_fp_denorm_src 0
		.amdhsa_exception_fp_ieee_div_zero 0
		.amdhsa_exception_fp_ieee_overflow 0
		.amdhsa_exception_fp_ieee_underflow 0
		.amdhsa_exception_fp_ieee_inexact 0
		.amdhsa_exception_int_div_zero 0
	.end_amdhsa_kernel
	.section	.text._ZN9rocsparseL19gebsrmvn_2xn_kernelILj128ELj7ELj4E21rocsparse_complex_numIfEEEvi20rocsparse_direction_NS_24const_host_device_scalarIT2_EEPKiS8_PKS5_SA_S6_PS5_21rocsparse_index_base_b,"axG",@progbits,_ZN9rocsparseL19gebsrmvn_2xn_kernelILj128ELj7ELj4E21rocsparse_complex_numIfEEEvi20rocsparse_direction_NS_24const_host_device_scalarIT2_EEPKiS8_PKS5_SA_S6_PS5_21rocsparse_index_base_b,comdat
.Lfunc_end177:
	.size	_ZN9rocsparseL19gebsrmvn_2xn_kernelILj128ELj7ELj4E21rocsparse_complex_numIfEEEvi20rocsparse_direction_NS_24const_host_device_scalarIT2_EEPKiS8_PKS5_SA_S6_PS5_21rocsparse_index_base_b, .Lfunc_end177-_ZN9rocsparseL19gebsrmvn_2xn_kernelILj128ELj7ELj4E21rocsparse_complex_numIfEEEvi20rocsparse_direction_NS_24const_host_device_scalarIT2_EEPKiS8_PKS5_SA_S6_PS5_21rocsparse_index_base_b
                                        ; -- End function
	.set _ZN9rocsparseL19gebsrmvn_2xn_kernelILj128ELj7ELj4E21rocsparse_complex_numIfEEEvi20rocsparse_direction_NS_24const_host_device_scalarIT2_EEPKiS8_PKS5_SA_S6_PS5_21rocsparse_index_base_b.num_vgpr, 60
	.set _ZN9rocsparseL19gebsrmvn_2xn_kernelILj128ELj7ELj4E21rocsparse_complex_numIfEEEvi20rocsparse_direction_NS_24const_host_device_scalarIT2_EEPKiS8_PKS5_SA_S6_PS5_21rocsparse_index_base_b.num_agpr, 0
	.set _ZN9rocsparseL19gebsrmvn_2xn_kernelILj128ELj7ELj4E21rocsparse_complex_numIfEEEvi20rocsparse_direction_NS_24const_host_device_scalarIT2_EEPKiS8_PKS5_SA_S6_PS5_21rocsparse_index_base_b.numbered_sgpr, 16
	.set _ZN9rocsparseL19gebsrmvn_2xn_kernelILj128ELj7ELj4E21rocsparse_complex_numIfEEEvi20rocsparse_direction_NS_24const_host_device_scalarIT2_EEPKiS8_PKS5_SA_S6_PS5_21rocsparse_index_base_b.num_named_barrier, 0
	.set _ZN9rocsparseL19gebsrmvn_2xn_kernelILj128ELj7ELj4E21rocsparse_complex_numIfEEEvi20rocsparse_direction_NS_24const_host_device_scalarIT2_EEPKiS8_PKS5_SA_S6_PS5_21rocsparse_index_base_b.private_seg_size, 0
	.set _ZN9rocsparseL19gebsrmvn_2xn_kernelILj128ELj7ELj4E21rocsparse_complex_numIfEEEvi20rocsparse_direction_NS_24const_host_device_scalarIT2_EEPKiS8_PKS5_SA_S6_PS5_21rocsparse_index_base_b.uses_vcc, 1
	.set _ZN9rocsparseL19gebsrmvn_2xn_kernelILj128ELj7ELj4E21rocsparse_complex_numIfEEEvi20rocsparse_direction_NS_24const_host_device_scalarIT2_EEPKiS8_PKS5_SA_S6_PS5_21rocsparse_index_base_b.uses_flat_scratch, 0
	.set _ZN9rocsparseL19gebsrmvn_2xn_kernelILj128ELj7ELj4E21rocsparse_complex_numIfEEEvi20rocsparse_direction_NS_24const_host_device_scalarIT2_EEPKiS8_PKS5_SA_S6_PS5_21rocsparse_index_base_b.has_dyn_sized_stack, 0
	.set _ZN9rocsparseL19gebsrmvn_2xn_kernelILj128ELj7ELj4E21rocsparse_complex_numIfEEEvi20rocsparse_direction_NS_24const_host_device_scalarIT2_EEPKiS8_PKS5_SA_S6_PS5_21rocsparse_index_base_b.has_recursion, 0
	.set _ZN9rocsparseL19gebsrmvn_2xn_kernelILj128ELj7ELj4E21rocsparse_complex_numIfEEEvi20rocsparse_direction_NS_24const_host_device_scalarIT2_EEPKiS8_PKS5_SA_S6_PS5_21rocsparse_index_base_b.has_indirect_call, 0
	.section	.AMDGPU.csdata,"",@progbits
; Kernel info:
; codeLenInByte = 2880
; TotalNumSgprs: 18
; NumVgprs: 60
; ScratchSize: 0
; MemoryBound: 0
; FloatMode: 240
; IeeeMode: 1
; LDSByteSize: 0 bytes/workgroup (compile time only)
; SGPRBlocks: 0
; VGPRBlocks: 7
; NumSGPRsForWavesPerEU: 18
; NumVGPRsForWavesPerEU: 60
; Occupancy: 16
; WaveLimiterHint : 1
; COMPUTE_PGM_RSRC2:SCRATCH_EN: 0
; COMPUTE_PGM_RSRC2:USER_SGPR: 6
; COMPUTE_PGM_RSRC2:TRAP_HANDLER: 0
; COMPUTE_PGM_RSRC2:TGID_X_EN: 1
; COMPUTE_PGM_RSRC2:TGID_Y_EN: 0
; COMPUTE_PGM_RSRC2:TGID_Z_EN: 0
; COMPUTE_PGM_RSRC2:TIDIG_COMP_CNT: 0
	.section	.text._ZN9rocsparseL19gebsrmvn_2xn_kernelILj128ELj7ELj8E21rocsparse_complex_numIfEEEvi20rocsparse_direction_NS_24const_host_device_scalarIT2_EEPKiS8_PKS5_SA_S6_PS5_21rocsparse_index_base_b,"axG",@progbits,_ZN9rocsparseL19gebsrmvn_2xn_kernelILj128ELj7ELj8E21rocsparse_complex_numIfEEEvi20rocsparse_direction_NS_24const_host_device_scalarIT2_EEPKiS8_PKS5_SA_S6_PS5_21rocsparse_index_base_b,comdat
	.globl	_ZN9rocsparseL19gebsrmvn_2xn_kernelILj128ELj7ELj8E21rocsparse_complex_numIfEEEvi20rocsparse_direction_NS_24const_host_device_scalarIT2_EEPKiS8_PKS5_SA_S6_PS5_21rocsparse_index_base_b ; -- Begin function _ZN9rocsparseL19gebsrmvn_2xn_kernelILj128ELj7ELj8E21rocsparse_complex_numIfEEEvi20rocsparse_direction_NS_24const_host_device_scalarIT2_EEPKiS8_PKS5_SA_S6_PS5_21rocsparse_index_base_b
	.p2align	8
	.type	_ZN9rocsparseL19gebsrmvn_2xn_kernelILj128ELj7ELj8E21rocsparse_complex_numIfEEEvi20rocsparse_direction_NS_24const_host_device_scalarIT2_EEPKiS8_PKS5_SA_S6_PS5_21rocsparse_index_base_b,@function
_ZN9rocsparseL19gebsrmvn_2xn_kernelILj128ELj7ELj8E21rocsparse_complex_numIfEEEvi20rocsparse_direction_NS_24const_host_device_scalarIT2_EEPKiS8_PKS5_SA_S6_PS5_21rocsparse_index_base_b: ; @_ZN9rocsparseL19gebsrmvn_2xn_kernelILj128ELj7ELj8E21rocsparse_complex_numIfEEEvi20rocsparse_direction_NS_24const_host_device_scalarIT2_EEPKiS8_PKS5_SA_S6_PS5_21rocsparse_index_base_b
; %bb.0:
	s_clause 0x2
	s_load_dwordx2 s[2:3], s[4:5], 0x40
	s_load_dwordx2 s[0:1], s[4:5], 0x8
	;; [unrolled: 1-line block ×3, first 2 shown]
	s_add_u32 s7, s4, 8
	s_addc_u32 s10, s5, 0
	s_add_u32 s11, s4, 48
	s_addc_u32 s12, s5, 0
	s_waitcnt lgkmcnt(0)
	s_bitcmp1_b32 s3, 0
	s_cselect_b32 s0, s7, s0
	s_cselect_b32 s1, s10, s1
	v_mov_b32_e32 v1, s0
	v_mov_b32_e32 v2, s1
	s_cselect_b32 s0, s11, s8
	s_cselect_b32 s1, s12, s9
	v_mov_b32_e32 v3, s0
	v_mov_b32_e32 v4, s1
	flat_load_dwordx2 v[1:2], v[1:2]
	flat_load_dwordx2 v[3:4], v[3:4]
	s_waitcnt vmcnt(1) lgkmcnt(1)
	v_cmp_eq_f32_e32 vcc_lo, 0, v1
	v_cmp_eq_f32_e64 s0, 0, v2
	s_and_b32 s3, vcc_lo, s0
	s_mov_b32 s0, -1
	s_and_saveexec_b32 s1, s3
	s_cbranch_execz .LBB178_2
; %bb.1:
	s_waitcnt vmcnt(0) lgkmcnt(0)
	v_cmp_neq_f32_e32 vcc_lo, 1.0, v3
	v_cmp_neq_f32_e64 s0, 0, v4
	s_or_b32 s0, vcc_lo, s0
	s_orn2_b32 s0, s0, exec_lo
.LBB178_2:
	s_or_b32 exec_lo, exec_lo, s1
	s_and_saveexec_b32 s1, s0
	s_cbranch_execz .LBB178_21
; %bb.3:
	s_load_dwordx2 s[0:1], s[4:5], 0x0
	v_lshrrev_b32_e32 v5, 3, v0
	v_lshl_or_b32 v5, s6, 4, v5
	s_waitcnt lgkmcnt(0)
	v_cmp_gt_i32_e32 vcc_lo, s0, v5
	s_and_b32 exec_lo, exec_lo, vcc_lo
	s_cbranch_execz .LBB178_21
; %bb.4:
	s_load_dwordx8 s[8:15], s[4:5], 0x10
	v_ashrrev_i32_e32 v6, 31, v5
	v_and_b32_e32 v0, 7, v0
	s_cmp_lg_u32 s1, 0
	v_lshlrev_b64 v[6:7], 2, v[5:6]
	s_waitcnt lgkmcnt(0)
	v_add_co_u32 v6, vcc_lo, s8, v6
	v_add_co_ci_u32_e64 v7, null, s9, v7, vcc_lo
	global_load_dwordx2 v[6:7], v[6:7], off
	s_waitcnt vmcnt(0)
	v_subrev_nc_u32_e32 v6, s2, v6
	v_subrev_nc_u32_e32 v15, s2, v7
	v_add_nc_u32_e32 v6, v6, v0
	v_cmp_lt_i32_e64 s0, v6, v15
	s_cbranch_scc0 .LBB178_10
; %bb.5:
	v_mov_b32_e32 v13, 0
	v_mov_b32_e32 v16, 0
	;; [unrolled: 1-line block ×4, first 2 shown]
	s_and_saveexec_b32 s1, s0
	s_cbranch_execz .LBB178_9
; %bb.6:
	v_mad_u64_u32 v[7:8], null, v6, 14, 12
	v_mov_b32_e32 v10, 0
	v_mov_b32_e32 v11, v6
	;; [unrolled: 1-line block ×6, first 2 shown]
	s_mov_b32 s3, 0
.LBB178_7:                              ; =>This Inner Loop Header: Depth=1
	v_ashrrev_i32_e32 v12, 31, v11
	v_mov_b32_e32 v39, v10
	v_lshlrev_b64 v[8:9], 2, v[11:12]
	v_add_nc_u32_e32 v11, 8, v11
	v_add_co_u32 v8, vcc_lo, s10, v8
	v_add_co_ci_u32_e64 v9, null, s11, v9, vcc_lo
	global_load_dword v12, v[8:9], off
	v_add_nc_u32_e32 v9, -12, v7
	v_mov_b32_e32 v8, v10
	v_lshlrev_b64 v[18:19], 3, v[9:10]
	v_add_nc_u32_e32 v9, -10, v7
	v_lshlrev_b64 v[20:21], 3, v[7:8]
	v_lshlrev_b64 v[8:9], 3, v[9:10]
	v_add_co_u32 v18, vcc_lo, s12, v18
	v_add_co_ci_u32_e64 v19, null, s13, v19, vcc_lo
	v_add_co_u32 v42, vcc_lo, s12, v20
	v_add_co_ci_u32_e64 v43, null, s13, v21, vcc_lo
	v_add_co_u32 v8, vcc_lo, s12, v8
	v_add_co_ci_u32_e64 v9, null, s13, v9, vcc_lo
	s_clause 0x1
	global_load_dwordx4 v[18:21], v[18:19], off
	global_load_dwordx4 v[22:25], v[8:9], off
	s_waitcnt vmcnt(2)
	v_subrev_nc_u32_e32 v8, s2, v12
	v_mul_lo_u32 v38, v8, 7
	v_lshlrev_b64 v[26:27], 3, v[38:39]
	v_add_nc_u32_e32 v9, 1, v38
	v_lshlrev_b64 v[28:29], 3, v[9:10]
	v_add_co_u32 v26, vcc_lo, s14, v26
	v_add_co_ci_u32_e64 v27, null, s15, v27, vcc_lo
	v_add_nc_u32_e32 v9, -8, v7
	v_add_co_u32 v28, vcc_lo, s14, v28
	global_load_dwordx2 v[46:47], v[26:27], off
	v_add_co_ci_u32_e64 v29, null, s15, v29, vcc_lo
	v_lshlrev_b64 v[30:31], 3, v[9:10]
	v_add_nc_u32_e32 v9, 2, v38
	global_load_dwordx2 v[48:49], v[28:29], off
	v_lshlrev_b64 v[26:27], 3, v[9:10]
	v_add_nc_u32_e32 v9, -6, v7
	v_add_co_u32 v28, vcc_lo, s12, v30
	v_add_co_ci_u32_e64 v29, null, s13, v31, vcc_lo
	v_lshlrev_b64 v[30:31], 3, v[9:10]
	v_add_nc_u32_e32 v9, 3, v38
	v_add_co_u32 v32, vcc_lo, s14, v26
	v_add_co_ci_u32_e64 v33, null, s15, v27, vcc_lo
	v_lshlrev_b64 v[34:35], 3, v[9:10]
	v_add_nc_u32_e32 v9, -4, v7
	global_load_dwordx4 v[26:29], v[28:29], off
	global_load_dwordx2 v[50:51], v[32:33], off
	v_add_co_u32 v30, vcc_lo, s12, v30
	v_lshlrev_b64 v[36:37], 3, v[9:10]
	v_add_nc_u32_e32 v9, 4, v38
	v_add_co_ci_u32_e64 v31, null, s13, v31, vcc_lo
	v_add_co_u32 v34, vcc_lo, s14, v34
	v_add_co_ci_u32_e64 v35, null, s15, v35, vcc_lo
	v_lshlrev_b64 v[39:40], 3, v[9:10]
	v_add_nc_u32_e32 v9, -2, v7
	v_add_nc_u32_e32 v7, 0x70, v7
	global_load_dwordx2 v[52:53], v[34:35], off
	global_load_dwordx4 v[30:33], v[30:31], off
	v_add_co_u32 v34, vcc_lo, s12, v36
	v_add_co_ci_u32_e64 v35, null, s13, v37, vcc_lo
	v_lshlrev_b64 v[44:45], 3, v[9:10]
	v_add_nc_u32_e32 v9, 5, v38
	v_add_co_u32 v39, vcc_lo, s14, v39
	v_add_co_ci_u32_e64 v40, null, s15, v40, vcc_lo
	v_lshlrev_b64 v[54:55], 3, v[9:10]
	global_load_dwordx4 v[34:37], v[34:35], off
	v_add_nc_u32_e32 v9, 6, v38
	global_load_dwordx2 v[56:57], v[39:40], off
	v_add_co_u32 v38, vcc_lo, s12, v44
	v_add_co_ci_u32_e64 v39, null, s13, v45, vcc_lo
	v_add_co_u32 v44, vcc_lo, s14, v54
	v_add_co_ci_u32_e64 v45, null, s15, v55, vcc_lo
	v_lshlrev_b64 v[8:9], 3, v[9:10]
	global_load_dwordx4 v[38:41], v[38:39], off
	global_load_dwordx2 v[54:55], v[44:45], off
	v_add_co_u32 v8, vcc_lo, s14, v8
	v_add_co_ci_u32_e64 v9, null, s15, v9, vcc_lo
	global_load_dwordx4 v[42:45], v[42:43], off
	global_load_dwordx2 v[8:9], v[8:9], off
	v_cmp_ge_i32_e32 vcc_lo, v11, v15
	s_or_b32 s3, vcc_lo, s3
	s_waitcnt vmcnt(11)
	v_fmac_f32_e32 v16, v18, v46
	v_fmac_f32_e32 v13, v19, v46
	v_fmac_f32_e32 v17, v20, v46
	v_fmac_f32_e32 v14, v21, v46
	v_fma_f32 v12, -v19, v47, v16
	v_fmac_f32_e32 v13, v18, v47
	v_fma_f32 v16, -v21, v47, v17
	v_fmac_f32_e32 v14, v20, v47
	s_waitcnt vmcnt(10)
	v_fmac_f32_e32 v12, v22, v48
	v_fmac_f32_e32 v13, v23, v48
	v_fmac_f32_e32 v16, v24, v48
	v_fmac_f32_e32 v14, v25, v48
	v_fma_f32 v12, -v23, v49, v12
	v_fmac_f32_e32 v13, v22, v49
	v_fma_f32 v16, -v25, v49, v16
	v_fmac_f32_e32 v14, v24, v49
	;; [unrolled: 9-line block ×7, first 2 shown]
	s_andn2_b32 exec_lo, exec_lo, s3
	s_cbranch_execnz .LBB178_7
; %bb.8:
	s_or_b32 exec_lo, exec_lo, s3
.LBB178_9:
	s_or_b32 exec_lo, exec_lo, s1
	s_cbranch_execz .LBB178_11
	s_branch .LBB178_16
.LBB178_10:
                                        ; implicit-def: $vgpr13
                                        ; implicit-def: $vgpr16
                                        ; implicit-def: $vgpr17
                                        ; implicit-def: $vgpr14
.LBB178_11:
	v_mov_b32_e32 v13, 0
	v_mov_b32_e32 v16, 0
	;; [unrolled: 1-line block ×4, first 2 shown]
	s_and_saveexec_b32 s1, s0
	s_cbranch_execz .LBB178_15
; %bb.12:
	v_mad_u64_u32 v[8:9], null, v6, 14, 13
	v_mov_b32_e32 v11, 0
	v_mov_b32_e32 v13, 0
	;; [unrolled: 1-line block ×5, first 2 shown]
	s_mov_b32 s0, 0
.LBB178_13:                             ; =>This Inner Loop Header: Depth=1
	v_ashrrev_i32_e32 v7, 31, v6
	v_add_nc_u32_e32 v18, -6, v8
	v_mov_b32_e32 v19, v11
	v_mov_b32_e32 v23, v11
	v_lshlrev_b64 v[9:10], 2, v[6:7]
	v_add_nc_u32_e32 v6, 8, v6
	v_lshlrev_b64 v[18:19], 3, v[18:19]
	v_add_co_u32 v9, vcc_lo, s10, v9
	v_add_co_ci_u32_e64 v10, null, s11, v10, vcc_lo
	global_load_dword v7, v[9:10], off
	v_add_nc_u32_e32 v10, -13, v8
	v_mov_b32_e32 v9, v11
	v_lshlrev_b64 v[20:21], 3, v[10:11]
	v_lshlrev_b64 v[9:10], 3, v[8:9]
	v_add_co_u32 v20, vcc_lo, s12, v20
	v_add_co_ci_u32_e64 v21, null, s13, v21, vcc_lo
	v_add_co_u32 v24, vcc_lo, s12, v18
	v_add_co_ci_u32_e64 v25, null, s13, v19, vcc_lo
	;; [unrolled: 2-line block ×3, first 2 shown]
	s_clause 0x2
	global_load_dwordx4 v[18:21], v[20:21], off
	global_load_dwordx2 v[24:25], v[24:25], off
	global_load_dwordx2 v[26:27], v[9:10], off
	s_waitcnt vmcnt(3)
	v_subrev_nc_u32_e32 v7, s2, v7
	v_mul_lo_u32 v22, v7, 7
	v_add_nc_u32_e32 v10, 1, v22
	v_lshlrev_b64 v[28:29], 3, v[22:23]
	v_lshlrev_b64 v[30:31], 3, v[10:11]
	v_add_nc_u32_e32 v10, -5, v8
	v_add_co_u32 v28, vcc_lo, s14, v28
	v_add_co_ci_u32_e64 v29, null, s15, v29, vcc_lo
	v_lshlrev_b64 v[32:33], 3, v[10:11]
	v_add_nc_u32_e32 v10, -11, v8
	v_add_co_u32 v30, vcc_lo, s14, v30
	global_load_dwordx2 v[28:29], v[28:29], off
	v_add_co_ci_u32_e64 v31, null, s15, v31, vcc_lo
	v_lshlrev_b64 v[34:35], 3, v[10:11]
	v_add_nc_u32_e32 v10, 2, v22
	v_add_co_u32 v32, vcc_lo, s12, v32
	v_add_co_ci_u32_e64 v33, null, s13, v33, vcc_lo
	v_lshlrev_b64 v[36:37], 3, v[10:11]
	v_add_nc_u32_e32 v10, -4, v8
	v_add_co_u32 v34, vcc_lo, s12, v34
	global_load_dwordx2 v[30:31], v[30:31], off
	global_load_dwordx2 v[32:33], v[32:33], off
	v_lshlrev_b64 v[38:39], 3, v[10:11]
	v_add_nc_u32_e32 v10, -10, v8
	v_add_co_ci_u32_e64 v35, null, s13, v35, vcc_lo
	v_add_co_u32 v36, vcc_lo, s14, v36
	v_lshlrev_b64 v[40:41], 3, v[10:11]
	v_add_nc_u32_e32 v10, 3, v22
	v_add_co_ci_u32_e64 v37, null, s15, v37, vcc_lo
	v_add_co_u32 v38, vcc_lo, s12, v38
	v_lshlrev_b64 v[42:43], 3, v[10:11]
	v_add_nc_u32_e32 v10, -3, v8
	v_add_co_ci_u32_e64 v39, null, s13, v39, vcc_lo
	v_add_co_u32 v40, vcc_lo, s12, v40
	v_lshlrev_b64 v[44:45], 3, v[10:11]
	v_add_nc_u32_e32 v10, -9, v8
	global_load_dwordx2 v[34:35], v[34:35], off
	global_load_dwordx2 v[36:37], v[36:37], off
	;; [unrolled: 1-line block ×3, first 2 shown]
	v_add_co_ci_u32_e64 v41, null, s13, v41, vcc_lo
	v_lshlrev_b64 v[46:47], 3, v[10:11]
	v_add_nc_u32_e32 v10, 4, v22
	v_add_co_u32 v42, vcc_lo, s14, v42
	v_add_co_ci_u32_e64 v43, null, s15, v43, vcc_lo
	v_lshlrev_b64 v[48:49], 3, v[10:11]
	v_add_nc_u32_e32 v10, -2, v8
	v_add_co_u32 v44, vcc_lo, s12, v44
	v_add_co_ci_u32_e64 v45, null, s13, v45, vcc_lo
	v_lshlrev_b64 v[50:51], 3, v[10:11]
	v_add_nc_u32_e32 v10, -8, v8
	v_add_co_u32 v46, vcc_lo, s12, v46
	global_load_dwordx2 v[40:41], v[40:41], off
	global_load_dwordx2 v[42:43], v[42:43], off
	v_lshlrev_b64 v[52:53], 3, v[10:11]
	v_add_nc_u32_e32 v10, 5, v22
	global_load_dwordx2 v[44:45], v[44:45], off
	v_add_co_ci_u32_e64 v47, null, s13, v47, vcc_lo
	v_add_co_u32 v48, vcc_lo, s14, v48
	v_lshlrev_b64 v[54:55], 3, v[10:11]
	v_add_nc_u32_e32 v10, -1, v8
	v_add_co_ci_u32_e64 v49, null, s15, v49, vcc_lo
	v_add_co_u32 v50, vcc_lo, s12, v50
	v_add_co_ci_u32_e64 v51, null, s13, v51, vcc_lo
	v_lshlrev_b64 v[56:57], 3, v[10:11]
	v_add_nc_u32_e32 v10, -7, v8
	v_add_co_u32 v52, vcc_lo, s12, v52
	global_load_dwordx2 v[46:47], v[46:47], off
	global_load_dwordx2 v[48:49], v[48:49], off
	;; [unrolled: 1-line block ×3, first 2 shown]
	v_add_co_ci_u32_e64 v53, null, s13, v53, vcc_lo
	v_add_co_u32 v54, vcc_lo, s14, v54
	v_add_co_ci_u32_e64 v55, null, s15, v55, vcc_lo
	v_lshlrev_b64 v[58:59], 3, v[10:11]
	v_add_nc_u32_e32 v10, 6, v22
	v_add_co_u32 v22, vcc_lo, s12, v56
	v_add_co_ci_u32_e64 v23, null, s13, v57, vcc_lo
	v_lshlrev_b64 v[9:10], 3, v[10:11]
	global_load_dwordx2 v[52:53], v[52:53], off
	global_load_dwordx2 v[54:55], v[54:55], off
	;; [unrolled: 1-line block ×3, first 2 shown]
	v_add_co_u32 v56, vcc_lo, s12, v58
	v_add_co_ci_u32_e64 v57, null, s13, v59, vcc_lo
	v_add_co_u32 v9, vcc_lo, s14, v9
	v_add_co_ci_u32_e64 v10, null, s15, v10, vcc_lo
	global_load_dwordx2 v[56:57], v[56:57], off
	global_load_dwordx2 v[9:10], v[9:10], off
	v_cmp_ge_i32_e32 vcc_lo, v6, v15
	v_add_nc_u32_e32 v8, 0x70, v8
	s_or_b32 s0, vcc_lo, s0
	s_waitcnt vmcnt(16)
	v_fmac_f32_e32 v16, v18, v28
	v_fmac_f32_e32 v13, v19, v28
	;; [unrolled: 1-line block ×4, first 2 shown]
	v_fma_f32 v7, -v19, v29, v16
	v_fmac_f32_e32 v13, v18, v29
	v_fma_f32 v12, -v25, v29, v17
	v_fmac_f32_e32 v14, v24, v29
	s_waitcnt vmcnt(15)
	v_fmac_f32_e32 v7, v20, v30
	v_fmac_f32_e32 v13, v21, v30
	s_waitcnt vmcnt(14)
	v_fmac_f32_e32 v12, v32, v30
	v_fmac_f32_e32 v14, v33, v30
	v_fma_f32 v7, -v21, v31, v7
	v_fmac_f32_e32 v13, v20, v31
	v_fma_f32 v12, -v33, v31, v12
	v_fmac_f32_e32 v14, v32, v31
	s_waitcnt vmcnt(12)
	v_fmac_f32_e32 v7, v34, v36
	v_fmac_f32_e32 v13, v35, v36
	s_waitcnt vmcnt(11)
	v_fmac_f32_e32 v12, v38, v36
	v_fmac_f32_e32 v14, v39, v36
	;; [unrolled: 10-line block ×5, first 2 shown]
	v_fma_f32 v7, -v53, v55, v7
	v_fmac_f32_e32 v13, v52, v55
	v_fma_f32 v12, -v23, v55, v12
	v_fmac_f32_e32 v14, v22, v55
	s_waitcnt vmcnt(0)
	v_fmac_f32_e32 v7, v56, v9
	v_fmac_f32_e32 v13, v57, v9
	;; [unrolled: 1-line block ×4, first 2 shown]
	v_fma_f32 v16, -v57, v10, v7
	v_fmac_f32_e32 v13, v56, v10
	v_fma_f32 v17, -v27, v10, v12
	v_fmac_f32_e32 v14, v26, v10
	s_andn2_b32 exec_lo, exec_lo, s0
	s_cbranch_execnz .LBB178_13
; %bb.14:
	s_or_b32 exec_lo, exec_lo, s0
.LBB178_15:
	s_or_b32 exec_lo, exec_lo, s1
.LBB178_16:
	v_mbcnt_lo_u32_b32 v6, -1, 0
	v_xor_b32_e32 v7, 4, v6
	v_xor_b32_e32 v11, 2, v6
	;; [unrolled: 1-line block ×3, first 2 shown]
	v_cmp_gt_i32_e32 vcc_lo, 32, v7
	v_cndmask_b32_e32 v7, v6, v7, vcc_lo
	v_cmp_gt_i32_e32 vcc_lo, 32, v11
	v_lshlrev_b32_e32 v7, 2, v7
	v_cndmask_b32_e32 v11, v6, v11, vcc_lo
	v_cmp_gt_i32_e32 vcc_lo, 32, v15
	ds_bpermute_b32 v8, v7, v16
	ds_bpermute_b32 v9, v7, v13
	;; [unrolled: 1-line block ×4, first 2 shown]
	v_lshlrev_b32_e32 v11, 2, v11
	v_cndmask_b32_e32 v6, v6, v15, vcc_lo
	v_cmp_eq_u32_e32 vcc_lo, 7, v0
	v_lshlrev_b32_e32 v15, 2, v6
	s_waitcnt lgkmcnt(3)
	v_add_f32_e32 v8, v16, v8
	s_waitcnt lgkmcnt(2)
	v_add_f32_e32 v9, v13, v9
	;; [unrolled: 2-line block ×4, first 2 shown]
	ds_bpermute_b32 v12, v11, v8
	ds_bpermute_b32 v13, v11, v9
	;; [unrolled: 1-line block ×4, first 2 shown]
	s_waitcnt lgkmcnt(3)
	v_add_f32_e32 v8, v8, v12
	s_waitcnt lgkmcnt(2)
	v_add_f32_e32 v9, v9, v13
	;; [unrolled: 2-line block ×4, first 2 shown]
	ds_bpermute_b32 v12, v15, v8
	ds_bpermute_b32 v13, v15, v9
	ds_bpermute_b32 v10, v15, v6
	ds_bpermute_b32 v11, v15, v7
	s_and_b32 exec_lo, exec_lo, vcc_lo
	s_cbranch_execz .LBB178_21
; %bb.17:
	s_load_dwordx2 s[2:3], s[4:5], 0x38
	v_cmp_eq_f32_e32 vcc_lo, 0, v3
	v_cmp_eq_f32_e64 s0, 0, v4
	s_waitcnt lgkmcnt(0)
	v_add_f32_e32 v0, v8, v12
	v_add_f32_e32 v8, v9, v13
	v_add_f32_e32 v6, v6, v10
	v_add_f32_e32 v7, v7, v11
	s_and_b32 s0, vcc_lo, s0
	s_and_saveexec_b32 s1, s0
	s_xor_b32 s0, exec_lo, s1
	s_cbranch_execz .LBB178_19
; %bb.18:
	v_lshlrev_b32_e32 v3, 1, v5
	v_mul_f32_e64 v9, v8, -v2
	v_mul_f32_e32 v10, v1, v8
	v_mul_f32_e64 v11, v7, -v2
	v_mul_f32_e32 v12, v1, v7
	v_ashrrev_i32_e32 v4, 31, v3
	v_fmac_f32_e32 v9, v1, v0
	v_fmac_f32_e32 v10, v2, v0
	;; [unrolled: 1-line block ×4, first 2 shown]
	v_lshlrev_b64 v[3:4], 3, v[3:4]
                                        ; implicit-def: $vgpr5
                                        ; implicit-def: $vgpr8
                                        ; implicit-def: $vgpr7
                                        ; implicit-def: $vgpr6
	v_add_co_u32 v0, vcc_lo, s2, v3
	v_add_co_ci_u32_e64 v1, null, s3, v4, vcc_lo
                                        ; implicit-def: $vgpr3_vgpr4
	global_store_dwordx4 v[0:1], v[9:12], off
                                        ; implicit-def: $vgpr1_vgpr2
                                        ; implicit-def: $vgpr0
.LBB178_19:
	s_andn2_saveexec_b32 s0, s0
	s_cbranch_execz .LBB178_21
; %bb.20:
	v_lshlrev_b32_e32 v9, 1, v5
	v_mul_f32_e64 v5, v8, -v2
	v_mul_f32_e32 v14, v1, v8
	v_mul_f32_e64 v8, v7, -v2
	v_mul_f32_e32 v16, v1, v7
	v_ashrrev_i32_e32 v10, 31, v9
	v_fmac_f32_e32 v5, v1, v0
	v_fmac_f32_e32 v14, v2, v0
	;; [unrolled: 1-line block ×4, first 2 shown]
	v_lshlrev_b64 v[9:10], 3, v[9:10]
	v_add_co_u32 v17, vcc_lo, s2, v9
	v_add_co_ci_u32_e64 v18, null, s3, v10, vcc_lo
	global_load_dwordx4 v[9:12], v[17:18], off
	s_waitcnt vmcnt(0)
	v_fmac_f32_e32 v5, v3, v9
	v_fmac_f32_e32 v14, v4, v9
	;; [unrolled: 1-line block ×4, first 2 shown]
	v_fma_f32 v13, -v4, v10, v5
	v_fmac_f32_e32 v14, v3, v10
	v_fma_f32 v15, -v4, v12, v8
	v_fmac_f32_e32 v16, v3, v12
	global_store_dwordx4 v[17:18], v[13:16], off
.LBB178_21:
	s_endpgm
	.section	.rodata,"a",@progbits
	.p2align	6, 0x0
	.amdhsa_kernel _ZN9rocsparseL19gebsrmvn_2xn_kernelILj128ELj7ELj8E21rocsparse_complex_numIfEEEvi20rocsparse_direction_NS_24const_host_device_scalarIT2_EEPKiS8_PKS5_SA_S6_PS5_21rocsparse_index_base_b
		.amdhsa_group_segment_fixed_size 0
		.amdhsa_private_segment_fixed_size 0
		.amdhsa_kernarg_size 72
		.amdhsa_user_sgpr_count 6
		.amdhsa_user_sgpr_private_segment_buffer 1
		.amdhsa_user_sgpr_dispatch_ptr 0
		.amdhsa_user_sgpr_queue_ptr 0
		.amdhsa_user_sgpr_kernarg_segment_ptr 1
		.amdhsa_user_sgpr_dispatch_id 0
		.amdhsa_user_sgpr_flat_scratch_init 0
		.amdhsa_user_sgpr_private_segment_size 0
		.amdhsa_wavefront_size32 1
		.amdhsa_uses_dynamic_stack 0
		.amdhsa_system_sgpr_private_segment_wavefront_offset 0
		.amdhsa_system_sgpr_workgroup_id_x 1
		.amdhsa_system_sgpr_workgroup_id_y 0
		.amdhsa_system_sgpr_workgroup_id_z 0
		.amdhsa_system_sgpr_workgroup_info 0
		.amdhsa_system_vgpr_workitem_id 0
		.amdhsa_next_free_vgpr 60
		.amdhsa_next_free_sgpr 16
		.amdhsa_reserve_vcc 1
		.amdhsa_reserve_flat_scratch 0
		.amdhsa_float_round_mode_32 0
		.amdhsa_float_round_mode_16_64 0
		.amdhsa_float_denorm_mode_32 3
		.amdhsa_float_denorm_mode_16_64 3
		.amdhsa_dx10_clamp 1
		.amdhsa_ieee_mode 1
		.amdhsa_fp16_overflow 0
		.amdhsa_workgroup_processor_mode 1
		.amdhsa_memory_ordered 1
		.amdhsa_forward_progress 1
		.amdhsa_shared_vgpr_count 0
		.amdhsa_exception_fp_ieee_invalid_op 0
		.amdhsa_exception_fp_denorm_src 0
		.amdhsa_exception_fp_ieee_div_zero 0
		.amdhsa_exception_fp_ieee_overflow 0
		.amdhsa_exception_fp_ieee_underflow 0
		.amdhsa_exception_fp_ieee_inexact 0
		.amdhsa_exception_int_div_zero 0
	.end_amdhsa_kernel
	.section	.text._ZN9rocsparseL19gebsrmvn_2xn_kernelILj128ELj7ELj8E21rocsparse_complex_numIfEEEvi20rocsparse_direction_NS_24const_host_device_scalarIT2_EEPKiS8_PKS5_SA_S6_PS5_21rocsparse_index_base_b,"axG",@progbits,_ZN9rocsparseL19gebsrmvn_2xn_kernelILj128ELj7ELj8E21rocsparse_complex_numIfEEEvi20rocsparse_direction_NS_24const_host_device_scalarIT2_EEPKiS8_PKS5_SA_S6_PS5_21rocsparse_index_base_b,comdat
.Lfunc_end178:
	.size	_ZN9rocsparseL19gebsrmvn_2xn_kernelILj128ELj7ELj8E21rocsparse_complex_numIfEEEvi20rocsparse_direction_NS_24const_host_device_scalarIT2_EEPKiS8_PKS5_SA_S6_PS5_21rocsparse_index_base_b, .Lfunc_end178-_ZN9rocsparseL19gebsrmvn_2xn_kernelILj128ELj7ELj8E21rocsparse_complex_numIfEEEvi20rocsparse_direction_NS_24const_host_device_scalarIT2_EEPKiS8_PKS5_SA_S6_PS5_21rocsparse_index_base_b
                                        ; -- End function
	.set _ZN9rocsparseL19gebsrmvn_2xn_kernelILj128ELj7ELj8E21rocsparse_complex_numIfEEEvi20rocsparse_direction_NS_24const_host_device_scalarIT2_EEPKiS8_PKS5_SA_S6_PS5_21rocsparse_index_base_b.num_vgpr, 60
	.set _ZN9rocsparseL19gebsrmvn_2xn_kernelILj128ELj7ELj8E21rocsparse_complex_numIfEEEvi20rocsparse_direction_NS_24const_host_device_scalarIT2_EEPKiS8_PKS5_SA_S6_PS5_21rocsparse_index_base_b.num_agpr, 0
	.set _ZN9rocsparseL19gebsrmvn_2xn_kernelILj128ELj7ELj8E21rocsparse_complex_numIfEEEvi20rocsparse_direction_NS_24const_host_device_scalarIT2_EEPKiS8_PKS5_SA_S6_PS5_21rocsparse_index_base_b.numbered_sgpr, 16
	.set _ZN9rocsparseL19gebsrmvn_2xn_kernelILj128ELj7ELj8E21rocsparse_complex_numIfEEEvi20rocsparse_direction_NS_24const_host_device_scalarIT2_EEPKiS8_PKS5_SA_S6_PS5_21rocsparse_index_base_b.num_named_barrier, 0
	.set _ZN9rocsparseL19gebsrmvn_2xn_kernelILj128ELj7ELj8E21rocsparse_complex_numIfEEEvi20rocsparse_direction_NS_24const_host_device_scalarIT2_EEPKiS8_PKS5_SA_S6_PS5_21rocsparse_index_base_b.private_seg_size, 0
	.set _ZN9rocsparseL19gebsrmvn_2xn_kernelILj128ELj7ELj8E21rocsparse_complex_numIfEEEvi20rocsparse_direction_NS_24const_host_device_scalarIT2_EEPKiS8_PKS5_SA_S6_PS5_21rocsparse_index_base_b.uses_vcc, 1
	.set _ZN9rocsparseL19gebsrmvn_2xn_kernelILj128ELj7ELj8E21rocsparse_complex_numIfEEEvi20rocsparse_direction_NS_24const_host_device_scalarIT2_EEPKiS8_PKS5_SA_S6_PS5_21rocsparse_index_base_b.uses_flat_scratch, 0
	.set _ZN9rocsparseL19gebsrmvn_2xn_kernelILj128ELj7ELj8E21rocsparse_complex_numIfEEEvi20rocsparse_direction_NS_24const_host_device_scalarIT2_EEPKiS8_PKS5_SA_S6_PS5_21rocsparse_index_base_b.has_dyn_sized_stack, 0
	.set _ZN9rocsparseL19gebsrmvn_2xn_kernelILj128ELj7ELj8E21rocsparse_complex_numIfEEEvi20rocsparse_direction_NS_24const_host_device_scalarIT2_EEPKiS8_PKS5_SA_S6_PS5_21rocsparse_index_base_b.has_recursion, 0
	.set _ZN9rocsparseL19gebsrmvn_2xn_kernelILj128ELj7ELj8E21rocsparse_complex_numIfEEEvi20rocsparse_direction_NS_24const_host_device_scalarIT2_EEPKiS8_PKS5_SA_S6_PS5_21rocsparse_index_base_b.has_indirect_call, 0
	.section	.AMDGPU.csdata,"",@progbits
; Kernel info:
; codeLenInByte = 2968
; TotalNumSgprs: 18
; NumVgprs: 60
; ScratchSize: 0
; MemoryBound: 0
; FloatMode: 240
; IeeeMode: 1
; LDSByteSize: 0 bytes/workgroup (compile time only)
; SGPRBlocks: 0
; VGPRBlocks: 7
; NumSGPRsForWavesPerEU: 18
; NumVGPRsForWavesPerEU: 60
; Occupancy: 16
; WaveLimiterHint : 1
; COMPUTE_PGM_RSRC2:SCRATCH_EN: 0
; COMPUTE_PGM_RSRC2:USER_SGPR: 6
; COMPUTE_PGM_RSRC2:TRAP_HANDLER: 0
; COMPUTE_PGM_RSRC2:TGID_X_EN: 1
; COMPUTE_PGM_RSRC2:TGID_Y_EN: 0
; COMPUTE_PGM_RSRC2:TGID_Z_EN: 0
; COMPUTE_PGM_RSRC2:TIDIG_COMP_CNT: 0
	.section	.text._ZN9rocsparseL19gebsrmvn_2xn_kernelILj128ELj7ELj16E21rocsparse_complex_numIfEEEvi20rocsparse_direction_NS_24const_host_device_scalarIT2_EEPKiS8_PKS5_SA_S6_PS5_21rocsparse_index_base_b,"axG",@progbits,_ZN9rocsparseL19gebsrmvn_2xn_kernelILj128ELj7ELj16E21rocsparse_complex_numIfEEEvi20rocsparse_direction_NS_24const_host_device_scalarIT2_EEPKiS8_PKS5_SA_S6_PS5_21rocsparse_index_base_b,comdat
	.globl	_ZN9rocsparseL19gebsrmvn_2xn_kernelILj128ELj7ELj16E21rocsparse_complex_numIfEEEvi20rocsparse_direction_NS_24const_host_device_scalarIT2_EEPKiS8_PKS5_SA_S6_PS5_21rocsparse_index_base_b ; -- Begin function _ZN9rocsparseL19gebsrmvn_2xn_kernelILj128ELj7ELj16E21rocsparse_complex_numIfEEEvi20rocsparse_direction_NS_24const_host_device_scalarIT2_EEPKiS8_PKS5_SA_S6_PS5_21rocsparse_index_base_b
	.p2align	8
	.type	_ZN9rocsparseL19gebsrmvn_2xn_kernelILj128ELj7ELj16E21rocsparse_complex_numIfEEEvi20rocsparse_direction_NS_24const_host_device_scalarIT2_EEPKiS8_PKS5_SA_S6_PS5_21rocsparse_index_base_b,@function
_ZN9rocsparseL19gebsrmvn_2xn_kernelILj128ELj7ELj16E21rocsparse_complex_numIfEEEvi20rocsparse_direction_NS_24const_host_device_scalarIT2_EEPKiS8_PKS5_SA_S6_PS5_21rocsparse_index_base_b: ; @_ZN9rocsparseL19gebsrmvn_2xn_kernelILj128ELj7ELj16E21rocsparse_complex_numIfEEEvi20rocsparse_direction_NS_24const_host_device_scalarIT2_EEPKiS8_PKS5_SA_S6_PS5_21rocsparse_index_base_b
; %bb.0:
	s_clause 0x2
	s_load_dwordx2 s[2:3], s[4:5], 0x40
	s_load_dwordx2 s[0:1], s[4:5], 0x8
	;; [unrolled: 1-line block ×3, first 2 shown]
	s_add_u32 s7, s4, 8
	s_addc_u32 s10, s5, 0
	s_add_u32 s11, s4, 48
	s_addc_u32 s12, s5, 0
	s_waitcnt lgkmcnt(0)
	s_bitcmp1_b32 s3, 0
	s_cselect_b32 s0, s7, s0
	s_cselect_b32 s1, s10, s1
	v_mov_b32_e32 v1, s0
	v_mov_b32_e32 v2, s1
	s_cselect_b32 s0, s11, s8
	s_cselect_b32 s1, s12, s9
	v_mov_b32_e32 v3, s0
	v_mov_b32_e32 v4, s1
	flat_load_dwordx2 v[1:2], v[1:2]
	flat_load_dwordx2 v[3:4], v[3:4]
	s_waitcnt vmcnt(1) lgkmcnt(1)
	v_cmp_eq_f32_e32 vcc_lo, 0, v1
	v_cmp_eq_f32_e64 s0, 0, v2
	s_and_b32 s3, vcc_lo, s0
	s_mov_b32 s0, -1
	s_and_saveexec_b32 s1, s3
	s_cbranch_execz .LBB179_2
; %bb.1:
	s_waitcnt vmcnt(0) lgkmcnt(0)
	v_cmp_neq_f32_e32 vcc_lo, 1.0, v3
	v_cmp_neq_f32_e64 s0, 0, v4
	s_or_b32 s0, vcc_lo, s0
	s_orn2_b32 s0, s0, exec_lo
.LBB179_2:
	s_or_b32 exec_lo, exec_lo, s1
	s_and_saveexec_b32 s1, s0
	s_cbranch_execz .LBB179_21
; %bb.3:
	s_load_dwordx2 s[0:1], s[4:5], 0x0
	v_lshrrev_b32_e32 v5, 4, v0
	v_lshl_or_b32 v5, s6, 3, v5
	s_waitcnt lgkmcnt(0)
	v_cmp_gt_i32_e32 vcc_lo, s0, v5
	s_and_b32 exec_lo, exec_lo, vcc_lo
	s_cbranch_execz .LBB179_21
; %bb.4:
	s_load_dwordx8 s[8:15], s[4:5], 0x10
	v_ashrrev_i32_e32 v6, 31, v5
	v_and_b32_e32 v0, 15, v0
	s_cmp_lg_u32 s1, 0
	v_lshlrev_b64 v[6:7], 2, v[5:6]
	s_waitcnt lgkmcnt(0)
	v_add_co_u32 v6, vcc_lo, s8, v6
	v_add_co_ci_u32_e64 v7, null, s9, v7, vcc_lo
	global_load_dwordx2 v[6:7], v[6:7], off
	s_waitcnt vmcnt(0)
	v_subrev_nc_u32_e32 v6, s2, v6
	v_subrev_nc_u32_e32 v15, s2, v7
	v_add_nc_u32_e32 v6, v6, v0
	v_cmp_lt_i32_e64 s0, v6, v15
	s_cbranch_scc0 .LBB179_10
; %bb.5:
	v_mov_b32_e32 v13, 0
	v_mov_b32_e32 v16, 0
	;; [unrolled: 1-line block ×4, first 2 shown]
	s_and_saveexec_b32 s1, s0
	s_cbranch_execz .LBB179_9
; %bb.6:
	v_mad_u64_u32 v[7:8], null, v6, 14, 12
	v_mov_b32_e32 v10, 0
	v_mov_b32_e32 v11, v6
	;; [unrolled: 1-line block ×6, first 2 shown]
	s_mov_b32 s3, 0
.LBB179_7:                              ; =>This Inner Loop Header: Depth=1
	v_ashrrev_i32_e32 v12, 31, v11
	v_mov_b32_e32 v39, v10
	v_lshlrev_b64 v[8:9], 2, v[11:12]
	v_add_nc_u32_e32 v11, 16, v11
	v_add_co_u32 v8, vcc_lo, s10, v8
	v_add_co_ci_u32_e64 v9, null, s11, v9, vcc_lo
	global_load_dword v12, v[8:9], off
	v_add_nc_u32_e32 v9, -12, v7
	v_mov_b32_e32 v8, v10
	v_lshlrev_b64 v[18:19], 3, v[9:10]
	v_add_nc_u32_e32 v9, -10, v7
	v_lshlrev_b64 v[20:21], 3, v[7:8]
	v_lshlrev_b64 v[8:9], 3, v[9:10]
	v_add_co_u32 v18, vcc_lo, s12, v18
	v_add_co_ci_u32_e64 v19, null, s13, v19, vcc_lo
	v_add_co_u32 v42, vcc_lo, s12, v20
	v_add_co_ci_u32_e64 v43, null, s13, v21, vcc_lo
	;; [unrolled: 2-line block ×3, first 2 shown]
	s_clause 0x1
	global_load_dwordx4 v[18:21], v[18:19], off
	global_load_dwordx4 v[22:25], v[8:9], off
	s_waitcnt vmcnt(2)
	v_subrev_nc_u32_e32 v8, s2, v12
	v_mul_lo_u32 v38, v8, 7
	v_lshlrev_b64 v[26:27], 3, v[38:39]
	v_add_nc_u32_e32 v9, 1, v38
	v_lshlrev_b64 v[28:29], 3, v[9:10]
	v_add_co_u32 v26, vcc_lo, s14, v26
	v_add_co_ci_u32_e64 v27, null, s15, v27, vcc_lo
	v_add_nc_u32_e32 v9, -8, v7
	v_add_co_u32 v28, vcc_lo, s14, v28
	global_load_dwordx2 v[46:47], v[26:27], off
	v_add_co_ci_u32_e64 v29, null, s15, v29, vcc_lo
	v_lshlrev_b64 v[30:31], 3, v[9:10]
	v_add_nc_u32_e32 v9, 2, v38
	global_load_dwordx2 v[48:49], v[28:29], off
	v_lshlrev_b64 v[26:27], 3, v[9:10]
	v_add_nc_u32_e32 v9, -6, v7
	v_add_co_u32 v28, vcc_lo, s12, v30
	v_add_co_ci_u32_e64 v29, null, s13, v31, vcc_lo
	v_lshlrev_b64 v[30:31], 3, v[9:10]
	v_add_nc_u32_e32 v9, 3, v38
	v_add_co_u32 v32, vcc_lo, s14, v26
	v_add_co_ci_u32_e64 v33, null, s15, v27, vcc_lo
	v_lshlrev_b64 v[34:35], 3, v[9:10]
	v_add_nc_u32_e32 v9, -4, v7
	global_load_dwordx4 v[26:29], v[28:29], off
	global_load_dwordx2 v[50:51], v[32:33], off
	v_add_co_u32 v30, vcc_lo, s12, v30
	v_lshlrev_b64 v[36:37], 3, v[9:10]
	v_add_nc_u32_e32 v9, 4, v38
	v_add_co_ci_u32_e64 v31, null, s13, v31, vcc_lo
	v_add_co_u32 v34, vcc_lo, s14, v34
	v_add_co_ci_u32_e64 v35, null, s15, v35, vcc_lo
	v_lshlrev_b64 v[39:40], 3, v[9:10]
	v_add_nc_u32_e32 v9, -2, v7
	v_add_nc_u32_e32 v7, 0xe0, v7
	global_load_dwordx2 v[52:53], v[34:35], off
	global_load_dwordx4 v[30:33], v[30:31], off
	v_add_co_u32 v34, vcc_lo, s12, v36
	v_add_co_ci_u32_e64 v35, null, s13, v37, vcc_lo
	v_lshlrev_b64 v[44:45], 3, v[9:10]
	v_add_nc_u32_e32 v9, 5, v38
	v_add_co_u32 v39, vcc_lo, s14, v39
	v_add_co_ci_u32_e64 v40, null, s15, v40, vcc_lo
	v_lshlrev_b64 v[54:55], 3, v[9:10]
	global_load_dwordx4 v[34:37], v[34:35], off
	v_add_nc_u32_e32 v9, 6, v38
	global_load_dwordx2 v[56:57], v[39:40], off
	v_add_co_u32 v38, vcc_lo, s12, v44
	v_add_co_ci_u32_e64 v39, null, s13, v45, vcc_lo
	v_add_co_u32 v44, vcc_lo, s14, v54
	v_add_co_ci_u32_e64 v45, null, s15, v55, vcc_lo
	v_lshlrev_b64 v[8:9], 3, v[9:10]
	global_load_dwordx4 v[38:41], v[38:39], off
	global_load_dwordx2 v[54:55], v[44:45], off
	v_add_co_u32 v8, vcc_lo, s14, v8
	v_add_co_ci_u32_e64 v9, null, s15, v9, vcc_lo
	global_load_dwordx4 v[42:45], v[42:43], off
	global_load_dwordx2 v[8:9], v[8:9], off
	v_cmp_ge_i32_e32 vcc_lo, v11, v15
	s_or_b32 s3, vcc_lo, s3
	s_waitcnt vmcnt(11)
	v_fmac_f32_e32 v16, v18, v46
	v_fmac_f32_e32 v13, v19, v46
	v_fmac_f32_e32 v17, v20, v46
	v_fmac_f32_e32 v14, v21, v46
	v_fma_f32 v12, -v19, v47, v16
	v_fmac_f32_e32 v13, v18, v47
	v_fma_f32 v16, -v21, v47, v17
	v_fmac_f32_e32 v14, v20, v47
	s_waitcnt vmcnt(10)
	v_fmac_f32_e32 v12, v22, v48
	v_fmac_f32_e32 v13, v23, v48
	v_fmac_f32_e32 v16, v24, v48
	v_fmac_f32_e32 v14, v25, v48
	v_fma_f32 v12, -v23, v49, v12
	v_fmac_f32_e32 v13, v22, v49
	v_fma_f32 v16, -v25, v49, v16
	v_fmac_f32_e32 v14, v24, v49
	;; [unrolled: 9-line block ×7, first 2 shown]
	s_andn2_b32 exec_lo, exec_lo, s3
	s_cbranch_execnz .LBB179_7
; %bb.8:
	s_or_b32 exec_lo, exec_lo, s3
.LBB179_9:
	s_or_b32 exec_lo, exec_lo, s1
	s_cbranch_execz .LBB179_11
	s_branch .LBB179_16
.LBB179_10:
                                        ; implicit-def: $vgpr13
                                        ; implicit-def: $vgpr16
                                        ; implicit-def: $vgpr17
                                        ; implicit-def: $vgpr14
.LBB179_11:
	v_mov_b32_e32 v13, 0
	v_mov_b32_e32 v16, 0
	;; [unrolled: 1-line block ×4, first 2 shown]
	s_and_saveexec_b32 s1, s0
	s_cbranch_execz .LBB179_15
; %bb.12:
	v_mad_u64_u32 v[8:9], null, v6, 14, 13
	v_mov_b32_e32 v11, 0
	v_mov_b32_e32 v13, 0
	;; [unrolled: 1-line block ×5, first 2 shown]
	s_mov_b32 s0, 0
.LBB179_13:                             ; =>This Inner Loop Header: Depth=1
	v_ashrrev_i32_e32 v7, 31, v6
	v_add_nc_u32_e32 v18, -6, v8
	v_mov_b32_e32 v19, v11
	v_mov_b32_e32 v23, v11
	v_lshlrev_b64 v[9:10], 2, v[6:7]
	v_add_nc_u32_e32 v6, 16, v6
	v_lshlrev_b64 v[18:19], 3, v[18:19]
	v_add_co_u32 v9, vcc_lo, s10, v9
	v_add_co_ci_u32_e64 v10, null, s11, v10, vcc_lo
	global_load_dword v7, v[9:10], off
	v_add_nc_u32_e32 v10, -13, v8
	v_mov_b32_e32 v9, v11
	v_lshlrev_b64 v[20:21], 3, v[10:11]
	v_lshlrev_b64 v[9:10], 3, v[8:9]
	v_add_co_u32 v20, vcc_lo, s12, v20
	v_add_co_ci_u32_e64 v21, null, s13, v21, vcc_lo
	v_add_co_u32 v24, vcc_lo, s12, v18
	v_add_co_ci_u32_e64 v25, null, s13, v19, vcc_lo
	;; [unrolled: 2-line block ×3, first 2 shown]
	s_clause 0x2
	global_load_dwordx4 v[18:21], v[20:21], off
	global_load_dwordx2 v[24:25], v[24:25], off
	global_load_dwordx2 v[26:27], v[9:10], off
	s_waitcnt vmcnt(3)
	v_subrev_nc_u32_e32 v7, s2, v7
	v_mul_lo_u32 v22, v7, 7
	v_add_nc_u32_e32 v10, 1, v22
	v_lshlrev_b64 v[28:29], 3, v[22:23]
	v_lshlrev_b64 v[30:31], 3, v[10:11]
	v_add_nc_u32_e32 v10, -5, v8
	v_add_co_u32 v28, vcc_lo, s14, v28
	v_add_co_ci_u32_e64 v29, null, s15, v29, vcc_lo
	v_lshlrev_b64 v[32:33], 3, v[10:11]
	v_add_nc_u32_e32 v10, -11, v8
	v_add_co_u32 v30, vcc_lo, s14, v30
	global_load_dwordx2 v[28:29], v[28:29], off
	v_add_co_ci_u32_e64 v31, null, s15, v31, vcc_lo
	v_lshlrev_b64 v[34:35], 3, v[10:11]
	v_add_nc_u32_e32 v10, 2, v22
	v_add_co_u32 v32, vcc_lo, s12, v32
	v_add_co_ci_u32_e64 v33, null, s13, v33, vcc_lo
	v_lshlrev_b64 v[36:37], 3, v[10:11]
	v_add_nc_u32_e32 v10, -4, v8
	v_add_co_u32 v34, vcc_lo, s12, v34
	global_load_dwordx2 v[30:31], v[30:31], off
	global_load_dwordx2 v[32:33], v[32:33], off
	v_lshlrev_b64 v[38:39], 3, v[10:11]
	v_add_nc_u32_e32 v10, -10, v8
	v_add_co_ci_u32_e64 v35, null, s13, v35, vcc_lo
	v_add_co_u32 v36, vcc_lo, s14, v36
	v_lshlrev_b64 v[40:41], 3, v[10:11]
	v_add_nc_u32_e32 v10, 3, v22
	v_add_co_ci_u32_e64 v37, null, s15, v37, vcc_lo
	v_add_co_u32 v38, vcc_lo, s12, v38
	v_lshlrev_b64 v[42:43], 3, v[10:11]
	v_add_nc_u32_e32 v10, -3, v8
	v_add_co_ci_u32_e64 v39, null, s13, v39, vcc_lo
	v_add_co_u32 v40, vcc_lo, s12, v40
	v_lshlrev_b64 v[44:45], 3, v[10:11]
	v_add_nc_u32_e32 v10, -9, v8
	global_load_dwordx2 v[34:35], v[34:35], off
	global_load_dwordx2 v[36:37], v[36:37], off
	;; [unrolled: 1-line block ×3, first 2 shown]
	v_add_co_ci_u32_e64 v41, null, s13, v41, vcc_lo
	v_lshlrev_b64 v[46:47], 3, v[10:11]
	v_add_nc_u32_e32 v10, 4, v22
	v_add_co_u32 v42, vcc_lo, s14, v42
	v_add_co_ci_u32_e64 v43, null, s15, v43, vcc_lo
	v_lshlrev_b64 v[48:49], 3, v[10:11]
	v_add_nc_u32_e32 v10, -2, v8
	v_add_co_u32 v44, vcc_lo, s12, v44
	v_add_co_ci_u32_e64 v45, null, s13, v45, vcc_lo
	v_lshlrev_b64 v[50:51], 3, v[10:11]
	v_add_nc_u32_e32 v10, -8, v8
	v_add_co_u32 v46, vcc_lo, s12, v46
	global_load_dwordx2 v[40:41], v[40:41], off
	global_load_dwordx2 v[42:43], v[42:43], off
	v_lshlrev_b64 v[52:53], 3, v[10:11]
	v_add_nc_u32_e32 v10, 5, v22
	global_load_dwordx2 v[44:45], v[44:45], off
	v_add_co_ci_u32_e64 v47, null, s13, v47, vcc_lo
	v_add_co_u32 v48, vcc_lo, s14, v48
	v_lshlrev_b64 v[54:55], 3, v[10:11]
	v_add_nc_u32_e32 v10, -1, v8
	v_add_co_ci_u32_e64 v49, null, s15, v49, vcc_lo
	v_add_co_u32 v50, vcc_lo, s12, v50
	v_add_co_ci_u32_e64 v51, null, s13, v51, vcc_lo
	v_lshlrev_b64 v[56:57], 3, v[10:11]
	v_add_nc_u32_e32 v10, -7, v8
	v_add_co_u32 v52, vcc_lo, s12, v52
	global_load_dwordx2 v[46:47], v[46:47], off
	global_load_dwordx2 v[48:49], v[48:49], off
	;; [unrolled: 1-line block ×3, first 2 shown]
	v_add_co_ci_u32_e64 v53, null, s13, v53, vcc_lo
	v_add_co_u32 v54, vcc_lo, s14, v54
	v_add_co_ci_u32_e64 v55, null, s15, v55, vcc_lo
	v_lshlrev_b64 v[58:59], 3, v[10:11]
	v_add_nc_u32_e32 v10, 6, v22
	v_add_co_u32 v22, vcc_lo, s12, v56
	v_add_co_ci_u32_e64 v23, null, s13, v57, vcc_lo
	v_lshlrev_b64 v[9:10], 3, v[10:11]
	global_load_dwordx2 v[52:53], v[52:53], off
	global_load_dwordx2 v[54:55], v[54:55], off
	;; [unrolled: 1-line block ×3, first 2 shown]
	v_add_co_u32 v56, vcc_lo, s12, v58
	v_add_co_ci_u32_e64 v57, null, s13, v59, vcc_lo
	v_add_co_u32 v9, vcc_lo, s14, v9
	v_add_co_ci_u32_e64 v10, null, s15, v10, vcc_lo
	global_load_dwordx2 v[56:57], v[56:57], off
	global_load_dwordx2 v[9:10], v[9:10], off
	v_cmp_ge_i32_e32 vcc_lo, v6, v15
	v_add_nc_u32_e32 v8, 0xe0, v8
	s_or_b32 s0, vcc_lo, s0
	s_waitcnt vmcnt(16)
	v_fmac_f32_e32 v16, v18, v28
	v_fmac_f32_e32 v13, v19, v28
	;; [unrolled: 1-line block ×4, first 2 shown]
	v_fma_f32 v7, -v19, v29, v16
	v_fmac_f32_e32 v13, v18, v29
	v_fma_f32 v12, -v25, v29, v17
	v_fmac_f32_e32 v14, v24, v29
	s_waitcnt vmcnt(15)
	v_fmac_f32_e32 v7, v20, v30
	v_fmac_f32_e32 v13, v21, v30
	s_waitcnt vmcnt(14)
	v_fmac_f32_e32 v12, v32, v30
	v_fmac_f32_e32 v14, v33, v30
	v_fma_f32 v7, -v21, v31, v7
	v_fmac_f32_e32 v13, v20, v31
	v_fma_f32 v12, -v33, v31, v12
	v_fmac_f32_e32 v14, v32, v31
	s_waitcnt vmcnt(12)
	v_fmac_f32_e32 v7, v34, v36
	v_fmac_f32_e32 v13, v35, v36
	s_waitcnt vmcnt(11)
	v_fmac_f32_e32 v12, v38, v36
	v_fmac_f32_e32 v14, v39, v36
	;; [unrolled: 10-line block ×5, first 2 shown]
	v_fma_f32 v7, -v53, v55, v7
	v_fmac_f32_e32 v13, v52, v55
	v_fma_f32 v12, -v23, v55, v12
	v_fmac_f32_e32 v14, v22, v55
	s_waitcnt vmcnt(0)
	v_fmac_f32_e32 v7, v56, v9
	v_fmac_f32_e32 v13, v57, v9
	;; [unrolled: 1-line block ×4, first 2 shown]
	v_fma_f32 v16, -v57, v10, v7
	v_fmac_f32_e32 v13, v56, v10
	v_fma_f32 v17, -v27, v10, v12
	v_fmac_f32_e32 v14, v26, v10
	s_andn2_b32 exec_lo, exec_lo, s0
	s_cbranch_execnz .LBB179_13
; %bb.14:
	s_or_b32 exec_lo, exec_lo, s0
.LBB179_15:
	s_or_b32 exec_lo, exec_lo, s1
.LBB179_16:
	v_mbcnt_lo_u32_b32 v6, -1, 0
	v_xor_b32_e32 v7, 8, v6
	v_xor_b32_e32 v11, 4, v6
	;; [unrolled: 1-line block ×3, first 2 shown]
	v_cmp_gt_i32_e32 vcc_lo, 32, v7
	v_cndmask_b32_e32 v7, v6, v7, vcc_lo
	v_cmp_gt_i32_e32 vcc_lo, 32, v11
	v_lshlrev_b32_e32 v7, 2, v7
	v_cndmask_b32_e32 v11, v6, v11, vcc_lo
	v_cmp_gt_i32_e32 vcc_lo, 32, v15
	ds_bpermute_b32 v8, v7, v16
	ds_bpermute_b32 v9, v7, v13
	;; [unrolled: 1-line block ×4, first 2 shown]
	v_lshlrev_b32_e32 v11, 2, v11
	v_cndmask_b32_e32 v15, v6, v15, vcc_lo
	v_lshlrev_b32_e32 v15, 2, v15
	s_waitcnt lgkmcnt(3)
	v_add_f32_e32 v8, v16, v8
	s_waitcnt lgkmcnt(2)
	v_add_f32_e32 v9, v13, v9
	s_waitcnt lgkmcnt(1)
	v_add_f32_e32 v10, v17, v10
	s_waitcnt lgkmcnt(0)
	v_add_f32_e32 v7, v14, v7
	ds_bpermute_b32 v12, v11, v8
	ds_bpermute_b32 v13, v11, v9
	;; [unrolled: 1-line block ×4, first 2 shown]
	s_waitcnt lgkmcnt(3)
	v_add_f32_e32 v8, v8, v12
	s_waitcnt lgkmcnt(2)
	v_add_f32_e32 v9, v9, v13
	;; [unrolled: 2-line block ×4, first 2 shown]
	ds_bpermute_b32 v11, v15, v8
	ds_bpermute_b32 v12, v15, v9
	;; [unrolled: 1-line block ×4, first 2 shown]
	v_xor_b32_e32 v15, 1, v6
	v_cmp_gt_i32_e32 vcc_lo, 32, v15
	v_cndmask_b32_e32 v6, v6, v15, vcc_lo
	v_cmp_eq_u32_e32 vcc_lo, 15, v0
	v_lshlrev_b32_e32 v15, 2, v6
	s_waitcnt lgkmcnt(3)
	v_add_f32_e32 v8, v8, v11
	s_waitcnt lgkmcnt(2)
	v_add_f32_e32 v9, v9, v12
	;; [unrolled: 2-line block ×4, first 2 shown]
	ds_bpermute_b32 v12, v15, v8
	ds_bpermute_b32 v13, v15, v9
	;; [unrolled: 1-line block ×4, first 2 shown]
	s_and_b32 exec_lo, exec_lo, vcc_lo
	s_cbranch_execz .LBB179_21
; %bb.17:
	s_load_dwordx2 s[2:3], s[4:5], 0x38
	v_cmp_eq_f32_e32 vcc_lo, 0, v3
	v_cmp_eq_f32_e64 s0, 0, v4
	s_waitcnt lgkmcnt(0)
	v_add_f32_e32 v0, v8, v12
	v_add_f32_e32 v8, v9, v13
	;; [unrolled: 1-line block ×4, first 2 shown]
	s_and_b32 s0, vcc_lo, s0
	s_and_saveexec_b32 s1, s0
	s_xor_b32 s0, exec_lo, s1
	s_cbranch_execz .LBB179_19
; %bb.18:
	v_lshlrev_b32_e32 v3, 1, v5
	v_mul_f32_e64 v9, v8, -v2
	v_mul_f32_e32 v10, v1, v8
	v_mul_f32_e64 v11, v7, -v2
	v_mul_f32_e32 v12, v1, v7
	v_ashrrev_i32_e32 v4, 31, v3
	v_fmac_f32_e32 v9, v1, v0
	v_fmac_f32_e32 v10, v2, v0
	v_fmac_f32_e32 v11, v1, v6
	v_fmac_f32_e32 v12, v2, v6
	v_lshlrev_b64 v[3:4], 3, v[3:4]
                                        ; implicit-def: $vgpr5
                                        ; implicit-def: $vgpr8
                                        ; implicit-def: $vgpr7
                                        ; implicit-def: $vgpr6
	v_add_co_u32 v0, vcc_lo, s2, v3
	v_add_co_ci_u32_e64 v1, null, s3, v4, vcc_lo
                                        ; implicit-def: $vgpr3_vgpr4
	global_store_dwordx4 v[0:1], v[9:12], off
                                        ; implicit-def: $vgpr1_vgpr2
                                        ; implicit-def: $vgpr0
.LBB179_19:
	s_andn2_saveexec_b32 s0, s0
	s_cbranch_execz .LBB179_21
; %bb.20:
	v_lshlrev_b32_e32 v9, 1, v5
	v_mul_f32_e64 v5, v8, -v2
	v_mul_f32_e32 v14, v1, v8
	v_mul_f32_e64 v8, v7, -v2
	v_mul_f32_e32 v16, v1, v7
	v_ashrrev_i32_e32 v10, 31, v9
	v_fmac_f32_e32 v5, v1, v0
	v_fmac_f32_e32 v14, v2, v0
	;; [unrolled: 1-line block ×4, first 2 shown]
	v_lshlrev_b64 v[9:10], 3, v[9:10]
	v_add_co_u32 v17, vcc_lo, s2, v9
	v_add_co_ci_u32_e64 v18, null, s3, v10, vcc_lo
	global_load_dwordx4 v[9:12], v[17:18], off
	s_waitcnt vmcnt(0)
	v_fmac_f32_e32 v5, v3, v9
	v_fmac_f32_e32 v14, v4, v9
	;; [unrolled: 1-line block ×4, first 2 shown]
	v_fma_f32 v13, -v4, v10, v5
	v_fmac_f32_e32 v14, v3, v10
	v_fma_f32 v15, -v4, v12, v8
	v_fmac_f32_e32 v16, v3, v12
	global_store_dwordx4 v[17:18], v[13:16], off
.LBB179_21:
	s_endpgm
	.section	.rodata,"a",@progbits
	.p2align	6, 0x0
	.amdhsa_kernel _ZN9rocsparseL19gebsrmvn_2xn_kernelILj128ELj7ELj16E21rocsparse_complex_numIfEEEvi20rocsparse_direction_NS_24const_host_device_scalarIT2_EEPKiS8_PKS5_SA_S6_PS5_21rocsparse_index_base_b
		.amdhsa_group_segment_fixed_size 0
		.amdhsa_private_segment_fixed_size 0
		.amdhsa_kernarg_size 72
		.amdhsa_user_sgpr_count 6
		.amdhsa_user_sgpr_private_segment_buffer 1
		.amdhsa_user_sgpr_dispatch_ptr 0
		.amdhsa_user_sgpr_queue_ptr 0
		.amdhsa_user_sgpr_kernarg_segment_ptr 1
		.amdhsa_user_sgpr_dispatch_id 0
		.amdhsa_user_sgpr_flat_scratch_init 0
		.amdhsa_user_sgpr_private_segment_size 0
		.amdhsa_wavefront_size32 1
		.amdhsa_uses_dynamic_stack 0
		.amdhsa_system_sgpr_private_segment_wavefront_offset 0
		.amdhsa_system_sgpr_workgroup_id_x 1
		.amdhsa_system_sgpr_workgroup_id_y 0
		.amdhsa_system_sgpr_workgroup_id_z 0
		.amdhsa_system_sgpr_workgroup_info 0
		.amdhsa_system_vgpr_workitem_id 0
		.amdhsa_next_free_vgpr 60
		.amdhsa_next_free_sgpr 16
		.amdhsa_reserve_vcc 1
		.amdhsa_reserve_flat_scratch 0
		.amdhsa_float_round_mode_32 0
		.amdhsa_float_round_mode_16_64 0
		.amdhsa_float_denorm_mode_32 3
		.amdhsa_float_denorm_mode_16_64 3
		.amdhsa_dx10_clamp 1
		.amdhsa_ieee_mode 1
		.amdhsa_fp16_overflow 0
		.amdhsa_workgroup_processor_mode 1
		.amdhsa_memory_ordered 1
		.amdhsa_forward_progress 1
		.amdhsa_shared_vgpr_count 0
		.amdhsa_exception_fp_ieee_invalid_op 0
		.amdhsa_exception_fp_denorm_src 0
		.amdhsa_exception_fp_ieee_div_zero 0
		.amdhsa_exception_fp_ieee_overflow 0
		.amdhsa_exception_fp_ieee_underflow 0
		.amdhsa_exception_fp_ieee_inexact 0
		.amdhsa_exception_int_div_zero 0
	.end_amdhsa_kernel
	.section	.text._ZN9rocsparseL19gebsrmvn_2xn_kernelILj128ELj7ELj16E21rocsparse_complex_numIfEEEvi20rocsparse_direction_NS_24const_host_device_scalarIT2_EEPKiS8_PKS5_SA_S6_PS5_21rocsparse_index_base_b,"axG",@progbits,_ZN9rocsparseL19gebsrmvn_2xn_kernelILj128ELj7ELj16E21rocsparse_complex_numIfEEEvi20rocsparse_direction_NS_24const_host_device_scalarIT2_EEPKiS8_PKS5_SA_S6_PS5_21rocsparse_index_base_b,comdat
.Lfunc_end179:
	.size	_ZN9rocsparseL19gebsrmvn_2xn_kernelILj128ELj7ELj16E21rocsparse_complex_numIfEEEvi20rocsparse_direction_NS_24const_host_device_scalarIT2_EEPKiS8_PKS5_SA_S6_PS5_21rocsparse_index_base_b, .Lfunc_end179-_ZN9rocsparseL19gebsrmvn_2xn_kernelILj128ELj7ELj16E21rocsparse_complex_numIfEEEvi20rocsparse_direction_NS_24const_host_device_scalarIT2_EEPKiS8_PKS5_SA_S6_PS5_21rocsparse_index_base_b
                                        ; -- End function
	.set _ZN9rocsparseL19gebsrmvn_2xn_kernelILj128ELj7ELj16E21rocsparse_complex_numIfEEEvi20rocsparse_direction_NS_24const_host_device_scalarIT2_EEPKiS8_PKS5_SA_S6_PS5_21rocsparse_index_base_b.num_vgpr, 60
	.set _ZN9rocsparseL19gebsrmvn_2xn_kernelILj128ELj7ELj16E21rocsparse_complex_numIfEEEvi20rocsparse_direction_NS_24const_host_device_scalarIT2_EEPKiS8_PKS5_SA_S6_PS5_21rocsparse_index_base_b.num_agpr, 0
	.set _ZN9rocsparseL19gebsrmvn_2xn_kernelILj128ELj7ELj16E21rocsparse_complex_numIfEEEvi20rocsparse_direction_NS_24const_host_device_scalarIT2_EEPKiS8_PKS5_SA_S6_PS5_21rocsparse_index_base_b.numbered_sgpr, 16
	.set _ZN9rocsparseL19gebsrmvn_2xn_kernelILj128ELj7ELj16E21rocsparse_complex_numIfEEEvi20rocsparse_direction_NS_24const_host_device_scalarIT2_EEPKiS8_PKS5_SA_S6_PS5_21rocsparse_index_base_b.num_named_barrier, 0
	.set _ZN9rocsparseL19gebsrmvn_2xn_kernelILj128ELj7ELj16E21rocsparse_complex_numIfEEEvi20rocsparse_direction_NS_24const_host_device_scalarIT2_EEPKiS8_PKS5_SA_S6_PS5_21rocsparse_index_base_b.private_seg_size, 0
	.set _ZN9rocsparseL19gebsrmvn_2xn_kernelILj128ELj7ELj16E21rocsparse_complex_numIfEEEvi20rocsparse_direction_NS_24const_host_device_scalarIT2_EEPKiS8_PKS5_SA_S6_PS5_21rocsparse_index_base_b.uses_vcc, 1
	.set _ZN9rocsparseL19gebsrmvn_2xn_kernelILj128ELj7ELj16E21rocsparse_complex_numIfEEEvi20rocsparse_direction_NS_24const_host_device_scalarIT2_EEPKiS8_PKS5_SA_S6_PS5_21rocsparse_index_base_b.uses_flat_scratch, 0
	.set _ZN9rocsparseL19gebsrmvn_2xn_kernelILj128ELj7ELj16E21rocsparse_complex_numIfEEEvi20rocsparse_direction_NS_24const_host_device_scalarIT2_EEPKiS8_PKS5_SA_S6_PS5_21rocsparse_index_base_b.has_dyn_sized_stack, 0
	.set _ZN9rocsparseL19gebsrmvn_2xn_kernelILj128ELj7ELj16E21rocsparse_complex_numIfEEEvi20rocsparse_direction_NS_24const_host_device_scalarIT2_EEPKiS8_PKS5_SA_S6_PS5_21rocsparse_index_base_b.has_recursion, 0
	.set _ZN9rocsparseL19gebsrmvn_2xn_kernelILj128ELj7ELj16E21rocsparse_complex_numIfEEEvi20rocsparse_direction_NS_24const_host_device_scalarIT2_EEPKiS8_PKS5_SA_S6_PS5_21rocsparse_index_base_b.has_indirect_call, 0
	.section	.AMDGPU.csdata,"",@progbits
; Kernel info:
; codeLenInByte = 3048
; TotalNumSgprs: 18
; NumVgprs: 60
; ScratchSize: 0
; MemoryBound: 0
; FloatMode: 240
; IeeeMode: 1
; LDSByteSize: 0 bytes/workgroup (compile time only)
; SGPRBlocks: 0
; VGPRBlocks: 7
; NumSGPRsForWavesPerEU: 18
; NumVGPRsForWavesPerEU: 60
; Occupancy: 16
; WaveLimiterHint : 1
; COMPUTE_PGM_RSRC2:SCRATCH_EN: 0
; COMPUTE_PGM_RSRC2:USER_SGPR: 6
; COMPUTE_PGM_RSRC2:TRAP_HANDLER: 0
; COMPUTE_PGM_RSRC2:TGID_X_EN: 1
; COMPUTE_PGM_RSRC2:TGID_Y_EN: 0
; COMPUTE_PGM_RSRC2:TGID_Z_EN: 0
; COMPUTE_PGM_RSRC2:TIDIG_COMP_CNT: 0
	.section	.text._ZN9rocsparseL19gebsrmvn_2xn_kernelILj128ELj7ELj32E21rocsparse_complex_numIfEEEvi20rocsparse_direction_NS_24const_host_device_scalarIT2_EEPKiS8_PKS5_SA_S6_PS5_21rocsparse_index_base_b,"axG",@progbits,_ZN9rocsparseL19gebsrmvn_2xn_kernelILj128ELj7ELj32E21rocsparse_complex_numIfEEEvi20rocsparse_direction_NS_24const_host_device_scalarIT2_EEPKiS8_PKS5_SA_S6_PS5_21rocsparse_index_base_b,comdat
	.globl	_ZN9rocsparseL19gebsrmvn_2xn_kernelILj128ELj7ELj32E21rocsparse_complex_numIfEEEvi20rocsparse_direction_NS_24const_host_device_scalarIT2_EEPKiS8_PKS5_SA_S6_PS5_21rocsparse_index_base_b ; -- Begin function _ZN9rocsparseL19gebsrmvn_2xn_kernelILj128ELj7ELj32E21rocsparse_complex_numIfEEEvi20rocsparse_direction_NS_24const_host_device_scalarIT2_EEPKiS8_PKS5_SA_S6_PS5_21rocsparse_index_base_b
	.p2align	8
	.type	_ZN9rocsparseL19gebsrmvn_2xn_kernelILj128ELj7ELj32E21rocsparse_complex_numIfEEEvi20rocsparse_direction_NS_24const_host_device_scalarIT2_EEPKiS8_PKS5_SA_S6_PS5_21rocsparse_index_base_b,@function
_ZN9rocsparseL19gebsrmvn_2xn_kernelILj128ELj7ELj32E21rocsparse_complex_numIfEEEvi20rocsparse_direction_NS_24const_host_device_scalarIT2_EEPKiS8_PKS5_SA_S6_PS5_21rocsparse_index_base_b: ; @_ZN9rocsparseL19gebsrmvn_2xn_kernelILj128ELj7ELj32E21rocsparse_complex_numIfEEEvi20rocsparse_direction_NS_24const_host_device_scalarIT2_EEPKiS8_PKS5_SA_S6_PS5_21rocsparse_index_base_b
; %bb.0:
	s_clause 0x2
	s_load_dwordx2 s[2:3], s[4:5], 0x40
	s_load_dwordx2 s[0:1], s[4:5], 0x8
	;; [unrolled: 1-line block ×3, first 2 shown]
	s_add_u32 s7, s4, 8
	s_addc_u32 s10, s5, 0
	s_add_u32 s11, s4, 48
	s_addc_u32 s12, s5, 0
	s_waitcnt lgkmcnt(0)
	s_bitcmp1_b32 s3, 0
	s_cselect_b32 s0, s7, s0
	s_cselect_b32 s1, s10, s1
	v_mov_b32_e32 v1, s0
	v_mov_b32_e32 v2, s1
	s_cselect_b32 s0, s11, s8
	s_cselect_b32 s1, s12, s9
	v_mov_b32_e32 v3, s0
	v_mov_b32_e32 v4, s1
	flat_load_dwordx2 v[1:2], v[1:2]
	flat_load_dwordx2 v[3:4], v[3:4]
	s_waitcnt vmcnt(1) lgkmcnt(1)
	v_cmp_eq_f32_e32 vcc_lo, 0, v1
	v_cmp_eq_f32_e64 s0, 0, v2
	s_and_b32 s3, vcc_lo, s0
	s_mov_b32 s0, -1
	s_and_saveexec_b32 s1, s3
	s_cbranch_execz .LBB180_2
; %bb.1:
	s_waitcnt vmcnt(0) lgkmcnt(0)
	v_cmp_neq_f32_e32 vcc_lo, 1.0, v3
	v_cmp_neq_f32_e64 s0, 0, v4
	s_or_b32 s0, vcc_lo, s0
	s_orn2_b32 s0, s0, exec_lo
.LBB180_2:
	s_or_b32 exec_lo, exec_lo, s1
	s_and_saveexec_b32 s1, s0
	s_cbranch_execz .LBB180_21
; %bb.3:
	s_load_dwordx2 s[0:1], s[4:5], 0x0
	v_lshrrev_b32_e32 v5, 5, v0
	v_lshl_or_b32 v5, s6, 2, v5
	s_waitcnt lgkmcnt(0)
	v_cmp_gt_i32_e32 vcc_lo, s0, v5
	s_and_b32 exec_lo, exec_lo, vcc_lo
	s_cbranch_execz .LBB180_21
; %bb.4:
	s_load_dwordx8 s[8:15], s[4:5], 0x10
	v_ashrrev_i32_e32 v6, 31, v5
	v_and_b32_e32 v0, 31, v0
	s_cmp_lg_u32 s1, 0
	v_lshlrev_b64 v[6:7], 2, v[5:6]
	s_waitcnt lgkmcnt(0)
	v_add_co_u32 v6, vcc_lo, s8, v6
	v_add_co_ci_u32_e64 v7, null, s9, v7, vcc_lo
	global_load_dwordx2 v[6:7], v[6:7], off
	s_waitcnt vmcnt(0)
	v_subrev_nc_u32_e32 v6, s2, v6
	v_subrev_nc_u32_e32 v15, s2, v7
	v_add_nc_u32_e32 v6, v6, v0
	v_cmp_lt_i32_e64 s0, v6, v15
	s_cbranch_scc0 .LBB180_10
; %bb.5:
	v_mov_b32_e32 v13, 0
	v_mov_b32_e32 v16, 0
	;; [unrolled: 1-line block ×4, first 2 shown]
	s_and_saveexec_b32 s1, s0
	s_cbranch_execz .LBB180_9
; %bb.6:
	v_mad_u64_u32 v[7:8], null, v6, 14, 12
	v_mov_b32_e32 v10, 0
	v_mov_b32_e32 v11, v6
	v_mov_b32_e32 v13, 0
	v_mov_b32_e32 v16, 0
	v_mov_b32_e32 v17, 0
	v_mov_b32_e32 v14, 0
	s_mov_b32 s3, 0
.LBB180_7:                              ; =>This Inner Loop Header: Depth=1
	v_ashrrev_i32_e32 v12, 31, v11
	v_mov_b32_e32 v39, v10
	v_lshlrev_b64 v[8:9], 2, v[11:12]
	v_add_nc_u32_e32 v11, 32, v11
	v_add_co_u32 v8, vcc_lo, s10, v8
	v_add_co_ci_u32_e64 v9, null, s11, v9, vcc_lo
	global_load_dword v12, v[8:9], off
	v_add_nc_u32_e32 v9, -12, v7
	v_mov_b32_e32 v8, v10
	v_lshlrev_b64 v[18:19], 3, v[9:10]
	v_add_nc_u32_e32 v9, -10, v7
	v_lshlrev_b64 v[20:21], 3, v[7:8]
	v_lshlrev_b64 v[8:9], 3, v[9:10]
	v_add_co_u32 v18, vcc_lo, s12, v18
	v_add_co_ci_u32_e64 v19, null, s13, v19, vcc_lo
	v_add_co_u32 v42, vcc_lo, s12, v20
	v_add_co_ci_u32_e64 v43, null, s13, v21, vcc_lo
	v_add_co_u32 v8, vcc_lo, s12, v8
	v_add_co_ci_u32_e64 v9, null, s13, v9, vcc_lo
	s_clause 0x1
	global_load_dwordx4 v[18:21], v[18:19], off
	global_load_dwordx4 v[22:25], v[8:9], off
	s_waitcnt vmcnt(2)
	v_subrev_nc_u32_e32 v8, s2, v12
	v_mul_lo_u32 v38, v8, 7
	v_lshlrev_b64 v[26:27], 3, v[38:39]
	v_add_nc_u32_e32 v9, 1, v38
	v_lshlrev_b64 v[28:29], 3, v[9:10]
	v_add_co_u32 v26, vcc_lo, s14, v26
	v_add_co_ci_u32_e64 v27, null, s15, v27, vcc_lo
	v_add_nc_u32_e32 v9, -8, v7
	v_add_co_u32 v28, vcc_lo, s14, v28
	global_load_dwordx2 v[46:47], v[26:27], off
	v_add_co_ci_u32_e64 v29, null, s15, v29, vcc_lo
	v_lshlrev_b64 v[30:31], 3, v[9:10]
	v_add_nc_u32_e32 v9, 2, v38
	global_load_dwordx2 v[48:49], v[28:29], off
	v_lshlrev_b64 v[26:27], 3, v[9:10]
	v_add_nc_u32_e32 v9, -6, v7
	v_add_co_u32 v28, vcc_lo, s12, v30
	v_add_co_ci_u32_e64 v29, null, s13, v31, vcc_lo
	v_lshlrev_b64 v[30:31], 3, v[9:10]
	v_add_nc_u32_e32 v9, 3, v38
	v_add_co_u32 v32, vcc_lo, s14, v26
	v_add_co_ci_u32_e64 v33, null, s15, v27, vcc_lo
	v_lshlrev_b64 v[34:35], 3, v[9:10]
	v_add_nc_u32_e32 v9, -4, v7
	global_load_dwordx4 v[26:29], v[28:29], off
	global_load_dwordx2 v[50:51], v[32:33], off
	v_add_co_u32 v30, vcc_lo, s12, v30
	v_lshlrev_b64 v[36:37], 3, v[9:10]
	v_add_nc_u32_e32 v9, 4, v38
	v_add_co_ci_u32_e64 v31, null, s13, v31, vcc_lo
	v_add_co_u32 v34, vcc_lo, s14, v34
	v_add_co_ci_u32_e64 v35, null, s15, v35, vcc_lo
	v_lshlrev_b64 v[39:40], 3, v[9:10]
	v_add_nc_u32_e32 v9, -2, v7
	v_add_nc_u32_e32 v7, 0x1c0, v7
	global_load_dwordx2 v[52:53], v[34:35], off
	global_load_dwordx4 v[30:33], v[30:31], off
	v_add_co_u32 v34, vcc_lo, s12, v36
	v_add_co_ci_u32_e64 v35, null, s13, v37, vcc_lo
	v_lshlrev_b64 v[44:45], 3, v[9:10]
	v_add_nc_u32_e32 v9, 5, v38
	v_add_co_u32 v39, vcc_lo, s14, v39
	v_add_co_ci_u32_e64 v40, null, s15, v40, vcc_lo
	v_lshlrev_b64 v[54:55], 3, v[9:10]
	global_load_dwordx4 v[34:37], v[34:35], off
	v_add_nc_u32_e32 v9, 6, v38
	global_load_dwordx2 v[56:57], v[39:40], off
	v_add_co_u32 v38, vcc_lo, s12, v44
	v_add_co_ci_u32_e64 v39, null, s13, v45, vcc_lo
	v_add_co_u32 v44, vcc_lo, s14, v54
	v_add_co_ci_u32_e64 v45, null, s15, v55, vcc_lo
	v_lshlrev_b64 v[8:9], 3, v[9:10]
	global_load_dwordx4 v[38:41], v[38:39], off
	global_load_dwordx2 v[54:55], v[44:45], off
	v_add_co_u32 v8, vcc_lo, s14, v8
	v_add_co_ci_u32_e64 v9, null, s15, v9, vcc_lo
	global_load_dwordx4 v[42:45], v[42:43], off
	global_load_dwordx2 v[8:9], v[8:9], off
	v_cmp_ge_i32_e32 vcc_lo, v11, v15
	s_or_b32 s3, vcc_lo, s3
	s_waitcnt vmcnt(11)
	v_fmac_f32_e32 v16, v18, v46
	v_fmac_f32_e32 v13, v19, v46
	v_fmac_f32_e32 v17, v20, v46
	v_fmac_f32_e32 v14, v21, v46
	v_fma_f32 v12, -v19, v47, v16
	v_fmac_f32_e32 v13, v18, v47
	v_fma_f32 v16, -v21, v47, v17
	v_fmac_f32_e32 v14, v20, v47
	s_waitcnt vmcnt(10)
	v_fmac_f32_e32 v12, v22, v48
	v_fmac_f32_e32 v13, v23, v48
	v_fmac_f32_e32 v16, v24, v48
	v_fmac_f32_e32 v14, v25, v48
	v_fma_f32 v12, -v23, v49, v12
	v_fmac_f32_e32 v13, v22, v49
	v_fma_f32 v16, -v25, v49, v16
	v_fmac_f32_e32 v14, v24, v49
	;; [unrolled: 9-line block ×7, first 2 shown]
	s_andn2_b32 exec_lo, exec_lo, s3
	s_cbranch_execnz .LBB180_7
; %bb.8:
	s_or_b32 exec_lo, exec_lo, s3
.LBB180_9:
	s_or_b32 exec_lo, exec_lo, s1
	s_cbranch_execz .LBB180_11
	s_branch .LBB180_16
.LBB180_10:
                                        ; implicit-def: $vgpr13
                                        ; implicit-def: $vgpr16
                                        ; implicit-def: $vgpr17
                                        ; implicit-def: $vgpr14
.LBB180_11:
	v_mov_b32_e32 v13, 0
	v_mov_b32_e32 v16, 0
	v_mov_b32_e32 v17, 0
	v_mov_b32_e32 v14, 0
	s_and_saveexec_b32 s1, s0
	s_cbranch_execz .LBB180_15
; %bb.12:
	v_mad_u64_u32 v[8:9], null, v6, 14, 13
	v_mov_b32_e32 v11, 0
	v_mov_b32_e32 v13, 0
	;; [unrolled: 1-line block ×5, first 2 shown]
	s_mov_b32 s0, 0
.LBB180_13:                             ; =>This Inner Loop Header: Depth=1
	v_ashrrev_i32_e32 v7, 31, v6
	v_add_nc_u32_e32 v18, -6, v8
	v_mov_b32_e32 v19, v11
	v_mov_b32_e32 v23, v11
	v_lshlrev_b64 v[9:10], 2, v[6:7]
	v_add_nc_u32_e32 v6, 32, v6
	v_lshlrev_b64 v[18:19], 3, v[18:19]
	v_add_co_u32 v9, vcc_lo, s10, v9
	v_add_co_ci_u32_e64 v10, null, s11, v10, vcc_lo
	global_load_dword v7, v[9:10], off
	v_add_nc_u32_e32 v10, -13, v8
	v_mov_b32_e32 v9, v11
	v_lshlrev_b64 v[20:21], 3, v[10:11]
	v_lshlrev_b64 v[9:10], 3, v[8:9]
	v_add_co_u32 v20, vcc_lo, s12, v20
	v_add_co_ci_u32_e64 v21, null, s13, v21, vcc_lo
	v_add_co_u32 v24, vcc_lo, s12, v18
	v_add_co_ci_u32_e64 v25, null, s13, v19, vcc_lo
	;; [unrolled: 2-line block ×3, first 2 shown]
	s_clause 0x2
	global_load_dwordx4 v[18:21], v[20:21], off
	global_load_dwordx2 v[24:25], v[24:25], off
	global_load_dwordx2 v[26:27], v[9:10], off
	s_waitcnt vmcnt(3)
	v_subrev_nc_u32_e32 v7, s2, v7
	v_mul_lo_u32 v22, v7, 7
	v_add_nc_u32_e32 v10, 1, v22
	v_lshlrev_b64 v[28:29], 3, v[22:23]
	v_lshlrev_b64 v[30:31], 3, v[10:11]
	v_add_nc_u32_e32 v10, -5, v8
	v_add_co_u32 v28, vcc_lo, s14, v28
	v_add_co_ci_u32_e64 v29, null, s15, v29, vcc_lo
	v_lshlrev_b64 v[32:33], 3, v[10:11]
	v_add_nc_u32_e32 v10, -11, v8
	v_add_co_u32 v30, vcc_lo, s14, v30
	global_load_dwordx2 v[28:29], v[28:29], off
	v_add_co_ci_u32_e64 v31, null, s15, v31, vcc_lo
	v_lshlrev_b64 v[34:35], 3, v[10:11]
	v_add_nc_u32_e32 v10, 2, v22
	v_add_co_u32 v32, vcc_lo, s12, v32
	v_add_co_ci_u32_e64 v33, null, s13, v33, vcc_lo
	v_lshlrev_b64 v[36:37], 3, v[10:11]
	v_add_nc_u32_e32 v10, -4, v8
	v_add_co_u32 v34, vcc_lo, s12, v34
	global_load_dwordx2 v[30:31], v[30:31], off
	global_load_dwordx2 v[32:33], v[32:33], off
	v_lshlrev_b64 v[38:39], 3, v[10:11]
	v_add_nc_u32_e32 v10, -10, v8
	v_add_co_ci_u32_e64 v35, null, s13, v35, vcc_lo
	v_add_co_u32 v36, vcc_lo, s14, v36
	v_lshlrev_b64 v[40:41], 3, v[10:11]
	v_add_nc_u32_e32 v10, 3, v22
	v_add_co_ci_u32_e64 v37, null, s15, v37, vcc_lo
	v_add_co_u32 v38, vcc_lo, s12, v38
	v_lshlrev_b64 v[42:43], 3, v[10:11]
	v_add_nc_u32_e32 v10, -3, v8
	v_add_co_ci_u32_e64 v39, null, s13, v39, vcc_lo
	v_add_co_u32 v40, vcc_lo, s12, v40
	v_lshlrev_b64 v[44:45], 3, v[10:11]
	v_add_nc_u32_e32 v10, -9, v8
	global_load_dwordx2 v[34:35], v[34:35], off
	global_load_dwordx2 v[36:37], v[36:37], off
	;; [unrolled: 1-line block ×3, first 2 shown]
	v_add_co_ci_u32_e64 v41, null, s13, v41, vcc_lo
	v_lshlrev_b64 v[46:47], 3, v[10:11]
	v_add_nc_u32_e32 v10, 4, v22
	v_add_co_u32 v42, vcc_lo, s14, v42
	v_add_co_ci_u32_e64 v43, null, s15, v43, vcc_lo
	v_lshlrev_b64 v[48:49], 3, v[10:11]
	v_add_nc_u32_e32 v10, -2, v8
	v_add_co_u32 v44, vcc_lo, s12, v44
	v_add_co_ci_u32_e64 v45, null, s13, v45, vcc_lo
	v_lshlrev_b64 v[50:51], 3, v[10:11]
	v_add_nc_u32_e32 v10, -8, v8
	v_add_co_u32 v46, vcc_lo, s12, v46
	global_load_dwordx2 v[40:41], v[40:41], off
	global_load_dwordx2 v[42:43], v[42:43], off
	v_lshlrev_b64 v[52:53], 3, v[10:11]
	v_add_nc_u32_e32 v10, 5, v22
	global_load_dwordx2 v[44:45], v[44:45], off
	v_add_co_ci_u32_e64 v47, null, s13, v47, vcc_lo
	v_add_co_u32 v48, vcc_lo, s14, v48
	v_lshlrev_b64 v[54:55], 3, v[10:11]
	v_add_nc_u32_e32 v10, -1, v8
	v_add_co_ci_u32_e64 v49, null, s15, v49, vcc_lo
	v_add_co_u32 v50, vcc_lo, s12, v50
	v_add_co_ci_u32_e64 v51, null, s13, v51, vcc_lo
	v_lshlrev_b64 v[56:57], 3, v[10:11]
	v_add_nc_u32_e32 v10, -7, v8
	v_add_co_u32 v52, vcc_lo, s12, v52
	global_load_dwordx2 v[46:47], v[46:47], off
	global_load_dwordx2 v[48:49], v[48:49], off
	;; [unrolled: 1-line block ×3, first 2 shown]
	v_add_co_ci_u32_e64 v53, null, s13, v53, vcc_lo
	v_add_co_u32 v54, vcc_lo, s14, v54
	v_add_co_ci_u32_e64 v55, null, s15, v55, vcc_lo
	v_lshlrev_b64 v[58:59], 3, v[10:11]
	v_add_nc_u32_e32 v10, 6, v22
	v_add_co_u32 v22, vcc_lo, s12, v56
	v_add_co_ci_u32_e64 v23, null, s13, v57, vcc_lo
	v_lshlrev_b64 v[9:10], 3, v[10:11]
	global_load_dwordx2 v[52:53], v[52:53], off
	global_load_dwordx2 v[54:55], v[54:55], off
	;; [unrolled: 1-line block ×3, first 2 shown]
	v_add_co_u32 v56, vcc_lo, s12, v58
	v_add_co_ci_u32_e64 v57, null, s13, v59, vcc_lo
	v_add_co_u32 v9, vcc_lo, s14, v9
	v_add_co_ci_u32_e64 v10, null, s15, v10, vcc_lo
	global_load_dwordx2 v[56:57], v[56:57], off
	global_load_dwordx2 v[9:10], v[9:10], off
	v_cmp_ge_i32_e32 vcc_lo, v6, v15
	v_add_nc_u32_e32 v8, 0x1c0, v8
	s_or_b32 s0, vcc_lo, s0
	s_waitcnt vmcnt(16)
	v_fmac_f32_e32 v16, v18, v28
	v_fmac_f32_e32 v13, v19, v28
	;; [unrolled: 1-line block ×4, first 2 shown]
	v_fma_f32 v7, -v19, v29, v16
	v_fmac_f32_e32 v13, v18, v29
	v_fma_f32 v12, -v25, v29, v17
	v_fmac_f32_e32 v14, v24, v29
	s_waitcnt vmcnt(15)
	v_fmac_f32_e32 v7, v20, v30
	v_fmac_f32_e32 v13, v21, v30
	s_waitcnt vmcnt(14)
	v_fmac_f32_e32 v12, v32, v30
	v_fmac_f32_e32 v14, v33, v30
	v_fma_f32 v7, -v21, v31, v7
	v_fmac_f32_e32 v13, v20, v31
	v_fma_f32 v12, -v33, v31, v12
	v_fmac_f32_e32 v14, v32, v31
	s_waitcnt vmcnt(12)
	v_fmac_f32_e32 v7, v34, v36
	v_fmac_f32_e32 v13, v35, v36
	s_waitcnt vmcnt(11)
	v_fmac_f32_e32 v12, v38, v36
	v_fmac_f32_e32 v14, v39, v36
	;; [unrolled: 10-line block ×5, first 2 shown]
	v_fma_f32 v7, -v53, v55, v7
	v_fmac_f32_e32 v13, v52, v55
	v_fma_f32 v12, -v23, v55, v12
	v_fmac_f32_e32 v14, v22, v55
	s_waitcnt vmcnt(0)
	v_fmac_f32_e32 v7, v56, v9
	v_fmac_f32_e32 v13, v57, v9
	;; [unrolled: 1-line block ×4, first 2 shown]
	v_fma_f32 v16, -v57, v10, v7
	v_fmac_f32_e32 v13, v56, v10
	v_fma_f32 v17, -v27, v10, v12
	v_fmac_f32_e32 v14, v26, v10
	s_andn2_b32 exec_lo, exec_lo, s0
	s_cbranch_execnz .LBB180_13
; %bb.14:
	s_or_b32 exec_lo, exec_lo, s0
.LBB180_15:
	s_or_b32 exec_lo, exec_lo, s1
.LBB180_16:
	v_mbcnt_lo_u32_b32 v6, -1, 0
	v_xor_b32_e32 v7, 16, v6
	v_xor_b32_e32 v11, 8, v6
	;; [unrolled: 1-line block ×3, first 2 shown]
	v_cmp_gt_i32_e32 vcc_lo, 32, v7
	v_cndmask_b32_e32 v7, v6, v7, vcc_lo
	v_cmp_gt_i32_e32 vcc_lo, 32, v11
	v_lshlrev_b32_e32 v7, 2, v7
	v_cndmask_b32_e32 v11, v6, v11, vcc_lo
	v_cmp_gt_i32_e32 vcc_lo, 32, v15
	ds_bpermute_b32 v8, v7, v16
	ds_bpermute_b32 v9, v7, v13
	;; [unrolled: 1-line block ×4, first 2 shown]
	v_lshlrev_b32_e32 v11, 2, v11
	v_cndmask_b32_e32 v15, v6, v15, vcc_lo
	v_lshlrev_b32_e32 v15, 2, v15
	s_waitcnt lgkmcnt(3)
	v_add_f32_e32 v8, v16, v8
	s_waitcnt lgkmcnt(2)
	v_add_f32_e32 v9, v13, v9
	;; [unrolled: 2-line block ×4, first 2 shown]
	ds_bpermute_b32 v12, v11, v8
	ds_bpermute_b32 v13, v11, v9
	;; [unrolled: 1-line block ×4, first 2 shown]
	s_waitcnt lgkmcnt(3)
	v_add_f32_e32 v8, v8, v12
	s_waitcnt lgkmcnt(2)
	v_add_f32_e32 v9, v9, v13
	;; [unrolled: 2-line block ×4, first 2 shown]
	ds_bpermute_b32 v11, v15, v8
	ds_bpermute_b32 v12, v15, v9
	;; [unrolled: 1-line block ×4, first 2 shown]
	v_xor_b32_e32 v15, 2, v6
	v_cmp_gt_i32_e32 vcc_lo, 32, v15
	v_cndmask_b32_e32 v15, v6, v15, vcc_lo
	v_lshlrev_b32_e32 v15, 2, v15
	s_waitcnt lgkmcnt(3)
	v_add_f32_e32 v8, v8, v11
	s_waitcnt lgkmcnt(2)
	v_add_f32_e32 v9, v9, v12
	;; [unrolled: 2-line block ×4, first 2 shown]
	ds_bpermute_b32 v11, v15, v8
	ds_bpermute_b32 v12, v15, v9
	;; [unrolled: 1-line block ×4, first 2 shown]
	v_xor_b32_e32 v15, 1, v6
	v_cmp_gt_i32_e32 vcc_lo, 32, v15
	v_cndmask_b32_e32 v6, v6, v15, vcc_lo
	v_cmp_eq_u32_e32 vcc_lo, 31, v0
	v_lshlrev_b32_e32 v15, 2, v6
	s_waitcnt lgkmcnt(3)
	v_add_f32_e32 v8, v8, v11
	s_waitcnt lgkmcnt(2)
	v_add_f32_e32 v9, v9, v12
	;; [unrolled: 2-line block ×4, first 2 shown]
	ds_bpermute_b32 v12, v15, v8
	ds_bpermute_b32 v13, v15, v9
	;; [unrolled: 1-line block ×4, first 2 shown]
	s_and_b32 exec_lo, exec_lo, vcc_lo
	s_cbranch_execz .LBB180_21
; %bb.17:
	s_load_dwordx2 s[2:3], s[4:5], 0x38
	v_cmp_eq_f32_e32 vcc_lo, 0, v3
	v_cmp_eq_f32_e64 s0, 0, v4
	s_waitcnt lgkmcnt(0)
	v_add_f32_e32 v0, v8, v12
	v_add_f32_e32 v8, v9, v13
	;; [unrolled: 1-line block ×4, first 2 shown]
	s_and_b32 s0, vcc_lo, s0
	s_and_saveexec_b32 s1, s0
	s_xor_b32 s0, exec_lo, s1
	s_cbranch_execz .LBB180_19
; %bb.18:
	v_lshlrev_b32_e32 v3, 1, v5
	v_mul_f32_e64 v9, v8, -v2
	v_mul_f32_e32 v10, v1, v8
	v_mul_f32_e64 v11, v7, -v2
	v_mul_f32_e32 v12, v1, v7
	v_ashrrev_i32_e32 v4, 31, v3
	v_fmac_f32_e32 v9, v1, v0
	v_fmac_f32_e32 v10, v2, v0
	v_fmac_f32_e32 v11, v1, v6
	v_fmac_f32_e32 v12, v2, v6
	v_lshlrev_b64 v[3:4], 3, v[3:4]
                                        ; implicit-def: $vgpr5
                                        ; implicit-def: $vgpr8
                                        ; implicit-def: $vgpr7
                                        ; implicit-def: $vgpr6
	v_add_co_u32 v0, vcc_lo, s2, v3
	v_add_co_ci_u32_e64 v1, null, s3, v4, vcc_lo
                                        ; implicit-def: $vgpr3_vgpr4
	global_store_dwordx4 v[0:1], v[9:12], off
                                        ; implicit-def: $vgpr1_vgpr2
                                        ; implicit-def: $vgpr0
.LBB180_19:
	s_andn2_saveexec_b32 s0, s0
	s_cbranch_execz .LBB180_21
; %bb.20:
	v_lshlrev_b32_e32 v9, 1, v5
	v_mul_f32_e64 v5, v8, -v2
	v_mul_f32_e32 v14, v1, v8
	v_mul_f32_e64 v8, v7, -v2
	v_mul_f32_e32 v16, v1, v7
	v_ashrrev_i32_e32 v10, 31, v9
	v_fmac_f32_e32 v5, v1, v0
	v_fmac_f32_e32 v14, v2, v0
	;; [unrolled: 1-line block ×4, first 2 shown]
	v_lshlrev_b64 v[9:10], 3, v[9:10]
	v_add_co_u32 v17, vcc_lo, s2, v9
	v_add_co_ci_u32_e64 v18, null, s3, v10, vcc_lo
	global_load_dwordx4 v[9:12], v[17:18], off
	s_waitcnt vmcnt(0)
	v_fmac_f32_e32 v5, v3, v9
	v_fmac_f32_e32 v14, v4, v9
	;; [unrolled: 1-line block ×4, first 2 shown]
	v_fma_f32 v13, -v4, v10, v5
	v_fmac_f32_e32 v14, v3, v10
	v_fma_f32 v15, -v4, v12, v8
	v_fmac_f32_e32 v16, v3, v12
	global_store_dwordx4 v[17:18], v[13:16], off
.LBB180_21:
	s_endpgm
	.section	.rodata,"a",@progbits
	.p2align	6, 0x0
	.amdhsa_kernel _ZN9rocsparseL19gebsrmvn_2xn_kernelILj128ELj7ELj32E21rocsparse_complex_numIfEEEvi20rocsparse_direction_NS_24const_host_device_scalarIT2_EEPKiS8_PKS5_SA_S6_PS5_21rocsparse_index_base_b
		.amdhsa_group_segment_fixed_size 0
		.amdhsa_private_segment_fixed_size 0
		.amdhsa_kernarg_size 72
		.amdhsa_user_sgpr_count 6
		.amdhsa_user_sgpr_private_segment_buffer 1
		.amdhsa_user_sgpr_dispatch_ptr 0
		.amdhsa_user_sgpr_queue_ptr 0
		.amdhsa_user_sgpr_kernarg_segment_ptr 1
		.amdhsa_user_sgpr_dispatch_id 0
		.amdhsa_user_sgpr_flat_scratch_init 0
		.amdhsa_user_sgpr_private_segment_size 0
		.amdhsa_wavefront_size32 1
		.amdhsa_uses_dynamic_stack 0
		.amdhsa_system_sgpr_private_segment_wavefront_offset 0
		.amdhsa_system_sgpr_workgroup_id_x 1
		.amdhsa_system_sgpr_workgroup_id_y 0
		.amdhsa_system_sgpr_workgroup_id_z 0
		.amdhsa_system_sgpr_workgroup_info 0
		.amdhsa_system_vgpr_workitem_id 0
		.amdhsa_next_free_vgpr 60
		.amdhsa_next_free_sgpr 16
		.amdhsa_reserve_vcc 1
		.amdhsa_reserve_flat_scratch 0
		.amdhsa_float_round_mode_32 0
		.amdhsa_float_round_mode_16_64 0
		.amdhsa_float_denorm_mode_32 3
		.amdhsa_float_denorm_mode_16_64 3
		.amdhsa_dx10_clamp 1
		.amdhsa_ieee_mode 1
		.amdhsa_fp16_overflow 0
		.amdhsa_workgroup_processor_mode 1
		.amdhsa_memory_ordered 1
		.amdhsa_forward_progress 1
		.amdhsa_shared_vgpr_count 0
		.amdhsa_exception_fp_ieee_invalid_op 0
		.amdhsa_exception_fp_denorm_src 0
		.amdhsa_exception_fp_ieee_div_zero 0
		.amdhsa_exception_fp_ieee_overflow 0
		.amdhsa_exception_fp_ieee_underflow 0
		.amdhsa_exception_fp_ieee_inexact 0
		.amdhsa_exception_int_div_zero 0
	.end_amdhsa_kernel
	.section	.text._ZN9rocsparseL19gebsrmvn_2xn_kernelILj128ELj7ELj32E21rocsparse_complex_numIfEEEvi20rocsparse_direction_NS_24const_host_device_scalarIT2_EEPKiS8_PKS5_SA_S6_PS5_21rocsparse_index_base_b,"axG",@progbits,_ZN9rocsparseL19gebsrmvn_2xn_kernelILj128ELj7ELj32E21rocsparse_complex_numIfEEEvi20rocsparse_direction_NS_24const_host_device_scalarIT2_EEPKiS8_PKS5_SA_S6_PS5_21rocsparse_index_base_b,comdat
.Lfunc_end180:
	.size	_ZN9rocsparseL19gebsrmvn_2xn_kernelILj128ELj7ELj32E21rocsparse_complex_numIfEEEvi20rocsparse_direction_NS_24const_host_device_scalarIT2_EEPKiS8_PKS5_SA_S6_PS5_21rocsparse_index_base_b, .Lfunc_end180-_ZN9rocsparseL19gebsrmvn_2xn_kernelILj128ELj7ELj32E21rocsparse_complex_numIfEEEvi20rocsparse_direction_NS_24const_host_device_scalarIT2_EEPKiS8_PKS5_SA_S6_PS5_21rocsparse_index_base_b
                                        ; -- End function
	.set _ZN9rocsparseL19gebsrmvn_2xn_kernelILj128ELj7ELj32E21rocsparse_complex_numIfEEEvi20rocsparse_direction_NS_24const_host_device_scalarIT2_EEPKiS8_PKS5_SA_S6_PS5_21rocsparse_index_base_b.num_vgpr, 60
	.set _ZN9rocsparseL19gebsrmvn_2xn_kernelILj128ELj7ELj32E21rocsparse_complex_numIfEEEvi20rocsparse_direction_NS_24const_host_device_scalarIT2_EEPKiS8_PKS5_SA_S6_PS5_21rocsparse_index_base_b.num_agpr, 0
	.set _ZN9rocsparseL19gebsrmvn_2xn_kernelILj128ELj7ELj32E21rocsparse_complex_numIfEEEvi20rocsparse_direction_NS_24const_host_device_scalarIT2_EEPKiS8_PKS5_SA_S6_PS5_21rocsparse_index_base_b.numbered_sgpr, 16
	.set _ZN9rocsparseL19gebsrmvn_2xn_kernelILj128ELj7ELj32E21rocsparse_complex_numIfEEEvi20rocsparse_direction_NS_24const_host_device_scalarIT2_EEPKiS8_PKS5_SA_S6_PS5_21rocsparse_index_base_b.num_named_barrier, 0
	.set _ZN9rocsparseL19gebsrmvn_2xn_kernelILj128ELj7ELj32E21rocsparse_complex_numIfEEEvi20rocsparse_direction_NS_24const_host_device_scalarIT2_EEPKiS8_PKS5_SA_S6_PS5_21rocsparse_index_base_b.private_seg_size, 0
	.set _ZN9rocsparseL19gebsrmvn_2xn_kernelILj128ELj7ELj32E21rocsparse_complex_numIfEEEvi20rocsparse_direction_NS_24const_host_device_scalarIT2_EEPKiS8_PKS5_SA_S6_PS5_21rocsparse_index_base_b.uses_vcc, 1
	.set _ZN9rocsparseL19gebsrmvn_2xn_kernelILj128ELj7ELj32E21rocsparse_complex_numIfEEEvi20rocsparse_direction_NS_24const_host_device_scalarIT2_EEPKiS8_PKS5_SA_S6_PS5_21rocsparse_index_base_b.uses_flat_scratch, 0
	.set _ZN9rocsparseL19gebsrmvn_2xn_kernelILj128ELj7ELj32E21rocsparse_complex_numIfEEEvi20rocsparse_direction_NS_24const_host_device_scalarIT2_EEPKiS8_PKS5_SA_S6_PS5_21rocsparse_index_base_b.has_dyn_sized_stack, 0
	.set _ZN9rocsparseL19gebsrmvn_2xn_kernelILj128ELj7ELj32E21rocsparse_complex_numIfEEEvi20rocsparse_direction_NS_24const_host_device_scalarIT2_EEPKiS8_PKS5_SA_S6_PS5_21rocsparse_index_base_b.has_recursion, 0
	.set _ZN9rocsparseL19gebsrmvn_2xn_kernelILj128ELj7ELj32E21rocsparse_complex_numIfEEEvi20rocsparse_direction_NS_24const_host_device_scalarIT2_EEPKiS8_PKS5_SA_S6_PS5_21rocsparse_index_base_b.has_indirect_call, 0
	.section	.AMDGPU.csdata,"",@progbits
; Kernel info:
; codeLenInByte = 3128
; TotalNumSgprs: 18
; NumVgprs: 60
; ScratchSize: 0
; MemoryBound: 0
; FloatMode: 240
; IeeeMode: 1
; LDSByteSize: 0 bytes/workgroup (compile time only)
; SGPRBlocks: 0
; VGPRBlocks: 7
; NumSGPRsForWavesPerEU: 18
; NumVGPRsForWavesPerEU: 60
; Occupancy: 16
; WaveLimiterHint : 1
; COMPUTE_PGM_RSRC2:SCRATCH_EN: 0
; COMPUTE_PGM_RSRC2:USER_SGPR: 6
; COMPUTE_PGM_RSRC2:TRAP_HANDLER: 0
; COMPUTE_PGM_RSRC2:TGID_X_EN: 1
; COMPUTE_PGM_RSRC2:TGID_Y_EN: 0
; COMPUTE_PGM_RSRC2:TGID_Z_EN: 0
; COMPUTE_PGM_RSRC2:TIDIG_COMP_CNT: 0
	.section	.text._ZN9rocsparseL19gebsrmvn_2xn_kernelILj128ELj7ELj64E21rocsparse_complex_numIfEEEvi20rocsparse_direction_NS_24const_host_device_scalarIT2_EEPKiS8_PKS5_SA_S6_PS5_21rocsparse_index_base_b,"axG",@progbits,_ZN9rocsparseL19gebsrmvn_2xn_kernelILj128ELj7ELj64E21rocsparse_complex_numIfEEEvi20rocsparse_direction_NS_24const_host_device_scalarIT2_EEPKiS8_PKS5_SA_S6_PS5_21rocsparse_index_base_b,comdat
	.globl	_ZN9rocsparseL19gebsrmvn_2xn_kernelILj128ELj7ELj64E21rocsparse_complex_numIfEEEvi20rocsparse_direction_NS_24const_host_device_scalarIT2_EEPKiS8_PKS5_SA_S6_PS5_21rocsparse_index_base_b ; -- Begin function _ZN9rocsparseL19gebsrmvn_2xn_kernelILj128ELj7ELj64E21rocsparse_complex_numIfEEEvi20rocsparse_direction_NS_24const_host_device_scalarIT2_EEPKiS8_PKS5_SA_S6_PS5_21rocsparse_index_base_b
	.p2align	8
	.type	_ZN9rocsparseL19gebsrmvn_2xn_kernelILj128ELj7ELj64E21rocsparse_complex_numIfEEEvi20rocsparse_direction_NS_24const_host_device_scalarIT2_EEPKiS8_PKS5_SA_S6_PS5_21rocsparse_index_base_b,@function
_ZN9rocsparseL19gebsrmvn_2xn_kernelILj128ELj7ELj64E21rocsparse_complex_numIfEEEvi20rocsparse_direction_NS_24const_host_device_scalarIT2_EEPKiS8_PKS5_SA_S6_PS5_21rocsparse_index_base_b: ; @_ZN9rocsparseL19gebsrmvn_2xn_kernelILj128ELj7ELj64E21rocsparse_complex_numIfEEEvi20rocsparse_direction_NS_24const_host_device_scalarIT2_EEPKiS8_PKS5_SA_S6_PS5_21rocsparse_index_base_b
; %bb.0:
	s_clause 0x2
	s_load_dwordx2 s[2:3], s[4:5], 0x40
	s_load_dwordx2 s[0:1], s[4:5], 0x8
	;; [unrolled: 1-line block ×3, first 2 shown]
	s_add_u32 s7, s4, 8
	s_addc_u32 s10, s5, 0
	s_add_u32 s11, s4, 48
	s_addc_u32 s12, s5, 0
	s_waitcnt lgkmcnt(0)
	s_bitcmp1_b32 s3, 0
	s_cselect_b32 s0, s7, s0
	s_cselect_b32 s1, s10, s1
	v_mov_b32_e32 v1, s0
	v_mov_b32_e32 v2, s1
	s_cselect_b32 s0, s11, s8
	s_cselect_b32 s1, s12, s9
	v_mov_b32_e32 v3, s0
	v_mov_b32_e32 v4, s1
	flat_load_dwordx2 v[1:2], v[1:2]
	flat_load_dwordx2 v[3:4], v[3:4]
	s_waitcnt vmcnt(1) lgkmcnt(1)
	v_cmp_eq_f32_e32 vcc_lo, 0, v1
	v_cmp_eq_f32_e64 s0, 0, v2
	s_and_b32 s3, vcc_lo, s0
	s_mov_b32 s0, -1
	s_and_saveexec_b32 s1, s3
	s_cbranch_execz .LBB181_2
; %bb.1:
	s_waitcnt vmcnt(0) lgkmcnt(0)
	v_cmp_neq_f32_e32 vcc_lo, 1.0, v3
	v_cmp_neq_f32_e64 s0, 0, v4
	s_or_b32 s0, vcc_lo, s0
	s_orn2_b32 s0, s0, exec_lo
.LBB181_2:
	s_or_b32 exec_lo, exec_lo, s1
	s_and_saveexec_b32 s1, s0
	s_cbranch_execz .LBB181_21
; %bb.3:
	s_load_dwordx2 s[0:1], s[4:5], 0x0
	v_lshrrev_b32_e32 v5, 6, v0
	v_lshl_or_b32 v5, s6, 1, v5
	s_waitcnt lgkmcnt(0)
	v_cmp_gt_i32_e32 vcc_lo, s0, v5
	s_and_b32 exec_lo, exec_lo, vcc_lo
	s_cbranch_execz .LBB181_21
; %bb.4:
	s_load_dwordx8 s[8:15], s[4:5], 0x10
	v_ashrrev_i32_e32 v6, 31, v5
	v_and_b32_e32 v0, 63, v0
	s_cmp_lg_u32 s1, 0
	v_lshlrev_b64 v[6:7], 2, v[5:6]
	s_waitcnt lgkmcnt(0)
	v_add_co_u32 v6, vcc_lo, s8, v6
	v_add_co_ci_u32_e64 v7, null, s9, v7, vcc_lo
	global_load_dwordx2 v[6:7], v[6:7], off
	s_waitcnt vmcnt(0)
	v_subrev_nc_u32_e32 v6, s2, v6
	v_subrev_nc_u32_e32 v15, s2, v7
	v_add_nc_u32_e32 v6, v6, v0
	v_cmp_lt_i32_e64 s0, v6, v15
	s_cbranch_scc0 .LBB181_10
; %bb.5:
	v_mov_b32_e32 v13, 0
	v_mov_b32_e32 v16, 0
	;; [unrolled: 1-line block ×4, first 2 shown]
	s_and_saveexec_b32 s1, s0
	s_cbranch_execz .LBB181_9
; %bb.6:
	v_mad_u64_u32 v[7:8], null, v6, 14, 12
	v_mov_b32_e32 v10, 0
	v_mov_b32_e32 v11, v6
	;; [unrolled: 1-line block ×6, first 2 shown]
	s_mov_b32 s3, 0
.LBB181_7:                              ; =>This Inner Loop Header: Depth=1
	v_ashrrev_i32_e32 v12, 31, v11
	v_mov_b32_e32 v39, v10
	v_lshlrev_b64 v[8:9], 2, v[11:12]
	v_add_nc_u32_e32 v11, 64, v11
	v_add_co_u32 v8, vcc_lo, s10, v8
	v_add_co_ci_u32_e64 v9, null, s11, v9, vcc_lo
	global_load_dword v12, v[8:9], off
	v_add_nc_u32_e32 v9, -12, v7
	v_mov_b32_e32 v8, v10
	v_lshlrev_b64 v[18:19], 3, v[9:10]
	v_add_nc_u32_e32 v9, -10, v7
	v_lshlrev_b64 v[20:21], 3, v[7:8]
	v_lshlrev_b64 v[8:9], 3, v[9:10]
	v_add_co_u32 v18, vcc_lo, s12, v18
	v_add_co_ci_u32_e64 v19, null, s13, v19, vcc_lo
	v_add_co_u32 v42, vcc_lo, s12, v20
	v_add_co_ci_u32_e64 v43, null, s13, v21, vcc_lo
	;; [unrolled: 2-line block ×3, first 2 shown]
	s_clause 0x1
	global_load_dwordx4 v[18:21], v[18:19], off
	global_load_dwordx4 v[22:25], v[8:9], off
	s_waitcnt vmcnt(2)
	v_subrev_nc_u32_e32 v8, s2, v12
	v_mul_lo_u32 v38, v8, 7
	v_lshlrev_b64 v[26:27], 3, v[38:39]
	v_add_nc_u32_e32 v9, 1, v38
	v_lshlrev_b64 v[28:29], 3, v[9:10]
	v_add_co_u32 v26, vcc_lo, s14, v26
	v_add_co_ci_u32_e64 v27, null, s15, v27, vcc_lo
	v_add_nc_u32_e32 v9, -8, v7
	v_add_co_u32 v28, vcc_lo, s14, v28
	global_load_dwordx2 v[46:47], v[26:27], off
	v_add_co_ci_u32_e64 v29, null, s15, v29, vcc_lo
	v_lshlrev_b64 v[30:31], 3, v[9:10]
	v_add_nc_u32_e32 v9, 2, v38
	global_load_dwordx2 v[48:49], v[28:29], off
	v_lshlrev_b64 v[26:27], 3, v[9:10]
	v_add_nc_u32_e32 v9, -6, v7
	v_add_co_u32 v28, vcc_lo, s12, v30
	v_add_co_ci_u32_e64 v29, null, s13, v31, vcc_lo
	v_lshlrev_b64 v[30:31], 3, v[9:10]
	v_add_nc_u32_e32 v9, 3, v38
	v_add_co_u32 v32, vcc_lo, s14, v26
	v_add_co_ci_u32_e64 v33, null, s15, v27, vcc_lo
	v_lshlrev_b64 v[34:35], 3, v[9:10]
	v_add_nc_u32_e32 v9, -4, v7
	global_load_dwordx4 v[26:29], v[28:29], off
	global_load_dwordx2 v[50:51], v[32:33], off
	v_add_co_u32 v30, vcc_lo, s12, v30
	v_lshlrev_b64 v[36:37], 3, v[9:10]
	v_add_nc_u32_e32 v9, 4, v38
	v_add_co_ci_u32_e64 v31, null, s13, v31, vcc_lo
	v_add_co_u32 v34, vcc_lo, s14, v34
	v_add_co_ci_u32_e64 v35, null, s15, v35, vcc_lo
	v_lshlrev_b64 v[39:40], 3, v[9:10]
	v_add_nc_u32_e32 v9, -2, v7
	v_add_nc_u32_e32 v7, 0x380, v7
	global_load_dwordx2 v[52:53], v[34:35], off
	global_load_dwordx4 v[30:33], v[30:31], off
	v_add_co_u32 v34, vcc_lo, s12, v36
	v_add_co_ci_u32_e64 v35, null, s13, v37, vcc_lo
	v_lshlrev_b64 v[44:45], 3, v[9:10]
	v_add_nc_u32_e32 v9, 5, v38
	v_add_co_u32 v39, vcc_lo, s14, v39
	v_add_co_ci_u32_e64 v40, null, s15, v40, vcc_lo
	v_lshlrev_b64 v[54:55], 3, v[9:10]
	global_load_dwordx4 v[34:37], v[34:35], off
	v_add_nc_u32_e32 v9, 6, v38
	global_load_dwordx2 v[56:57], v[39:40], off
	v_add_co_u32 v38, vcc_lo, s12, v44
	v_add_co_ci_u32_e64 v39, null, s13, v45, vcc_lo
	v_add_co_u32 v44, vcc_lo, s14, v54
	v_add_co_ci_u32_e64 v45, null, s15, v55, vcc_lo
	v_lshlrev_b64 v[8:9], 3, v[9:10]
	global_load_dwordx4 v[38:41], v[38:39], off
	global_load_dwordx2 v[54:55], v[44:45], off
	v_add_co_u32 v8, vcc_lo, s14, v8
	v_add_co_ci_u32_e64 v9, null, s15, v9, vcc_lo
	global_load_dwordx4 v[42:45], v[42:43], off
	global_load_dwordx2 v[8:9], v[8:9], off
	v_cmp_ge_i32_e32 vcc_lo, v11, v15
	s_or_b32 s3, vcc_lo, s3
	s_waitcnt vmcnt(11)
	v_fmac_f32_e32 v16, v18, v46
	v_fmac_f32_e32 v13, v19, v46
	v_fmac_f32_e32 v17, v20, v46
	v_fmac_f32_e32 v14, v21, v46
	v_fma_f32 v12, -v19, v47, v16
	v_fmac_f32_e32 v13, v18, v47
	v_fma_f32 v16, -v21, v47, v17
	v_fmac_f32_e32 v14, v20, v47
	s_waitcnt vmcnt(10)
	v_fmac_f32_e32 v12, v22, v48
	v_fmac_f32_e32 v13, v23, v48
	v_fmac_f32_e32 v16, v24, v48
	v_fmac_f32_e32 v14, v25, v48
	v_fma_f32 v12, -v23, v49, v12
	v_fmac_f32_e32 v13, v22, v49
	v_fma_f32 v16, -v25, v49, v16
	v_fmac_f32_e32 v14, v24, v49
	;; [unrolled: 9-line block ×7, first 2 shown]
	s_andn2_b32 exec_lo, exec_lo, s3
	s_cbranch_execnz .LBB181_7
; %bb.8:
	s_or_b32 exec_lo, exec_lo, s3
.LBB181_9:
	s_or_b32 exec_lo, exec_lo, s1
	s_cbranch_execz .LBB181_11
	s_branch .LBB181_16
.LBB181_10:
                                        ; implicit-def: $vgpr13
                                        ; implicit-def: $vgpr16
                                        ; implicit-def: $vgpr17
                                        ; implicit-def: $vgpr14
.LBB181_11:
	v_mov_b32_e32 v13, 0
	v_mov_b32_e32 v16, 0
	v_mov_b32_e32 v17, 0
	v_mov_b32_e32 v14, 0
	s_and_saveexec_b32 s1, s0
	s_cbranch_execz .LBB181_15
; %bb.12:
	v_mad_u64_u32 v[8:9], null, v6, 14, 13
	v_mov_b32_e32 v11, 0
	v_mov_b32_e32 v13, 0
	;; [unrolled: 1-line block ×5, first 2 shown]
	s_mov_b32 s0, 0
.LBB181_13:                             ; =>This Inner Loop Header: Depth=1
	v_ashrrev_i32_e32 v7, 31, v6
	v_add_nc_u32_e32 v18, -6, v8
	v_mov_b32_e32 v19, v11
	v_mov_b32_e32 v23, v11
	v_lshlrev_b64 v[9:10], 2, v[6:7]
	v_add_nc_u32_e32 v6, 64, v6
	v_lshlrev_b64 v[18:19], 3, v[18:19]
	v_add_co_u32 v9, vcc_lo, s10, v9
	v_add_co_ci_u32_e64 v10, null, s11, v10, vcc_lo
	global_load_dword v7, v[9:10], off
	v_add_nc_u32_e32 v10, -13, v8
	v_mov_b32_e32 v9, v11
	v_lshlrev_b64 v[20:21], 3, v[10:11]
	v_lshlrev_b64 v[9:10], 3, v[8:9]
	v_add_co_u32 v20, vcc_lo, s12, v20
	v_add_co_ci_u32_e64 v21, null, s13, v21, vcc_lo
	v_add_co_u32 v24, vcc_lo, s12, v18
	v_add_co_ci_u32_e64 v25, null, s13, v19, vcc_lo
	;; [unrolled: 2-line block ×3, first 2 shown]
	s_clause 0x2
	global_load_dwordx4 v[18:21], v[20:21], off
	global_load_dwordx2 v[24:25], v[24:25], off
	global_load_dwordx2 v[26:27], v[9:10], off
	s_waitcnt vmcnt(3)
	v_subrev_nc_u32_e32 v7, s2, v7
	v_mul_lo_u32 v22, v7, 7
	v_add_nc_u32_e32 v10, 1, v22
	v_lshlrev_b64 v[28:29], 3, v[22:23]
	v_lshlrev_b64 v[30:31], 3, v[10:11]
	v_add_nc_u32_e32 v10, -5, v8
	v_add_co_u32 v28, vcc_lo, s14, v28
	v_add_co_ci_u32_e64 v29, null, s15, v29, vcc_lo
	v_lshlrev_b64 v[32:33], 3, v[10:11]
	v_add_nc_u32_e32 v10, -11, v8
	v_add_co_u32 v30, vcc_lo, s14, v30
	global_load_dwordx2 v[28:29], v[28:29], off
	v_add_co_ci_u32_e64 v31, null, s15, v31, vcc_lo
	v_lshlrev_b64 v[34:35], 3, v[10:11]
	v_add_nc_u32_e32 v10, 2, v22
	v_add_co_u32 v32, vcc_lo, s12, v32
	v_add_co_ci_u32_e64 v33, null, s13, v33, vcc_lo
	v_lshlrev_b64 v[36:37], 3, v[10:11]
	v_add_nc_u32_e32 v10, -4, v8
	v_add_co_u32 v34, vcc_lo, s12, v34
	global_load_dwordx2 v[30:31], v[30:31], off
	global_load_dwordx2 v[32:33], v[32:33], off
	v_lshlrev_b64 v[38:39], 3, v[10:11]
	v_add_nc_u32_e32 v10, -10, v8
	v_add_co_ci_u32_e64 v35, null, s13, v35, vcc_lo
	v_add_co_u32 v36, vcc_lo, s14, v36
	v_lshlrev_b64 v[40:41], 3, v[10:11]
	v_add_nc_u32_e32 v10, 3, v22
	v_add_co_ci_u32_e64 v37, null, s15, v37, vcc_lo
	v_add_co_u32 v38, vcc_lo, s12, v38
	v_lshlrev_b64 v[42:43], 3, v[10:11]
	v_add_nc_u32_e32 v10, -3, v8
	v_add_co_ci_u32_e64 v39, null, s13, v39, vcc_lo
	v_add_co_u32 v40, vcc_lo, s12, v40
	v_lshlrev_b64 v[44:45], 3, v[10:11]
	v_add_nc_u32_e32 v10, -9, v8
	global_load_dwordx2 v[34:35], v[34:35], off
	global_load_dwordx2 v[36:37], v[36:37], off
	;; [unrolled: 1-line block ×3, first 2 shown]
	v_add_co_ci_u32_e64 v41, null, s13, v41, vcc_lo
	v_lshlrev_b64 v[46:47], 3, v[10:11]
	v_add_nc_u32_e32 v10, 4, v22
	v_add_co_u32 v42, vcc_lo, s14, v42
	v_add_co_ci_u32_e64 v43, null, s15, v43, vcc_lo
	v_lshlrev_b64 v[48:49], 3, v[10:11]
	v_add_nc_u32_e32 v10, -2, v8
	v_add_co_u32 v44, vcc_lo, s12, v44
	v_add_co_ci_u32_e64 v45, null, s13, v45, vcc_lo
	v_lshlrev_b64 v[50:51], 3, v[10:11]
	v_add_nc_u32_e32 v10, -8, v8
	v_add_co_u32 v46, vcc_lo, s12, v46
	global_load_dwordx2 v[40:41], v[40:41], off
	global_load_dwordx2 v[42:43], v[42:43], off
	v_lshlrev_b64 v[52:53], 3, v[10:11]
	v_add_nc_u32_e32 v10, 5, v22
	global_load_dwordx2 v[44:45], v[44:45], off
	v_add_co_ci_u32_e64 v47, null, s13, v47, vcc_lo
	v_add_co_u32 v48, vcc_lo, s14, v48
	v_lshlrev_b64 v[54:55], 3, v[10:11]
	v_add_nc_u32_e32 v10, -1, v8
	v_add_co_ci_u32_e64 v49, null, s15, v49, vcc_lo
	v_add_co_u32 v50, vcc_lo, s12, v50
	v_add_co_ci_u32_e64 v51, null, s13, v51, vcc_lo
	v_lshlrev_b64 v[56:57], 3, v[10:11]
	v_add_nc_u32_e32 v10, -7, v8
	v_add_co_u32 v52, vcc_lo, s12, v52
	global_load_dwordx2 v[46:47], v[46:47], off
	global_load_dwordx2 v[48:49], v[48:49], off
	;; [unrolled: 1-line block ×3, first 2 shown]
	v_add_co_ci_u32_e64 v53, null, s13, v53, vcc_lo
	v_add_co_u32 v54, vcc_lo, s14, v54
	v_add_co_ci_u32_e64 v55, null, s15, v55, vcc_lo
	v_lshlrev_b64 v[58:59], 3, v[10:11]
	v_add_nc_u32_e32 v10, 6, v22
	v_add_co_u32 v22, vcc_lo, s12, v56
	v_add_co_ci_u32_e64 v23, null, s13, v57, vcc_lo
	v_lshlrev_b64 v[9:10], 3, v[10:11]
	global_load_dwordx2 v[52:53], v[52:53], off
	global_load_dwordx2 v[54:55], v[54:55], off
	;; [unrolled: 1-line block ×3, first 2 shown]
	v_add_co_u32 v56, vcc_lo, s12, v58
	v_add_co_ci_u32_e64 v57, null, s13, v59, vcc_lo
	v_add_co_u32 v9, vcc_lo, s14, v9
	v_add_co_ci_u32_e64 v10, null, s15, v10, vcc_lo
	global_load_dwordx2 v[56:57], v[56:57], off
	global_load_dwordx2 v[9:10], v[9:10], off
	v_cmp_ge_i32_e32 vcc_lo, v6, v15
	v_add_nc_u32_e32 v8, 0x380, v8
	s_or_b32 s0, vcc_lo, s0
	s_waitcnt vmcnt(16)
	v_fmac_f32_e32 v16, v18, v28
	v_fmac_f32_e32 v13, v19, v28
	;; [unrolled: 1-line block ×4, first 2 shown]
	v_fma_f32 v7, -v19, v29, v16
	v_fmac_f32_e32 v13, v18, v29
	v_fma_f32 v12, -v25, v29, v17
	v_fmac_f32_e32 v14, v24, v29
	s_waitcnt vmcnt(15)
	v_fmac_f32_e32 v7, v20, v30
	v_fmac_f32_e32 v13, v21, v30
	s_waitcnt vmcnt(14)
	v_fmac_f32_e32 v12, v32, v30
	v_fmac_f32_e32 v14, v33, v30
	v_fma_f32 v7, -v21, v31, v7
	v_fmac_f32_e32 v13, v20, v31
	v_fma_f32 v12, -v33, v31, v12
	v_fmac_f32_e32 v14, v32, v31
	s_waitcnt vmcnt(12)
	v_fmac_f32_e32 v7, v34, v36
	v_fmac_f32_e32 v13, v35, v36
	s_waitcnt vmcnt(11)
	v_fmac_f32_e32 v12, v38, v36
	v_fmac_f32_e32 v14, v39, v36
	;; [unrolled: 10-line block ×5, first 2 shown]
	v_fma_f32 v7, -v53, v55, v7
	v_fmac_f32_e32 v13, v52, v55
	v_fma_f32 v12, -v23, v55, v12
	v_fmac_f32_e32 v14, v22, v55
	s_waitcnt vmcnt(0)
	v_fmac_f32_e32 v7, v56, v9
	v_fmac_f32_e32 v13, v57, v9
	;; [unrolled: 1-line block ×4, first 2 shown]
	v_fma_f32 v16, -v57, v10, v7
	v_fmac_f32_e32 v13, v56, v10
	v_fma_f32 v17, -v27, v10, v12
	v_fmac_f32_e32 v14, v26, v10
	s_andn2_b32 exec_lo, exec_lo, s0
	s_cbranch_execnz .LBB181_13
; %bb.14:
	s_or_b32 exec_lo, exec_lo, s0
.LBB181_15:
	s_or_b32 exec_lo, exec_lo, s1
.LBB181_16:
	v_mbcnt_lo_u32_b32 v6, -1, 0
	v_or_b32_e32 v7, 32, v6
	v_xor_b32_e32 v11, 16, v6
	v_xor_b32_e32 v15, 8, v6
	v_cmp_gt_i32_e32 vcc_lo, 32, v7
	v_cndmask_b32_e32 v7, v6, v7, vcc_lo
	v_cmp_gt_i32_e32 vcc_lo, 32, v11
	v_lshlrev_b32_e32 v7, 2, v7
	v_cndmask_b32_e32 v11, v6, v11, vcc_lo
	v_cmp_gt_i32_e32 vcc_lo, 32, v15
	ds_bpermute_b32 v8, v7, v16
	ds_bpermute_b32 v9, v7, v13
	;; [unrolled: 1-line block ×4, first 2 shown]
	v_lshlrev_b32_e32 v11, 2, v11
	v_cndmask_b32_e32 v15, v6, v15, vcc_lo
	v_lshlrev_b32_e32 v15, 2, v15
	s_waitcnt lgkmcnt(3)
	v_add_f32_e32 v8, v16, v8
	s_waitcnt lgkmcnt(2)
	v_add_f32_e32 v9, v13, v9
	;; [unrolled: 2-line block ×4, first 2 shown]
	ds_bpermute_b32 v12, v11, v8
	ds_bpermute_b32 v13, v11, v9
	;; [unrolled: 1-line block ×4, first 2 shown]
	s_waitcnt lgkmcnt(3)
	v_add_f32_e32 v8, v8, v12
	s_waitcnt lgkmcnt(2)
	v_add_f32_e32 v9, v9, v13
	;; [unrolled: 2-line block ×4, first 2 shown]
	ds_bpermute_b32 v11, v15, v8
	ds_bpermute_b32 v12, v15, v9
	;; [unrolled: 1-line block ×4, first 2 shown]
	v_xor_b32_e32 v15, 4, v6
	v_cmp_gt_i32_e32 vcc_lo, 32, v15
	v_cndmask_b32_e32 v15, v6, v15, vcc_lo
	v_lshlrev_b32_e32 v15, 2, v15
	s_waitcnt lgkmcnt(3)
	v_add_f32_e32 v8, v8, v11
	s_waitcnt lgkmcnt(2)
	v_add_f32_e32 v9, v9, v12
	;; [unrolled: 2-line block ×4, first 2 shown]
	ds_bpermute_b32 v11, v15, v8
	ds_bpermute_b32 v12, v15, v9
	;; [unrolled: 1-line block ×4, first 2 shown]
	v_xor_b32_e32 v15, 2, v6
	v_cmp_gt_i32_e32 vcc_lo, 32, v15
	v_cndmask_b32_e32 v15, v6, v15, vcc_lo
	v_lshlrev_b32_e32 v15, 2, v15
	s_waitcnt lgkmcnt(3)
	v_add_f32_e32 v8, v8, v11
	s_waitcnt lgkmcnt(2)
	v_add_f32_e32 v9, v9, v12
	;; [unrolled: 2-line block ×4, first 2 shown]
	ds_bpermute_b32 v11, v15, v8
	ds_bpermute_b32 v12, v15, v9
	;; [unrolled: 1-line block ×4, first 2 shown]
	v_xor_b32_e32 v15, 1, v6
	v_cmp_gt_i32_e32 vcc_lo, 32, v15
	v_cndmask_b32_e32 v6, v6, v15, vcc_lo
	v_cmp_eq_u32_e32 vcc_lo, 63, v0
	v_lshlrev_b32_e32 v15, 2, v6
	s_waitcnt lgkmcnt(3)
	v_add_f32_e32 v8, v8, v11
	s_waitcnt lgkmcnt(2)
	v_add_f32_e32 v9, v9, v12
	;; [unrolled: 2-line block ×4, first 2 shown]
	ds_bpermute_b32 v12, v15, v8
	ds_bpermute_b32 v13, v15, v9
	;; [unrolled: 1-line block ×4, first 2 shown]
	s_and_b32 exec_lo, exec_lo, vcc_lo
	s_cbranch_execz .LBB181_21
; %bb.17:
	s_load_dwordx2 s[2:3], s[4:5], 0x38
	v_cmp_eq_f32_e32 vcc_lo, 0, v3
	v_cmp_eq_f32_e64 s0, 0, v4
	s_waitcnt lgkmcnt(0)
	v_add_f32_e32 v0, v8, v12
	v_add_f32_e32 v8, v9, v13
	;; [unrolled: 1-line block ×4, first 2 shown]
	s_and_b32 s0, vcc_lo, s0
	s_and_saveexec_b32 s1, s0
	s_xor_b32 s0, exec_lo, s1
	s_cbranch_execz .LBB181_19
; %bb.18:
	v_lshlrev_b32_e32 v3, 1, v5
	v_mul_f32_e64 v9, v8, -v2
	v_mul_f32_e32 v10, v1, v8
	v_mul_f32_e64 v11, v7, -v2
	v_mul_f32_e32 v12, v1, v7
	v_ashrrev_i32_e32 v4, 31, v3
	v_fmac_f32_e32 v9, v1, v0
	v_fmac_f32_e32 v10, v2, v0
	;; [unrolled: 1-line block ×4, first 2 shown]
	v_lshlrev_b64 v[3:4], 3, v[3:4]
                                        ; implicit-def: $vgpr5
                                        ; implicit-def: $vgpr8
                                        ; implicit-def: $vgpr7
                                        ; implicit-def: $vgpr6
	v_add_co_u32 v0, vcc_lo, s2, v3
	v_add_co_ci_u32_e64 v1, null, s3, v4, vcc_lo
                                        ; implicit-def: $vgpr3_vgpr4
	global_store_dwordx4 v[0:1], v[9:12], off
                                        ; implicit-def: $vgpr1_vgpr2
                                        ; implicit-def: $vgpr0
.LBB181_19:
	s_andn2_saveexec_b32 s0, s0
	s_cbranch_execz .LBB181_21
; %bb.20:
	v_lshlrev_b32_e32 v9, 1, v5
	v_mul_f32_e64 v5, v8, -v2
	v_mul_f32_e32 v14, v1, v8
	v_mul_f32_e64 v8, v7, -v2
	v_mul_f32_e32 v16, v1, v7
	v_ashrrev_i32_e32 v10, 31, v9
	v_fmac_f32_e32 v5, v1, v0
	v_fmac_f32_e32 v14, v2, v0
	;; [unrolled: 1-line block ×4, first 2 shown]
	v_lshlrev_b64 v[9:10], 3, v[9:10]
	v_add_co_u32 v17, vcc_lo, s2, v9
	v_add_co_ci_u32_e64 v18, null, s3, v10, vcc_lo
	global_load_dwordx4 v[9:12], v[17:18], off
	s_waitcnt vmcnt(0)
	v_fmac_f32_e32 v5, v3, v9
	v_fmac_f32_e32 v14, v4, v9
	v_fmac_f32_e32 v8, v3, v11
	v_fmac_f32_e32 v16, v4, v11
	v_fma_f32 v13, -v4, v10, v5
	v_fmac_f32_e32 v14, v3, v10
	v_fma_f32 v15, -v4, v12, v8
	v_fmac_f32_e32 v16, v3, v12
	global_store_dwordx4 v[17:18], v[13:16], off
.LBB181_21:
	s_endpgm
	.section	.rodata,"a",@progbits
	.p2align	6, 0x0
	.amdhsa_kernel _ZN9rocsparseL19gebsrmvn_2xn_kernelILj128ELj7ELj64E21rocsparse_complex_numIfEEEvi20rocsparse_direction_NS_24const_host_device_scalarIT2_EEPKiS8_PKS5_SA_S6_PS5_21rocsparse_index_base_b
		.amdhsa_group_segment_fixed_size 0
		.amdhsa_private_segment_fixed_size 0
		.amdhsa_kernarg_size 72
		.amdhsa_user_sgpr_count 6
		.amdhsa_user_sgpr_private_segment_buffer 1
		.amdhsa_user_sgpr_dispatch_ptr 0
		.amdhsa_user_sgpr_queue_ptr 0
		.amdhsa_user_sgpr_kernarg_segment_ptr 1
		.amdhsa_user_sgpr_dispatch_id 0
		.amdhsa_user_sgpr_flat_scratch_init 0
		.amdhsa_user_sgpr_private_segment_size 0
		.amdhsa_wavefront_size32 1
		.amdhsa_uses_dynamic_stack 0
		.amdhsa_system_sgpr_private_segment_wavefront_offset 0
		.amdhsa_system_sgpr_workgroup_id_x 1
		.amdhsa_system_sgpr_workgroup_id_y 0
		.amdhsa_system_sgpr_workgroup_id_z 0
		.amdhsa_system_sgpr_workgroup_info 0
		.amdhsa_system_vgpr_workitem_id 0
		.amdhsa_next_free_vgpr 60
		.amdhsa_next_free_sgpr 16
		.amdhsa_reserve_vcc 1
		.amdhsa_reserve_flat_scratch 0
		.amdhsa_float_round_mode_32 0
		.amdhsa_float_round_mode_16_64 0
		.amdhsa_float_denorm_mode_32 3
		.amdhsa_float_denorm_mode_16_64 3
		.amdhsa_dx10_clamp 1
		.amdhsa_ieee_mode 1
		.amdhsa_fp16_overflow 0
		.amdhsa_workgroup_processor_mode 1
		.amdhsa_memory_ordered 1
		.amdhsa_forward_progress 1
		.amdhsa_shared_vgpr_count 0
		.amdhsa_exception_fp_ieee_invalid_op 0
		.amdhsa_exception_fp_denorm_src 0
		.amdhsa_exception_fp_ieee_div_zero 0
		.amdhsa_exception_fp_ieee_overflow 0
		.amdhsa_exception_fp_ieee_underflow 0
		.amdhsa_exception_fp_ieee_inexact 0
		.amdhsa_exception_int_div_zero 0
	.end_amdhsa_kernel
	.section	.text._ZN9rocsparseL19gebsrmvn_2xn_kernelILj128ELj7ELj64E21rocsparse_complex_numIfEEEvi20rocsparse_direction_NS_24const_host_device_scalarIT2_EEPKiS8_PKS5_SA_S6_PS5_21rocsparse_index_base_b,"axG",@progbits,_ZN9rocsparseL19gebsrmvn_2xn_kernelILj128ELj7ELj64E21rocsparse_complex_numIfEEEvi20rocsparse_direction_NS_24const_host_device_scalarIT2_EEPKiS8_PKS5_SA_S6_PS5_21rocsparse_index_base_b,comdat
.Lfunc_end181:
	.size	_ZN9rocsparseL19gebsrmvn_2xn_kernelILj128ELj7ELj64E21rocsparse_complex_numIfEEEvi20rocsparse_direction_NS_24const_host_device_scalarIT2_EEPKiS8_PKS5_SA_S6_PS5_21rocsparse_index_base_b, .Lfunc_end181-_ZN9rocsparseL19gebsrmvn_2xn_kernelILj128ELj7ELj64E21rocsparse_complex_numIfEEEvi20rocsparse_direction_NS_24const_host_device_scalarIT2_EEPKiS8_PKS5_SA_S6_PS5_21rocsparse_index_base_b
                                        ; -- End function
	.set _ZN9rocsparseL19gebsrmvn_2xn_kernelILj128ELj7ELj64E21rocsparse_complex_numIfEEEvi20rocsparse_direction_NS_24const_host_device_scalarIT2_EEPKiS8_PKS5_SA_S6_PS5_21rocsparse_index_base_b.num_vgpr, 60
	.set _ZN9rocsparseL19gebsrmvn_2xn_kernelILj128ELj7ELj64E21rocsparse_complex_numIfEEEvi20rocsparse_direction_NS_24const_host_device_scalarIT2_EEPKiS8_PKS5_SA_S6_PS5_21rocsparse_index_base_b.num_agpr, 0
	.set _ZN9rocsparseL19gebsrmvn_2xn_kernelILj128ELj7ELj64E21rocsparse_complex_numIfEEEvi20rocsparse_direction_NS_24const_host_device_scalarIT2_EEPKiS8_PKS5_SA_S6_PS5_21rocsparse_index_base_b.numbered_sgpr, 16
	.set _ZN9rocsparseL19gebsrmvn_2xn_kernelILj128ELj7ELj64E21rocsparse_complex_numIfEEEvi20rocsparse_direction_NS_24const_host_device_scalarIT2_EEPKiS8_PKS5_SA_S6_PS5_21rocsparse_index_base_b.num_named_barrier, 0
	.set _ZN9rocsparseL19gebsrmvn_2xn_kernelILj128ELj7ELj64E21rocsparse_complex_numIfEEEvi20rocsparse_direction_NS_24const_host_device_scalarIT2_EEPKiS8_PKS5_SA_S6_PS5_21rocsparse_index_base_b.private_seg_size, 0
	.set _ZN9rocsparseL19gebsrmvn_2xn_kernelILj128ELj7ELj64E21rocsparse_complex_numIfEEEvi20rocsparse_direction_NS_24const_host_device_scalarIT2_EEPKiS8_PKS5_SA_S6_PS5_21rocsparse_index_base_b.uses_vcc, 1
	.set _ZN9rocsparseL19gebsrmvn_2xn_kernelILj128ELj7ELj64E21rocsparse_complex_numIfEEEvi20rocsparse_direction_NS_24const_host_device_scalarIT2_EEPKiS8_PKS5_SA_S6_PS5_21rocsparse_index_base_b.uses_flat_scratch, 0
	.set _ZN9rocsparseL19gebsrmvn_2xn_kernelILj128ELj7ELj64E21rocsparse_complex_numIfEEEvi20rocsparse_direction_NS_24const_host_device_scalarIT2_EEPKiS8_PKS5_SA_S6_PS5_21rocsparse_index_base_b.has_dyn_sized_stack, 0
	.set _ZN9rocsparseL19gebsrmvn_2xn_kernelILj128ELj7ELj64E21rocsparse_complex_numIfEEEvi20rocsparse_direction_NS_24const_host_device_scalarIT2_EEPKiS8_PKS5_SA_S6_PS5_21rocsparse_index_base_b.has_recursion, 0
	.set _ZN9rocsparseL19gebsrmvn_2xn_kernelILj128ELj7ELj64E21rocsparse_complex_numIfEEEvi20rocsparse_direction_NS_24const_host_device_scalarIT2_EEPKiS8_PKS5_SA_S6_PS5_21rocsparse_index_base_b.has_indirect_call, 0
	.section	.AMDGPU.csdata,"",@progbits
; Kernel info:
; codeLenInByte = 3208
; TotalNumSgprs: 18
; NumVgprs: 60
; ScratchSize: 0
; MemoryBound: 0
; FloatMode: 240
; IeeeMode: 1
; LDSByteSize: 0 bytes/workgroup (compile time only)
; SGPRBlocks: 0
; VGPRBlocks: 7
; NumSGPRsForWavesPerEU: 18
; NumVGPRsForWavesPerEU: 60
; Occupancy: 16
; WaveLimiterHint : 1
; COMPUTE_PGM_RSRC2:SCRATCH_EN: 0
; COMPUTE_PGM_RSRC2:USER_SGPR: 6
; COMPUTE_PGM_RSRC2:TRAP_HANDLER: 0
; COMPUTE_PGM_RSRC2:TGID_X_EN: 1
; COMPUTE_PGM_RSRC2:TGID_Y_EN: 0
; COMPUTE_PGM_RSRC2:TGID_Z_EN: 0
; COMPUTE_PGM_RSRC2:TIDIG_COMP_CNT: 0
	.section	.text._ZN9rocsparseL19gebsrmvn_2xn_kernelILj128ELj8ELj4E21rocsparse_complex_numIfEEEvi20rocsparse_direction_NS_24const_host_device_scalarIT2_EEPKiS8_PKS5_SA_S6_PS5_21rocsparse_index_base_b,"axG",@progbits,_ZN9rocsparseL19gebsrmvn_2xn_kernelILj128ELj8ELj4E21rocsparse_complex_numIfEEEvi20rocsparse_direction_NS_24const_host_device_scalarIT2_EEPKiS8_PKS5_SA_S6_PS5_21rocsparse_index_base_b,comdat
	.globl	_ZN9rocsparseL19gebsrmvn_2xn_kernelILj128ELj8ELj4E21rocsparse_complex_numIfEEEvi20rocsparse_direction_NS_24const_host_device_scalarIT2_EEPKiS8_PKS5_SA_S6_PS5_21rocsparse_index_base_b ; -- Begin function _ZN9rocsparseL19gebsrmvn_2xn_kernelILj128ELj8ELj4E21rocsparse_complex_numIfEEEvi20rocsparse_direction_NS_24const_host_device_scalarIT2_EEPKiS8_PKS5_SA_S6_PS5_21rocsparse_index_base_b
	.p2align	8
	.type	_ZN9rocsparseL19gebsrmvn_2xn_kernelILj128ELj8ELj4E21rocsparse_complex_numIfEEEvi20rocsparse_direction_NS_24const_host_device_scalarIT2_EEPKiS8_PKS5_SA_S6_PS5_21rocsparse_index_base_b,@function
_ZN9rocsparseL19gebsrmvn_2xn_kernelILj128ELj8ELj4E21rocsparse_complex_numIfEEEvi20rocsparse_direction_NS_24const_host_device_scalarIT2_EEPKiS8_PKS5_SA_S6_PS5_21rocsparse_index_base_b: ; @_ZN9rocsparseL19gebsrmvn_2xn_kernelILj128ELj8ELj4E21rocsparse_complex_numIfEEEvi20rocsparse_direction_NS_24const_host_device_scalarIT2_EEPKiS8_PKS5_SA_S6_PS5_21rocsparse_index_base_b
; %bb.0:
	s_clause 0x2
	s_load_dwordx2 s[2:3], s[4:5], 0x40
	s_load_dwordx2 s[0:1], s[4:5], 0x8
	;; [unrolled: 1-line block ×3, first 2 shown]
	s_add_u32 s7, s4, 8
	s_addc_u32 s10, s5, 0
	s_add_u32 s11, s4, 48
	s_addc_u32 s12, s5, 0
	s_waitcnt lgkmcnt(0)
	s_bitcmp1_b32 s3, 0
	s_cselect_b32 s0, s7, s0
	s_cselect_b32 s1, s10, s1
	v_mov_b32_e32 v1, s0
	v_mov_b32_e32 v2, s1
	s_cselect_b32 s0, s11, s8
	s_cselect_b32 s1, s12, s9
	v_mov_b32_e32 v3, s0
	v_mov_b32_e32 v4, s1
	flat_load_dwordx2 v[1:2], v[1:2]
	flat_load_dwordx2 v[3:4], v[3:4]
	s_waitcnt vmcnt(1) lgkmcnt(1)
	v_cmp_eq_f32_e32 vcc_lo, 0, v1
	v_cmp_eq_f32_e64 s0, 0, v2
	s_and_b32 s3, vcc_lo, s0
	s_mov_b32 s0, -1
	s_and_saveexec_b32 s1, s3
	s_cbranch_execz .LBB182_2
; %bb.1:
	s_waitcnt vmcnt(0) lgkmcnt(0)
	v_cmp_neq_f32_e32 vcc_lo, 1.0, v3
	v_cmp_neq_f32_e64 s0, 0, v4
	s_or_b32 s0, vcc_lo, s0
	s_orn2_b32 s0, s0, exec_lo
.LBB182_2:
	s_or_b32 exec_lo, exec_lo, s1
	s_and_saveexec_b32 s1, s0
	s_cbranch_execz .LBB182_21
; %bb.3:
	s_load_dwordx2 s[0:1], s[4:5], 0x0
	v_lshrrev_b32_e32 v5, 2, v0
	v_lshl_or_b32 v5, s6, 5, v5
	s_waitcnt lgkmcnt(0)
	v_cmp_gt_i32_e32 vcc_lo, s0, v5
	s_and_b32 exec_lo, exec_lo, vcc_lo
	s_cbranch_execz .LBB182_21
; %bb.4:
	s_load_dwordx8 s[8:15], s[4:5], 0x10
	v_ashrrev_i32_e32 v6, 31, v5
	v_and_b32_e32 v0, 3, v0
	s_cmp_lg_u32 s1, 0
	v_lshlrev_b64 v[6:7], 2, v[5:6]
	s_waitcnt lgkmcnt(0)
	v_add_co_u32 v6, vcc_lo, s8, v6
	v_add_co_ci_u32_e64 v7, null, s9, v7, vcc_lo
	global_load_dwordx2 v[6:7], v[6:7], off
	s_waitcnt vmcnt(0)
	v_subrev_nc_u32_e32 v6, s2, v6
	v_subrev_nc_u32_e32 v13, s2, v7
	v_add_nc_u32_e32 v6, v6, v0
	v_cmp_lt_i32_e64 s0, v6, v13
	s_cbranch_scc0 .LBB182_10
; %bb.5:
	v_mov_b32_e32 v11, 0
	v_mov_b32_e32 v14, 0
	;; [unrolled: 1-line block ×4, first 2 shown]
	s_and_saveexec_b32 s1, s0
	s_cbranch_execz .LBB182_9
; %bb.6:
	v_mov_b32_e32 v8, 0
	v_lshlrev_b32_e32 v7, 4, v6
	v_mov_b32_e32 v9, v6
	s_mov_b32 s3, 0
	v_mov_b32_e32 v11, v8
	v_mov_b32_e32 v14, v8
	;; [unrolled: 1-line block ×4, first 2 shown]
.LBB182_7:                              ; =>This Inner Loop Header: Depth=1
	v_ashrrev_i32_e32 v10, 31, v9
	v_mov_b32_e32 v21, v8
	v_lshlrev_b64 v[16:17], 2, v[9:10]
	v_add_nc_u32_e32 v9, 4, v9
	v_add_co_u32 v16, vcc_lo, s10, v16
	v_add_co_ci_u32_e64 v17, null, s11, v17, vcc_lo
	global_load_dword v10, v[16:17], off
	v_lshlrev_b64 v[16:17], 3, v[7:8]
	v_add_nc_u32_e32 v7, 64, v7
	v_add_co_u32 v60, vcc_lo, s12, v16
	v_add_co_ci_u32_e64 v61, null, s13, v17, vcc_lo
	global_load_dwordx4 v[16:19], v[60:61], off offset:16
	s_waitcnt vmcnt(1)
	v_subrev_nc_u32_e32 v10, s2, v10
	v_lshlrev_b32_e32 v20, 3, v10
	v_lshlrev_b64 v[20:21], 3, v[20:21]
	v_add_co_u32 v52, vcc_lo, s14, v20
	v_add_co_ci_u32_e64 v53, null, s15, v21, vcc_lo
	v_cmp_ge_i32_e32 vcc_lo, v9, v13
	global_load_dwordx4 v[20:23], v[60:61], off
	s_clause 0x1
	global_load_dwordx4 v[24:27], v[52:53], off
	global_load_dwordx4 v[28:31], v[52:53], off offset:16
	s_clause 0x3
	global_load_dwordx4 v[32:35], v[60:61], off offset:32
	global_load_dwordx4 v[36:39], v[60:61], off offset:48
	;; [unrolled: 1-line block ×4, first 2 shown]
	s_clause 0x1
	global_load_dwordx4 v[48:51], v[52:53], off offset:32
	global_load_dwordx4 v[52:55], v[52:53], off offset:48
	s_clause 0x1
	global_load_dwordx4 v[56:59], v[60:61], off offset:96
	global_load_dwordx4 v[60:63], v[60:61], off offset:112
	s_or_b32 s3, vcc_lo, s3
	s_waitcnt vmcnt(9)
	v_fmac_f32_e32 v14, v20, v24
	v_fmac_f32_e32 v11, v21, v24
	;; [unrolled: 1-line block ×4, first 2 shown]
	v_fma_f32 v10, -v21, v25, v14
	v_fmac_f32_e32 v11, v20, v25
	v_fma_f32 v14, -v23, v25, v15
	v_fmac_f32_e32 v12, v22, v25
	v_fmac_f32_e32 v10, v16, v26
	;; [unrolled: 1-line block ×5, first 2 shown]
	v_fma_f32 v10, -v17, v27, v10
	v_fmac_f32_e32 v11, v16, v27
	v_fma_f32 v14, -v19, v27, v14
	v_fmac_f32_e32 v12, v18, v27
	s_waitcnt vmcnt(7)
	v_fmac_f32_e32 v10, v32, v28
	v_fmac_f32_e32 v11, v33, v28
	v_fmac_f32_e32 v14, v34, v28
	v_fmac_f32_e32 v12, v35, v28
	v_fma_f32 v10, -v33, v29, v10
	v_fmac_f32_e32 v11, v32, v29
	v_fma_f32 v14, -v35, v29, v14
	v_fmac_f32_e32 v12, v34, v29
	s_waitcnt vmcnt(6)
	v_fmac_f32_e32 v10, v36, v30
	v_fmac_f32_e32 v11, v37, v30
	v_fmac_f32_e32 v14, v38, v30
	v_fmac_f32_e32 v12, v39, v30
	;; [unrolled: 9-line block ×3, first 2 shown]
	v_fma_f32 v10, -v45, v49, v10
	v_fmac_f32_e32 v11, v44, v49
	v_fma_f32 v14, -v47, v49, v14
	v_fmac_f32_e32 v12, v46, v49
	v_fmac_f32_e32 v10, v40, v50
	;; [unrolled: 1-line block ×5, first 2 shown]
	v_fma_f32 v10, -v41, v51, v10
	v_fmac_f32_e32 v11, v40, v51
	v_fma_f32 v14, -v43, v51, v14
	v_fmac_f32_e32 v12, v42, v51
	s_waitcnt vmcnt(1)
	v_fmac_f32_e32 v10, v56, v52
	v_fmac_f32_e32 v11, v57, v52
	;; [unrolled: 1-line block ×4, first 2 shown]
	v_fma_f32 v10, -v57, v53, v10
	v_fmac_f32_e32 v11, v56, v53
	v_fma_f32 v15, -v59, v53, v14
	v_fmac_f32_e32 v12, v58, v53
	s_waitcnt vmcnt(0)
	v_fmac_f32_e32 v10, v60, v54
	v_fmac_f32_e32 v11, v61, v54
	;; [unrolled: 1-line block ×4, first 2 shown]
	v_fma_f32 v14, -v61, v55, v10
	v_fmac_f32_e32 v11, v60, v55
	v_fma_f32 v15, -v63, v55, v15
	v_fmac_f32_e32 v12, v62, v55
	s_andn2_b32 exec_lo, exec_lo, s3
	s_cbranch_execnz .LBB182_7
; %bb.8:
	s_or_b32 exec_lo, exec_lo, s3
.LBB182_9:
	s_or_b32 exec_lo, exec_lo, s1
	s_cbranch_execz .LBB182_11
	s_branch .LBB182_16
.LBB182_10:
                                        ; implicit-def: $vgpr11
                                        ; implicit-def: $vgpr14
                                        ; implicit-def: $vgpr15
                                        ; implicit-def: $vgpr12
.LBB182_11:
	v_mov_b32_e32 v11, 0
	v_mov_b32_e32 v14, 0
	v_mov_b32_e32 v15, 0
	v_mov_b32_e32 v12, 0
	s_and_saveexec_b32 s1, s0
	s_cbranch_execz .LBB182_15
; %bb.12:
	v_mov_b32_e32 v9, 0
	v_lshlrev_b32_e32 v8, 4, v6
	s_mov_b32 s0, 0
	v_mov_b32_e32 v11, v9
	v_mov_b32_e32 v14, v9
	;; [unrolled: 1-line block ×4, first 2 shown]
.LBB182_13:                             ; =>This Inner Loop Header: Depth=1
	v_ashrrev_i32_e32 v7, 31, v6
	v_mov_b32_e32 v29, v9
	v_lshlrev_b64 v[16:17], 2, v[6:7]
	v_add_nc_u32_e32 v6, 4, v6
	v_add_co_u32 v16, vcc_lo, s10, v16
	v_add_co_ci_u32_e64 v17, null, s11, v17, vcc_lo
	global_load_dword v7, v[16:17], off
	v_lshlrev_b64 v[16:17], 3, v[8:9]
	v_add_nc_u32_e32 v8, 64, v8
	v_add_co_u32 v52, vcc_lo, s12, v16
	v_add_co_ci_u32_e64 v53, null, s13, v17, vcc_lo
	s_clause 0x2
	global_load_dwordx4 v[16:19], v[52:53], off offset:16
	global_load_dwordx4 v[20:23], v[52:53], off
	global_load_dwordx4 v[24:27], v[52:53], off offset:80
	s_waitcnt vmcnt(3)
	v_subrev_nc_u32_e32 v7, s2, v7
	v_lshlrev_b32_e32 v28, 3, v7
	v_lshlrev_b64 v[28:29], 3, v[28:29]
	v_add_co_u32 v60, vcc_lo, s14, v28
	v_add_co_ci_u32_e64 v61, null, s15, v29, vcc_lo
	v_cmp_ge_i32_e32 vcc_lo, v6, v13
	global_load_dwordx4 v[28:31], v[52:53], off offset:64
	s_clause 0x1
	global_load_dwordx4 v[32:35], v[60:61], off
	global_load_dwordx4 v[36:39], v[60:61], off offset:16
	s_clause 0x3
	global_load_dwordx4 v[40:43], v[52:53], off offset:48
	global_load_dwordx4 v[44:47], v[52:53], off offset:32
	;; [unrolled: 1-line block ×4, first 2 shown]
	s_clause 0x1
	global_load_dwordx4 v[56:59], v[60:61], off offset:32
	global_load_dwordx4 v[60:63], v[60:61], off offset:48
	s_or_b32 s0, vcc_lo, s0
	s_waitcnt vmcnt(7)
	v_fmac_f32_e32 v14, v20, v32
	v_fmac_f32_e32 v11, v21, v32
	v_fmac_f32_e32 v15, v28, v32
	v_fmac_f32_e32 v12, v29, v32
	v_fma_f32 v7, -v21, v33, v14
	v_fmac_f32_e32 v11, v20, v33
	v_fma_f32 v10, -v29, v33, v15
	v_fmac_f32_e32 v12, v28, v33
	v_fmac_f32_e32 v7, v22, v34
	v_fmac_f32_e32 v11, v23, v34
	v_fmac_f32_e32 v10, v30, v34
	v_fmac_f32_e32 v12, v31, v34
	v_fma_f32 v7, -v23, v35, v7
	v_fmac_f32_e32 v11, v22, v35
	v_fma_f32 v10, -v31, v35, v10
	v_fmac_f32_e32 v12, v30, v35
	s_waitcnt vmcnt(6)
	v_fmac_f32_e32 v7, v16, v36
	v_fmac_f32_e32 v11, v17, v36
	v_fmac_f32_e32 v10, v24, v36
	v_fmac_f32_e32 v12, v25, v36
	v_fma_f32 v7, -v17, v37, v7
	v_fmac_f32_e32 v11, v16, v37
	v_fma_f32 v10, -v25, v37, v10
	v_fmac_f32_e32 v12, v24, v37
	v_fmac_f32_e32 v7, v18, v38
	v_fmac_f32_e32 v11, v19, v38
	v_fmac_f32_e32 v10, v26, v38
	v_fmac_f32_e32 v12, v27, v38
	v_fma_f32 v7, -v19, v39, v7
	v_fmac_f32_e32 v11, v18, v39
	v_fma_f32 v10, -v27, v39, v10
	v_fmac_f32_e32 v12, v26, v39
	;; [unrolled: 17-line block ×4, first 2 shown]
	s_andn2_b32 exec_lo, exec_lo, s0
	s_cbranch_execnz .LBB182_13
; %bb.14:
	s_or_b32 exec_lo, exec_lo, s0
.LBB182_15:
	s_or_b32 exec_lo, exec_lo, s1
.LBB182_16:
	v_mbcnt_lo_u32_b32 v6, -1, 0
	v_xor_b32_e32 v7, 2, v6
	v_xor_b32_e32 v13, 1, v6
	v_cmp_gt_i32_e32 vcc_lo, 32, v7
	v_cndmask_b32_e32 v7, v6, v7, vcc_lo
	v_cmp_gt_i32_e32 vcc_lo, 32, v13
	v_lshlrev_b32_e32 v7, 2, v7
	v_cndmask_b32_e32 v6, v6, v13, vcc_lo
	v_cmp_eq_u32_e32 vcc_lo, 3, v0
	ds_bpermute_b32 v8, v7, v14
	ds_bpermute_b32 v9, v7, v11
	;; [unrolled: 1-line block ×4, first 2 shown]
	v_lshlrev_b32_e32 v16, 2, v6
	s_waitcnt lgkmcnt(3)
	v_add_f32_e32 v8, v14, v8
	s_waitcnt lgkmcnt(2)
	v_add_f32_e32 v9, v11, v9
	;; [unrolled: 2-line block ×4, first 2 shown]
	ds_bpermute_b32 v12, v16, v8
	ds_bpermute_b32 v13, v16, v9
	;; [unrolled: 1-line block ×4, first 2 shown]
	s_and_b32 exec_lo, exec_lo, vcc_lo
	s_cbranch_execz .LBB182_21
; %bb.17:
	s_load_dwordx2 s[2:3], s[4:5], 0x38
	v_cmp_eq_f32_e32 vcc_lo, 0, v3
	v_cmp_eq_f32_e64 s0, 0, v4
	s_waitcnt lgkmcnt(0)
	v_add_f32_e32 v0, v8, v12
	v_add_f32_e32 v8, v9, v13
	;; [unrolled: 1-line block ×4, first 2 shown]
	s_and_b32 s0, vcc_lo, s0
	s_and_saveexec_b32 s1, s0
	s_xor_b32 s0, exec_lo, s1
	s_cbranch_execz .LBB182_19
; %bb.18:
	v_lshlrev_b32_e32 v3, 1, v5
	v_mul_f32_e64 v9, v8, -v2
	v_mul_f32_e32 v10, v1, v8
	v_mul_f32_e64 v11, v7, -v2
	v_mul_f32_e32 v12, v1, v7
	v_ashrrev_i32_e32 v4, 31, v3
	v_fmac_f32_e32 v9, v1, v0
	v_fmac_f32_e32 v10, v2, v0
	;; [unrolled: 1-line block ×4, first 2 shown]
	v_lshlrev_b64 v[3:4], 3, v[3:4]
                                        ; implicit-def: $vgpr5
                                        ; implicit-def: $vgpr8
                                        ; implicit-def: $vgpr7
                                        ; implicit-def: $vgpr6
	v_add_co_u32 v0, vcc_lo, s2, v3
	v_add_co_ci_u32_e64 v1, null, s3, v4, vcc_lo
                                        ; implicit-def: $vgpr3_vgpr4
	global_store_dwordx4 v[0:1], v[9:12], off
                                        ; implicit-def: $vgpr1_vgpr2
                                        ; implicit-def: $vgpr0
.LBB182_19:
	s_andn2_saveexec_b32 s0, s0
	s_cbranch_execz .LBB182_21
; %bb.20:
	v_lshlrev_b32_e32 v9, 1, v5
	v_mul_f32_e64 v5, v8, -v2
	v_mul_f32_e32 v14, v1, v8
	v_mul_f32_e64 v8, v7, -v2
	v_mul_f32_e32 v16, v1, v7
	v_ashrrev_i32_e32 v10, 31, v9
	v_fmac_f32_e32 v5, v1, v0
	v_fmac_f32_e32 v14, v2, v0
	;; [unrolled: 1-line block ×4, first 2 shown]
	v_lshlrev_b64 v[9:10], 3, v[9:10]
	v_add_co_u32 v17, vcc_lo, s2, v9
	v_add_co_ci_u32_e64 v18, null, s3, v10, vcc_lo
	global_load_dwordx4 v[9:12], v[17:18], off
	s_waitcnt vmcnt(0)
	v_fmac_f32_e32 v5, v3, v9
	v_fmac_f32_e32 v14, v4, v9
	;; [unrolled: 1-line block ×4, first 2 shown]
	v_fma_f32 v13, -v4, v10, v5
	v_fmac_f32_e32 v14, v3, v10
	v_fma_f32 v15, -v4, v12, v8
	v_fmac_f32_e32 v16, v3, v12
	global_store_dwordx4 v[17:18], v[13:16], off
.LBB182_21:
	s_endpgm
	.section	.rodata,"a",@progbits
	.p2align	6, 0x0
	.amdhsa_kernel _ZN9rocsparseL19gebsrmvn_2xn_kernelILj128ELj8ELj4E21rocsparse_complex_numIfEEEvi20rocsparse_direction_NS_24const_host_device_scalarIT2_EEPKiS8_PKS5_SA_S6_PS5_21rocsparse_index_base_b
		.amdhsa_group_segment_fixed_size 0
		.amdhsa_private_segment_fixed_size 0
		.amdhsa_kernarg_size 72
		.amdhsa_user_sgpr_count 6
		.amdhsa_user_sgpr_private_segment_buffer 1
		.amdhsa_user_sgpr_dispatch_ptr 0
		.amdhsa_user_sgpr_queue_ptr 0
		.amdhsa_user_sgpr_kernarg_segment_ptr 1
		.amdhsa_user_sgpr_dispatch_id 0
		.amdhsa_user_sgpr_flat_scratch_init 0
		.amdhsa_user_sgpr_private_segment_size 0
		.amdhsa_wavefront_size32 1
		.amdhsa_uses_dynamic_stack 0
		.amdhsa_system_sgpr_private_segment_wavefront_offset 0
		.amdhsa_system_sgpr_workgroup_id_x 1
		.amdhsa_system_sgpr_workgroup_id_y 0
		.amdhsa_system_sgpr_workgroup_id_z 0
		.amdhsa_system_sgpr_workgroup_info 0
		.amdhsa_system_vgpr_workitem_id 0
		.amdhsa_next_free_vgpr 64
		.amdhsa_next_free_sgpr 16
		.amdhsa_reserve_vcc 1
		.amdhsa_reserve_flat_scratch 0
		.amdhsa_float_round_mode_32 0
		.amdhsa_float_round_mode_16_64 0
		.amdhsa_float_denorm_mode_32 3
		.amdhsa_float_denorm_mode_16_64 3
		.amdhsa_dx10_clamp 1
		.amdhsa_ieee_mode 1
		.amdhsa_fp16_overflow 0
		.amdhsa_workgroup_processor_mode 1
		.amdhsa_memory_ordered 1
		.amdhsa_forward_progress 1
		.amdhsa_shared_vgpr_count 0
		.amdhsa_exception_fp_ieee_invalid_op 0
		.amdhsa_exception_fp_denorm_src 0
		.amdhsa_exception_fp_ieee_div_zero 0
		.amdhsa_exception_fp_ieee_overflow 0
		.amdhsa_exception_fp_ieee_underflow 0
		.amdhsa_exception_fp_ieee_inexact 0
		.amdhsa_exception_int_div_zero 0
	.end_amdhsa_kernel
	.section	.text._ZN9rocsparseL19gebsrmvn_2xn_kernelILj128ELj8ELj4E21rocsparse_complex_numIfEEEvi20rocsparse_direction_NS_24const_host_device_scalarIT2_EEPKiS8_PKS5_SA_S6_PS5_21rocsparse_index_base_b,"axG",@progbits,_ZN9rocsparseL19gebsrmvn_2xn_kernelILj128ELj8ELj4E21rocsparse_complex_numIfEEEvi20rocsparse_direction_NS_24const_host_device_scalarIT2_EEPKiS8_PKS5_SA_S6_PS5_21rocsparse_index_base_b,comdat
.Lfunc_end182:
	.size	_ZN9rocsparseL19gebsrmvn_2xn_kernelILj128ELj8ELj4E21rocsparse_complex_numIfEEEvi20rocsparse_direction_NS_24const_host_device_scalarIT2_EEPKiS8_PKS5_SA_S6_PS5_21rocsparse_index_base_b, .Lfunc_end182-_ZN9rocsparseL19gebsrmvn_2xn_kernelILj128ELj8ELj4E21rocsparse_complex_numIfEEEvi20rocsparse_direction_NS_24const_host_device_scalarIT2_EEPKiS8_PKS5_SA_S6_PS5_21rocsparse_index_base_b
                                        ; -- End function
	.set _ZN9rocsparseL19gebsrmvn_2xn_kernelILj128ELj8ELj4E21rocsparse_complex_numIfEEEvi20rocsparse_direction_NS_24const_host_device_scalarIT2_EEPKiS8_PKS5_SA_S6_PS5_21rocsparse_index_base_b.num_vgpr, 64
	.set _ZN9rocsparseL19gebsrmvn_2xn_kernelILj128ELj8ELj4E21rocsparse_complex_numIfEEEvi20rocsparse_direction_NS_24const_host_device_scalarIT2_EEPKiS8_PKS5_SA_S6_PS5_21rocsparse_index_base_b.num_agpr, 0
	.set _ZN9rocsparseL19gebsrmvn_2xn_kernelILj128ELj8ELj4E21rocsparse_complex_numIfEEEvi20rocsparse_direction_NS_24const_host_device_scalarIT2_EEPKiS8_PKS5_SA_S6_PS5_21rocsparse_index_base_b.numbered_sgpr, 16
	.set _ZN9rocsparseL19gebsrmvn_2xn_kernelILj128ELj8ELj4E21rocsparse_complex_numIfEEEvi20rocsparse_direction_NS_24const_host_device_scalarIT2_EEPKiS8_PKS5_SA_S6_PS5_21rocsparse_index_base_b.num_named_barrier, 0
	.set _ZN9rocsparseL19gebsrmvn_2xn_kernelILj128ELj8ELj4E21rocsparse_complex_numIfEEEvi20rocsparse_direction_NS_24const_host_device_scalarIT2_EEPKiS8_PKS5_SA_S6_PS5_21rocsparse_index_base_b.private_seg_size, 0
	.set _ZN9rocsparseL19gebsrmvn_2xn_kernelILj128ELj8ELj4E21rocsparse_complex_numIfEEEvi20rocsparse_direction_NS_24const_host_device_scalarIT2_EEPKiS8_PKS5_SA_S6_PS5_21rocsparse_index_base_b.uses_vcc, 1
	.set _ZN9rocsparseL19gebsrmvn_2xn_kernelILj128ELj8ELj4E21rocsparse_complex_numIfEEEvi20rocsparse_direction_NS_24const_host_device_scalarIT2_EEPKiS8_PKS5_SA_S6_PS5_21rocsparse_index_base_b.uses_flat_scratch, 0
	.set _ZN9rocsparseL19gebsrmvn_2xn_kernelILj128ELj8ELj4E21rocsparse_complex_numIfEEEvi20rocsparse_direction_NS_24const_host_device_scalarIT2_EEPKiS8_PKS5_SA_S6_PS5_21rocsparse_index_base_b.has_dyn_sized_stack, 0
	.set _ZN9rocsparseL19gebsrmvn_2xn_kernelILj128ELj8ELj4E21rocsparse_complex_numIfEEEvi20rocsparse_direction_NS_24const_host_device_scalarIT2_EEPKiS8_PKS5_SA_S6_PS5_21rocsparse_index_base_b.has_recursion, 0
	.set _ZN9rocsparseL19gebsrmvn_2xn_kernelILj128ELj8ELj4E21rocsparse_complex_numIfEEEvi20rocsparse_direction_NS_24const_host_device_scalarIT2_EEPKiS8_PKS5_SA_S6_PS5_21rocsparse_index_base_b.has_indirect_call, 0
	.section	.AMDGPU.csdata,"",@progbits
; Kernel info:
; codeLenInByte = 2000
; TotalNumSgprs: 18
; NumVgprs: 64
; ScratchSize: 0
; MemoryBound: 0
; FloatMode: 240
; IeeeMode: 1
; LDSByteSize: 0 bytes/workgroup (compile time only)
; SGPRBlocks: 0
; VGPRBlocks: 7
; NumSGPRsForWavesPerEU: 18
; NumVGPRsForWavesPerEU: 64
; Occupancy: 16
; WaveLimiterHint : 1
; COMPUTE_PGM_RSRC2:SCRATCH_EN: 0
; COMPUTE_PGM_RSRC2:USER_SGPR: 6
; COMPUTE_PGM_RSRC2:TRAP_HANDLER: 0
; COMPUTE_PGM_RSRC2:TGID_X_EN: 1
; COMPUTE_PGM_RSRC2:TGID_Y_EN: 0
; COMPUTE_PGM_RSRC2:TGID_Z_EN: 0
; COMPUTE_PGM_RSRC2:TIDIG_COMP_CNT: 0
	.section	.text._ZN9rocsparseL19gebsrmvn_2xn_kernelILj128ELj8ELj8E21rocsparse_complex_numIfEEEvi20rocsparse_direction_NS_24const_host_device_scalarIT2_EEPKiS8_PKS5_SA_S6_PS5_21rocsparse_index_base_b,"axG",@progbits,_ZN9rocsparseL19gebsrmvn_2xn_kernelILj128ELj8ELj8E21rocsparse_complex_numIfEEEvi20rocsparse_direction_NS_24const_host_device_scalarIT2_EEPKiS8_PKS5_SA_S6_PS5_21rocsparse_index_base_b,comdat
	.globl	_ZN9rocsparseL19gebsrmvn_2xn_kernelILj128ELj8ELj8E21rocsparse_complex_numIfEEEvi20rocsparse_direction_NS_24const_host_device_scalarIT2_EEPKiS8_PKS5_SA_S6_PS5_21rocsparse_index_base_b ; -- Begin function _ZN9rocsparseL19gebsrmvn_2xn_kernelILj128ELj8ELj8E21rocsparse_complex_numIfEEEvi20rocsparse_direction_NS_24const_host_device_scalarIT2_EEPKiS8_PKS5_SA_S6_PS5_21rocsparse_index_base_b
	.p2align	8
	.type	_ZN9rocsparseL19gebsrmvn_2xn_kernelILj128ELj8ELj8E21rocsparse_complex_numIfEEEvi20rocsparse_direction_NS_24const_host_device_scalarIT2_EEPKiS8_PKS5_SA_S6_PS5_21rocsparse_index_base_b,@function
_ZN9rocsparseL19gebsrmvn_2xn_kernelILj128ELj8ELj8E21rocsparse_complex_numIfEEEvi20rocsparse_direction_NS_24const_host_device_scalarIT2_EEPKiS8_PKS5_SA_S6_PS5_21rocsparse_index_base_b: ; @_ZN9rocsparseL19gebsrmvn_2xn_kernelILj128ELj8ELj8E21rocsparse_complex_numIfEEEvi20rocsparse_direction_NS_24const_host_device_scalarIT2_EEPKiS8_PKS5_SA_S6_PS5_21rocsparse_index_base_b
; %bb.0:
	s_clause 0x2
	s_load_dwordx2 s[2:3], s[4:5], 0x40
	s_load_dwordx2 s[0:1], s[4:5], 0x8
	;; [unrolled: 1-line block ×3, first 2 shown]
	s_add_u32 s7, s4, 8
	s_addc_u32 s10, s5, 0
	s_add_u32 s11, s4, 48
	s_addc_u32 s12, s5, 0
	s_waitcnt lgkmcnt(0)
	s_bitcmp1_b32 s3, 0
	s_cselect_b32 s0, s7, s0
	s_cselect_b32 s1, s10, s1
	v_mov_b32_e32 v1, s0
	v_mov_b32_e32 v2, s1
	s_cselect_b32 s0, s11, s8
	s_cselect_b32 s1, s12, s9
	v_mov_b32_e32 v3, s0
	v_mov_b32_e32 v4, s1
	flat_load_dwordx2 v[1:2], v[1:2]
	flat_load_dwordx2 v[3:4], v[3:4]
	s_waitcnt vmcnt(1) lgkmcnt(1)
	v_cmp_eq_f32_e32 vcc_lo, 0, v1
	v_cmp_eq_f32_e64 s0, 0, v2
	s_and_b32 s3, vcc_lo, s0
	s_mov_b32 s0, -1
	s_and_saveexec_b32 s1, s3
	s_cbranch_execz .LBB183_2
; %bb.1:
	s_waitcnt vmcnt(0) lgkmcnt(0)
	v_cmp_neq_f32_e32 vcc_lo, 1.0, v3
	v_cmp_neq_f32_e64 s0, 0, v4
	s_or_b32 s0, vcc_lo, s0
	s_orn2_b32 s0, s0, exec_lo
.LBB183_2:
	s_or_b32 exec_lo, exec_lo, s1
	s_and_saveexec_b32 s1, s0
	s_cbranch_execz .LBB183_21
; %bb.3:
	s_load_dwordx2 s[0:1], s[4:5], 0x0
	v_lshrrev_b32_e32 v5, 3, v0
	v_lshl_or_b32 v5, s6, 4, v5
	s_waitcnt lgkmcnt(0)
	v_cmp_gt_i32_e32 vcc_lo, s0, v5
	s_and_b32 exec_lo, exec_lo, vcc_lo
	s_cbranch_execz .LBB183_21
; %bb.4:
	s_load_dwordx8 s[8:15], s[4:5], 0x10
	v_ashrrev_i32_e32 v6, 31, v5
	v_and_b32_e32 v0, 7, v0
	s_cmp_lg_u32 s1, 0
	v_lshlrev_b64 v[6:7], 2, v[5:6]
	s_waitcnt lgkmcnt(0)
	v_add_co_u32 v6, vcc_lo, s8, v6
	v_add_co_ci_u32_e64 v7, null, s9, v7, vcc_lo
	global_load_dwordx2 v[6:7], v[6:7], off
	s_waitcnt vmcnt(0)
	v_subrev_nc_u32_e32 v6, s2, v6
	v_subrev_nc_u32_e32 v13, s2, v7
	v_add_nc_u32_e32 v6, v6, v0
	v_cmp_lt_i32_e64 s0, v6, v13
	s_cbranch_scc0 .LBB183_10
; %bb.5:
	v_mov_b32_e32 v11, 0
	v_mov_b32_e32 v14, 0
	;; [unrolled: 1-line block ×4, first 2 shown]
	s_and_saveexec_b32 s1, s0
	s_cbranch_execz .LBB183_9
; %bb.6:
	v_mov_b32_e32 v8, 0
	v_lshlrev_b32_e32 v7, 4, v6
	v_mov_b32_e32 v9, v6
	s_mov_b32 s3, 0
	v_mov_b32_e32 v11, v8
	v_mov_b32_e32 v14, v8
	;; [unrolled: 1-line block ×4, first 2 shown]
.LBB183_7:                              ; =>This Inner Loop Header: Depth=1
	v_ashrrev_i32_e32 v10, 31, v9
	v_mov_b32_e32 v21, v8
	v_lshlrev_b64 v[16:17], 2, v[9:10]
	v_add_nc_u32_e32 v9, 8, v9
	v_add_co_u32 v16, vcc_lo, s10, v16
	v_add_co_ci_u32_e64 v17, null, s11, v17, vcc_lo
	global_load_dword v10, v[16:17], off
	v_lshlrev_b64 v[16:17], 3, v[7:8]
	v_add_nc_u32_e32 v7, 0x80, v7
	v_add_co_u32 v60, vcc_lo, s12, v16
	v_add_co_ci_u32_e64 v61, null, s13, v17, vcc_lo
	global_load_dwordx4 v[16:19], v[60:61], off offset:16
	s_waitcnt vmcnt(1)
	v_subrev_nc_u32_e32 v10, s2, v10
	v_lshlrev_b32_e32 v20, 3, v10
	v_lshlrev_b64 v[20:21], 3, v[20:21]
	v_add_co_u32 v52, vcc_lo, s14, v20
	v_add_co_ci_u32_e64 v53, null, s15, v21, vcc_lo
	v_cmp_ge_i32_e32 vcc_lo, v9, v13
	global_load_dwordx4 v[20:23], v[60:61], off
	s_clause 0x1
	global_load_dwordx4 v[24:27], v[52:53], off
	global_load_dwordx4 v[28:31], v[52:53], off offset:16
	s_clause 0x3
	global_load_dwordx4 v[32:35], v[60:61], off offset:32
	global_load_dwordx4 v[36:39], v[60:61], off offset:48
	;; [unrolled: 1-line block ×4, first 2 shown]
	s_clause 0x1
	global_load_dwordx4 v[48:51], v[52:53], off offset:32
	global_load_dwordx4 v[52:55], v[52:53], off offset:48
	s_clause 0x1
	global_load_dwordx4 v[56:59], v[60:61], off offset:96
	global_load_dwordx4 v[60:63], v[60:61], off offset:112
	s_or_b32 s3, vcc_lo, s3
	s_waitcnt vmcnt(9)
	v_fmac_f32_e32 v14, v20, v24
	v_fmac_f32_e32 v11, v21, v24
	v_fmac_f32_e32 v15, v22, v24
	v_fmac_f32_e32 v12, v23, v24
	v_fma_f32 v10, -v21, v25, v14
	v_fmac_f32_e32 v11, v20, v25
	v_fma_f32 v14, -v23, v25, v15
	v_fmac_f32_e32 v12, v22, v25
	v_fmac_f32_e32 v10, v16, v26
	;; [unrolled: 1-line block ×5, first 2 shown]
	v_fma_f32 v10, -v17, v27, v10
	v_fmac_f32_e32 v11, v16, v27
	v_fma_f32 v14, -v19, v27, v14
	v_fmac_f32_e32 v12, v18, v27
	s_waitcnt vmcnt(7)
	v_fmac_f32_e32 v10, v32, v28
	v_fmac_f32_e32 v11, v33, v28
	v_fmac_f32_e32 v14, v34, v28
	v_fmac_f32_e32 v12, v35, v28
	v_fma_f32 v10, -v33, v29, v10
	v_fmac_f32_e32 v11, v32, v29
	v_fma_f32 v14, -v35, v29, v14
	v_fmac_f32_e32 v12, v34, v29
	s_waitcnt vmcnt(6)
	v_fmac_f32_e32 v10, v36, v30
	v_fmac_f32_e32 v11, v37, v30
	v_fmac_f32_e32 v14, v38, v30
	v_fmac_f32_e32 v12, v39, v30
	;; [unrolled: 9-line block ×3, first 2 shown]
	v_fma_f32 v10, -v45, v49, v10
	v_fmac_f32_e32 v11, v44, v49
	v_fma_f32 v14, -v47, v49, v14
	v_fmac_f32_e32 v12, v46, v49
	v_fmac_f32_e32 v10, v40, v50
	;; [unrolled: 1-line block ×5, first 2 shown]
	v_fma_f32 v10, -v41, v51, v10
	v_fmac_f32_e32 v11, v40, v51
	v_fma_f32 v14, -v43, v51, v14
	v_fmac_f32_e32 v12, v42, v51
	s_waitcnt vmcnt(1)
	v_fmac_f32_e32 v10, v56, v52
	v_fmac_f32_e32 v11, v57, v52
	;; [unrolled: 1-line block ×4, first 2 shown]
	v_fma_f32 v10, -v57, v53, v10
	v_fmac_f32_e32 v11, v56, v53
	v_fma_f32 v15, -v59, v53, v14
	v_fmac_f32_e32 v12, v58, v53
	s_waitcnt vmcnt(0)
	v_fmac_f32_e32 v10, v60, v54
	v_fmac_f32_e32 v11, v61, v54
	;; [unrolled: 1-line block ×4, first 2 shown]
	v_fma_f32 v14, -v61, v55, v10
	v_fmac_f32_e32 v11, v60, v55
	v_fma_f32 v15, -v63, v55, v15
	v_fmac_f32_e32 v12, v62, v55
	s_andn2_b32 exec_lo, exec_lo, s3
	s_cbranch_execnz .LBB183_7
; %bb.8:
	s_or_b32 exec_lo, exec_lo, s3
.LBB183_9:
	s_or_b32 exec_lo, exec_lo, s1
	s_cbranch_execz .LBB183_11
	s_branch .LBB183_16
.LBB183_10:
                                        ; implicit-def: $vgpr11
                                        ; implicit-def: $vgpr14
                                        ; implicit-def: $vgpr15
                                        ; implicit-def: $vgpr12
.LBB183_11:
	v_mov_b32_e32 v11, 0
	v_mov_b32_e32 v14, 0
	;; [unrolled: 1-line block ×4, first 2 shown]
	s_and_saveexec_b32 s1, s0
	s_cbranch_execz .LBB183_15
; %bb.12:
	v_mov_b32_e32 v9, 0
	v_lshlrev_b32_e32 v8, 4, v6
	s_mov_b32 s0, 0
	v_mov_b32_e32 v11, v9
	v_mov_b32_e32 v14, v9
	v_mov_b32_e32 v15, v9
	v_mov_b32_e32 v12, v9
.LBB183_13:                             ; =>This Inner Loop Header: Depth=1
	v_ashrrev_i32_e32 v7, 31, v6
	v_mov_b32_e32 v29, v9
	v_lshlrev_b64 v[16:17], 2, v[6:7]
	v_add_nc_u32_e32 v6, 8, v6
	v_add_co_u32 v16, vcc_lo, s10, v16
	v_add_co_ci_u32_e64 v17, null, s11, v17, vcc_lo
	global_load_dword v7, v[16:17], off
	v_lshlrev_b64 v[16:17], 3, v[8:9]
	v_add_nc_u32_e32 v8, 0x80, v8
	v_add_co_u32 v52, vcc_lo, s12, v16
	v_add_co_ci_u32_e64 v53, null, s13, v17, vcc_lo
	s_clause 0x2
	global_load_dwordx4 v[16:19], v[52:53], off offset:16
	global_load_dwordx4 v[20:23], v[52:53], off
	global_load_dwordx4 v[24:27], v[52:53], off offset:80
	s_waitcnt vmcnt(3)
	v_subrev_nc_u32_e32 v7, s2, v7
	v_lshlrev_b32_e32 v28, 3, v7
	v_lshlrev_b64 v[28:29], 3, v[28:29]
	v_add_co_u32 v60, vcc_lo, s14, v28
	v_add_co_ci_u32_e64 v61, null, s15, v29, vcc_lo
	v_cmp_ge_i32_e32 vcc_lo, v6, v13
	global_load_dwordx4 v[28:31], v[52:53], off offset:64
	s_clause 0x1
	global_load_dwordx4 v[32:35], v[60:61], off
	global_load_dwordx4 v[36:39], v[60:61], off offset:16
	s_clause 0x3
	global_load_dwordx4 v[40:43], v[52:53], off offset:48
	global_load_dwordx4 v[44:47], v[52:53], off offset:32
	;; [unrolled: 1-line block ×4, first 2 shown]
	s_clause 0x1
	global_load_dwordx4 v[56:59], v[60:61], off offset:32
	global_load_dwordx4 v[60:63], v[60:61], off offset:48
	s_or_b32 s0, vcc_lo, s0
	s_waitcnt vmcnt(7)
	v_fmac_f32_e32 v14, v20, v32
	v_fmac_f32_e32 v11, v21, v32
	v_fmac_f32_e32 v15, v28, v32
	v_fmac_f32_e32 v12, v29, v32
	v_fma_f32 v7, -v21, v33, v14
	v_fmac_f32_e32 v11, v20, v33
	v_fma_f32 v10, -v29, v33, v15
	v_fmac_f32_e32 v12, v28, v33
	v_fmac_f32_e32 v7, v22, v34
	v_fmac_f32_e32 v11, v23, v34
	v_fmac_f32_e32 v10, v30, v34
	v_fmac_f32_e32 v12, v31, v34
	v_fma_f32 v7, -v23, v35, v7
	v_fmac_f32_e32 v11, v22, v35
	v_fma_f32 v10, -v31, v35, v10
	v_fmac_f32_e32 v12, v30, v35
	s_waitcnt vmcnt(6)
	v_fmac_f32_e32 v7, v16, v36
	v_fmac_f32_e32 v11, v17, v36
	v_fmac_f32_e32 v10, v24, v36
	v_fmac_f32_e32 v12, v25, v36
	v_fma_f32 v7, -v17, v37, v7
	v_fmac_f32_e32 v11, v16, v37
	v_fma_f32 v10, -v25, v37, v10
	v_fmac_f32_e32 v12, v24, v37
	v_fmac_f32_e32 v7, v18, v38
	v_fmac_f32_e32 v11, v19, v38
	v_fmac_f32_e32 v10, v26, v38
	v_fmac_f32_e32 v12, v27, v38
	v_fma_f32 v7, -v19, v39, v7
	v_fmac_f32_e32 v11, v18, v39
	v_fma_f32 v10, -v27, v39, v10
	v_fmac_f32_e32 v12, v26, v39
	s_waitcnt vmcnt(1)
	v_fmac_f32_e32 v7, v44, v56
	v_fmac_f32_e32 v11, v45, v56
	v_fmac_f32_e32 v10, v52, v56
	v_fmac_f32_e32 v12, v53, v56
	v_fma_f32 v7, -v45, v57, v7
	v_fmac_f32_e32 v11, v44, v57
	v_fma_f32 v10, -v53, v57, v10
	v_fmac_f32_e32 v12, v52, v57
	v_fmac_f32_e32 v7, v46, v58
	v_fmac_f32_e32 v11, v47, v58
	v_fmac_f32_e32 v10, v54, v58
	v_fmac_f32_e32 v12, v55, v58
	v_fma_f32 v7, -v47, v59, v7
	v_fmac_f32_e32 v11, v46, v59
	v_fma_f32 v10, -v55, v59, v10
	v_fmac_f32_e32 v12, v54, v59
	s_waitcnt vmcnt(0)
	v_fmac_f32_e32 v7, v40, v60
	v_fmac_f32_e32 v11, v41, v60
	v_fmac_f32_e32 v10, v48, v60
	v_fmac_f32_e32 v12, v49, v60
	v_fma_f32 v7, -v41, v61, v7
	v_fmac_f32_e32 v11, v40, v61
	v_fma_f32 v10, -v49, v61, v10
	v_fmac_f32_e32 v12, v48, v61
	v_fmac_f32_e32 v7, v42, v62
	v_fmac_f32_e32 v11, v43, v62
	v_fmac_f32_e32 v10, v50, v62
	v_fmac_f32_e32 v12, v51, v62
	v_fma_f32 v14, -v43, v63, v7
	v_fmac_f32_e32 v11, v42, v63
	v_fma_f32 v15, -v51, v63, v10
	v_fmac_f32_e32 v12, v50, v63
	s_andn2_b32 exec_lo, exec_lo, s0
	s_cbranch_execnz .LBB183_13
; %bb.14:
	s_or_b32 exec_lo, exec_lo, s0
.LBB183_15:
	s_or_b32 exec_lo, exec_lo, s1
.LBB183_16:
	v_mbcnt_lo_u32_b32 v6, -1, 0
	v_xor_b32_e32 v7, 4, v6
	v_xor_b32_e32 v13, 2, v6
	v_cmp_gt_i32_e32 vcc_lo, 32, v7
	v_cndmask_b32_e32 v7, v6, v7, vcc_lo
	v_cmp_gt_i32_e32 vcc_lo, 32, v13
	v_lshlrev_b32_e32 v7, 2, v7
	v_cndmask_b32_e32 v13, v6, v13, vcc_lo
	ds_bpermute_b32 v8, v7, v14
	ds_bpermute_b32 v9, v7, v11
	;; [unrolled: 1-line block ×4, first 2 shown]
	v_lshlrev_b32_e32 v13, 2, v13
	s_waitcnt lgkmcnt(3)
	v_add_f32_e32 v8, v14, v8
	s_waitcnt lgkmcnt(2)
	v_add_f32_e32 v9, v11, v9
	;; [unrolled: 2-line block ×4, first 2 shown]
	v_xor_b32_e32 v15, 1, v6
	ds_bpermute_b32 v11, v13, v8
	ds_bpermute_b32 v12, v13, v9
	ds_bpermute_b32 v14, v13, v10
	ds_bpermute_b32 v13, v13, v7
	v_cmp_gt_i32_e32 vcc_lo, 32, v15
	v_cndmask_b32_e32 v6, v6, v15, vcc_lo
	v_cmp_eq_u32_e32 vcc_lo, 7, v0
	v_lshlrev_b32_e32 v15, 2, v6
	s_waitcnt lgkmcnt(3)
	v_add_f32_e32 v8, v8, v11
	s_waitcnt lgkmcnt(2)
	v_add_f32_e32 v9, v9, v12
	;; [unrolled: 2-line block ×4, first 2 shown]
	ds_bpermute_b32 v12, v15, v8
	ds_bpermute_b32 v13, v15, v9
	;; [unrolled: 1-line block ×4, first 2 shown]
	s_and_b32 exec_lo, exec_lo, vcc_lo
	s_cbranch_execz .LBB183_21
; %bb.17:
	s_load_dwordx2 s[2:3], s[4:5], 0x38
	v_cmp_eq_f32_e32 vcc_lo, 0, v3
	v_cmp_eq_f32_e64 s0, 0, v4
	s_waitcnt lgkmcnt(0)
	v_add_f32_e32 v0, v8, v12
	v_add_f32_e32 v8, v9, v13
	;; [unrolled: 1-line block ×4, first 2 shown]
	s_and_b32 s0, vcc_lo, s0
	s_and_saveexec_b32 s1, s0
	s_xor_b32 s0, exec_lo, s1
	s_cbranch_execz .LBB183_19
; %bb.18:
	v_lshlrev_b32_e32 v3, 1, v5
	v_mul_f32_e64 v9, v8, -v2
	v_mul_f32_e32 v10, v1, v8
	v_mul_f32_e64 v11, v7, -v2
	v_mul_f32_e32 v12, v1, v7
	v_ashrrev_i32_e32 v4, 31, v3
	v_fmac_f32_e32 v9, v1, v0
	v_fmac_f32_e32 v10, v2, v0
	;; [unrolled: 1-line block ×4, first 2 shown]
	v_lshlrev_b64 v[3:4], 3, v[3:4]
                                        ; implicit-def: $vgpr5
                                        ; implicit-def: $vgpr8
                                        ; implicit-def: $vgpr7
                                        ; implicit-def: $vgpr6
	v_add_co_u32 v0, vcc_lo, s2, v3
	v_add_co_ci_u32_e64 v1, null, s3, v4, vcc_lo
                                        ; implicit-def: $vgpr3_vgpr4
	global_store_dwordx4 v[0:1], v[9:12], off
                                        ; implicit-def: $vgpr1_vgpr2
                                        ; implicit-def: $vgpr0
.LBB183_19:
	s_andn2_saveexec_b32 s0, s0
	s_cbranch_execz .LBB183_21
; %bb.20:
	v_lshlrev_b32_e32 v9, 1, v5
	v_mul_f32_e64 v5, v8, -v2
	v_mul_f32_e32 v14, v1, v8
	v_mul_f32_e64 v8, v7, -v2
	v_mul_f32_e32 v16, v1, v7
	v_ashrrev_i32_e32 v10, 31, v9
	v_fmac_f32_e32 v5, v1, v0
	v_fmac_f32_e32 v14, v2, v0
	v_fmac_f32_e32 v8, v1, v6
	v_fmac_f32_e32 v16, v2, v6
	v_lshlrev_b64 v[9:10], 3, v[9:10]
	v_add_co_u32 v17, vcc_lo, s2, v9
	v_add_co_ci_u32_e64 v18, null, s3, v10, vcc_lo
	global_load_dwordx4 v[9:12], v[17:18], off
	s_waitcnt vmcnt(0)
	v_fmac_f32_e32 v5, v3, v9
	v_fmac_f32_e32 v14, v4, v9
	v_fmac_f32_e32 v8, v3, v11
	v_fmac_f32_e32 v16, v4, v11
	v_fma_f32 v13, -v4, v10, v5
	v_fmac_f32_e32 v14, v3, v10
	v_fma_f32 v15, -v4, v12, v8
	v_fmac_f32_e32 v16, v3, v12
	global_store_dwordx4 v[17:18], v[13:16], off
.LBB183_21:
	s_endpgm
	.section	.rodata,"a",@progbits
	.p2align	6, 0x0
	.amdhsa_kernel _ZN9rocsparseL19gebsrmvn_2xn_kernelILj128ELj8ELj8E21rocsparse_complex_numIfEEEvi20rocsparse_direction_NS_24const_host_device_scalarIT2_EEPKiS8_PKS5_SA_S6_PS5_21rocsparse_index_base_b
		.amdhsa_group_segment_fixed_size 0
		.amdhsa_private_segment_fixed_size 0
		.amdhsa_kernarg_size 72
		.amdhsa_user_sgpr_count 6
		.amdhsa_user_sgpr_private_segment_buffer 1
		.amdhsa_user_sgpr_dispatch_ptr 0
		.amdhsa_user_sgpr_queue_ptr 0
		.amdhsa_user_sgpr_kernarg_segment_ptr 1
		.amdhsa_user_sgpr_dispatch_id 0
		.amdhsa_user_sgpr_flat_scratch_init 0
		.amdhsa_user_sgpr_private_segment_size 0
		.amdhsa_wavefront_size32 1
		.amdhsa_uses_dynamic_stack 0
		.amdhsa_system_sgpr_private_segment_wavefront_offset 0
		.amdhsa_system_sgpr_workgroup_id_x 1
		.amdhsa_system_sgpr_workgroup_id_y 0
		.amdhsa_system_sgpr_workgroup_id_z 0
		.amdhsa_system_sgpr_workgroup_info 0
		.amdhsa_system_vgpr_workitem_id 0
		.amdhsa_next_free_vgpr 64
		.amdhsa_next_free_sgpr 16
		.amdhsa_reserve_vcc 1
		.amdhsa_reserve_flat_scratch 0
		.amdhsa_float_round_mode_32 0
		.amdhsa_float_round_mode_16_64 0
		.amdhsa_float_denorm_mode_32 3
		.amdhsa_float_denorm_mode_16_64 3
		.amdhsa_dx10_clamp 1
		.amdhsa_ieee_mode 1
		.amdhsa_fp16_overflow 0
		.amdhsa_workgroup_processor_mode 1
		.amdhsa_memory_ordered 1
		.amdhsa_forward_progress 1
		.amdhsa_shared_vgpr_count 0
		.amdhsa_exception_fp_ieee_invalid_op 0
		.amdhsa_exception_fp_denorm_src 0
		.amdhsa_exception_fp_ieee_div_zero 0
		.amdhsa_exception_fp_ieee_overflow 0
		.amdhsa_exception_fp_ieee_underflow 0
		.amdhsa_exception_fp_ieee_inexact 0
		.amdhsa_exception_int_div_zero 0
	.end_amdhsa_kernel
	.section	.text._ZN9rocsparseL19gebsrmvn_2xn_kernelILj128ELj8ELj8E21rocsparse_complex_numIfEEEvi20rocsparse_direction_NS_24const_host_device_scalarIT2_EEPKiS8_PKS5_SA_S6_PS5_21rocsparse_index_base_b,"axG",@progbits,_ZN9rocsparseL19gebsrmvn_2xn_kernelILj128ELj8ELj8E21rocsparse_complex_numIfEEEvi20rocsparse_direction_NS_24const_host_device_scalarIT2_EEPKiS8_PKS5_SA_S6_PS5_21rocsparse_index_base_b,comdat
.Lfunc_end183:
	.size	_ZN9rocsparseL19gebsrmvn_2xn_kernelILj128ELj8ELj8E21rocsparse_complex_numIfEEEvi20rocsparse_direction_NS_24const_host_device_scalarIT2_EEPKiS8_PKS5_SA_S6_PS5_21rocsparse_index_base_b, .Lfunc_end183-_ZN9rocsparseL19gebsrmvn_2xn_kernelILj128ELj8ELj8E21rocsparse_complex_numIfEEEvi20rocsparse_direction_NS_24const_host_device_scalarIT2_EEPKiS8_PKS5_SA_S6_PS5_21rocsparse_index_base_b
                                        ; -- End function
	.set _ZN9rocsparseL19gebsrmvn_2xn_kernelILj128ELj8ELj8E21rocsparse_complex_numIfEEEvi20rocsparse_direction_NS_24const_host_device_scalarIT2_EEPKiS8_PKS5_SA_S6_PS5_21rocsparse_index_base_b.num_vgpr, 64
	.set _ZN9rocsparseL19gebsrmvn_2xn_kernelILj128ELj8ELj8E21rocsparse_complex_numIfEEEvi20rocsparse_direction_NS_24const_host_device_scalarIT2_EEPKiS8_PKS5_SA_S6_PS5_21rocsparse_index_base_b.num_agpr, 0
	.set _ZN9rocsparseL19gebsrmvn_2xn_kernelILj128ELj8ELj8E21rocsparse_complex_numIfEEEvi20rocsparse_direction_NS_24const_host_device_scalarIT2_EEPKiS8_PKS5_SA_S6_PS5_21rocsparse_index_base_b.numbered_sgpr, 16
	.set _ZN9rocsparseL19gebsrmvn_2xn_kernelILj128ELj8ELj8E21rocsparse_complex_numIfEEEvi20rocsparse_direction_NS_24const_host_device_scalarIT2_EEPKiS8_PKS5_SA_S6_PS5_21rocsparse_index_base_b.num_named_barrier, 0
	.set _ZN9rocsparseL19gebsrmvn_2xn_kernelILj128ELj8ELj8E21rocsparse_complex_numIfEEEvi20rocsparse_direction_NS_24const_host_device_scalarIT2_EEPKiS8_PKS5_SA_S6_PS5_21rocsparse_index_base_b.private_seg_size, 0
	.set _ZN9rocsparseL19gebsrmvn_2xn_kernelILj128ELj8ELj8E21rocsparse_complex_numIfEEEvi20rocsparse_direction_NS_24const_host_device_scalarIT2_EEPKiS8_PKS5_SA_S6_PS5_21rocsparse_index_base_b.uses_vcc, 1
	.set _ZN9rocsparseL19gebsrmvn_2xn_kernelILj128ELj8ELj8E21rocsparse_complex_numIfEEEvi20rocsparse_direction_NS_24const_host_device_scalarIT2_EEPKiS8_PKS5_SA_S6_PS5_21rocsparse_index_base_b.uses_flat_scratch, 0
	.set _ZN9rocsparseL19gebsrmvn_2xn_kernelILj128ELj8ELj8E21rocsparse_complex_numIfEEEvi20rocsparse_direction_NS_24const_host_device_scalarIT2_EEPKiS8_PKS5_SA_S6_PS5_21rocsparse_index_base_b.has_dyn_sized_stack, 0
	.set _ZN9rocsparseL19gebsrmvn_2xn_kernelILj128ELj8ELj8E21rocsparse_complex_numIfEEEvi20rocsparse_direction_NS_24const_host_device_scalarIT2_EEPKiS8_PKS5_SA_S6_PS5_21rocsparse_index_base_b.has_recursion, 0
	.set _ZN9rocsparseL19gebsrmvn_2xn_kernelILj128ELj8ELj8E21rocsparse_complex_numIfEEEvi20rocsparse_direction_NS_24const_host_device_scalarIT2_EEPKiS8_PKS5_SA_S6_PS5_21rocsparse_index_base_b.has_indirect_call, 0
	.section	.AMDGPU.csdata,"",@progbits
; Kernel info:
; codeLenInByte = 2088
; TotalNumSgprs: 18
; NumVgprs: 64
; ScratchSize: 0
; MemoryBound: 0
; FloatMode: 240
; IeeeMode: 1
; LDSByteSize: 0 bytes/workgroup (compile time only)
; SGPRBlocks: 0
; VGPRBlocks: 7
; NumSGPRsForWavesPerEU: 18
; NumVGPRsForWavesPerEU: 64
; Occupancy: 16
; WaveLimiterHint : 1
; COMPUTE_PGM_RSRC2:SCRATCH_EN: 0
; COMPUTE_PGM_RSRC2:USER_SGPR: 6
; COMPUTE_PGM_RSRC2:TRAP_HANDLER: 0
; COMPUTE_PGM_RSRC2:TGID_X_EN: 1
; COMPUTE_PGM_RSRC2:TGID_Y_EN: 0
; COMPUTE_PGM_RSRC2:TGID_Z_EN: 0
; COMPUTE_PGM_RSRC2:TIDIG_COMP_CNT: 0
	.section	.text._ZN9rocsparseL19gebsrmvn_2xn_kernelILj128ELj8ELj16E21rocsparse_complex_numIfEEEvi20rocsparse_direction_NS_24const_host_device_scalarIT2_EEPKiS8_PKS5_SA_S6_PS5_21rocsparse_index_base_b,"axG",@progbits,_ZN9rocsparseL19gebsrmvn_2xn_kernelILj128ELj8ELj16E21rocsparse_complex_numIfEEEvi20rocsparse_direction_NS_24const_host_device_scalarIT2_EEPKiS8_PKS5_SA_S6_PS5_21rocsparse_index_base_b,comdat
	.globl	_ZN9rocsparseL19gebsrmvn_2xn_kernelILj128ELj8ELj16E21rocsparse_complex_numIfEEEvi20rocsparse_direction_NS_24const_host_device_scalarIT2_EEPKiS8_PKS5_SA_S6_PS5_21rocsparse_index_base_b ; -- Begin function _ZN9rocsparseL19gebsrmvn_2xn_kernelILj128ELj8ELj16E21rocsparse_complex_numIfEEEvi20rocsparse_direction_NS_24const_host_device_scalarIT2_EEPKiS8_PKS5_SA_S6_PS5_21rocsparse_index_base_b
	.p2align	8
	.type	_ZN9rocsparseL19gebsrmvn_2xn_kernelILj128ELj8ELj16E21rocsparse_complex_numIfEEEvi20rocsparse_direction_NS_24const_host_device_scalarIT2_EEPKiS8_PKS5_SA_S6_PS5_21rocsparse_index_base_b,@function
_ZN9rocsparseL19gebsrmvn_2xn_kernelILj128ELj8ELj16E21rocsparse_complex_numIfEEEvi20rocsparse_direction_NS_24const_host_device_scalarIT2_EEPKiS8_PKS5_SA_S6_PS5_21rocsparse_index_base_b: ; @_ZN9rocsparseL19gebsrmvn_2xn_kernelILj128ELj8ELj16E21rocsparse_complex_numIfEEEvi20rocsparse_direction_NS_24const_host_device_scalarIT2_EEPKiS8_PKS5_SA_S6_PS5_21rocsparse_index_base_b
; %bb.0:
	s_clause 0x2
	s_load_dwordx2 s[2:3], s[4:5], 0x40
	s_load_dwordx2 s[0:1], s[4:5], 0x8
	;; [unrolled: 1-line block ×3, first 2 shown]
	s_add_u32 s7, s4, 8
	s_addc_u32 s10, s5, 0
	s_add_u32 s11, s4, 48
	s_addc_u32 s12, s5, 0
	s_waitcnt lgkmcnt(0)
	s_bitcmp1_b32 s3, 0
	s_cselect_b32 s0, s7, s0
	s_cselect_b32 s1, s10, s1
	v_mov_b32_e32 v1, s0
	v_mov_b32_e32 v2, s1
	s_cselect_b32 s0, s11, s8
	s_cselect_b32 s1, s12, s9
	v_mov_b32_e32 v3, s0
	v_mov_b32_e32 v4, s1
	flat_load_dwordx2 v[1:2], v[1:2]
	flat_load_dwordx2 v[3:4], v[3:4]
	s_waitcnt vmcnt(1) lgkmcnt(1)
	v_cmp_eq_f32_e32 vcc_lo, 0, v1
	v_cmp_eq_f32_e64 s0, 0, v2
	s_and_b32 s3, vcc_lo, s0
	s_mov_b32 s0, -1
	s_and_saveexec_b32 s1, s3
	s_cbranch_execz .LBB184_2
; %bb.1:
	s_waitcnt vmcnt(0) lgkmcnt(0)
	v_cmp_neq_f32_e32 vcc_lo, 1.0, v3
	v_cmp_neq_f32_e64 s0, 0, v4
	s_or_b32 s0, vcc_lo, s0
	s_orn2_b32 s0, s0, exec_lo
.LBB184_2:
	s_or_b32 exec_lo, exec_lo, s1
	s_and_saveexec_b32 s1, s0
	s_cbranch_execz .LBB184_21
; %bb.3:
	s_load_dwordx2 s[0:1], s[4:5], 0x0
	v_lshrrev_b32_e32 v5, 4, v0
	v_lshl_or_b32 v5, s6, 3, v5
	s_waitcnt lgkmcnt(0)
	v_cmp_gt_i32_e32 vcc_lo, s0, v5
	s_and_b32 exec_lo, exec_lo, vcc_lo
	s_cbranch_execz .LBB184_21
; %bb.4:
	s_load_dwordx8 s[8:15], s[4:5], 0x10
	v_ashrrev_i32_e32 v6, 31, v5
	v_and_b32_e32 v0, 15, v0
	s_cmp_lg_u32 s1, 0
	v_lshlrev_b64 v[6:7], 2, v[5:6]
	s_waitcnt lgkmcnt(0)
	v_add_co_u32 v6, vcc_lo, s8, v6
	v_add_co_ci_u32_e64 v7, null, s9, v7, vcc_lo
	global_load_dwordx2 v[6:7], v[6:7], off
	s_waitcnt vmcnt(0)
	v_subrev_nc_u32_e32 v6, s2, v6
	v_subrev_nc_u32_e32 v13, s2, v7
	v_add_nc_u32_e32 v6, v6, v0
	v_cmp_lt_i32_e64 s0, v6, v13
	s_cbranch_scc0 .LBB184_10
; %bb.5:
	v_mov_b32_e32 v11, 0
	v_mov_b32_e32 v14, 0
	;; [unrolled: 1-line block ×4, first 2 shown]
	s_and_saveexec_b32 s1, s0
	s_cbranch_execz .LBB184_9
; %bb.6:
	v_mov_b32_e32 v8, 0
	v_lshlrev_b32_e32 v7, 4, v6
	v_mov_b32_e32 v9, v6
	s_mov_b32 s3, 0
	v_mov_b32_e32 v11, v8
	v_mov_b32_e32 v14, v8
	;; [unrolled: 1-line block ×4, first 2 shown]
.LBB184_7:                              ; =>This Inner Loop Header: Depth=1
	v_ashrrev_i32_e32 v10, 31, v9
	v_mov_b32_e32 v21, v8
	v_lshlrev_b64 v[16:17], 2, v[9:10]
	v_add_nc_u32_e32 v9, 16, v9
	v_add_co_u32 v16, vcc_lo, s10, v16
	v_add_co_ci_u32_e64 v17, null, s11, v17, vcc_lo
	global_load_dword v10, v[16:17], off
	v_lshlrev_b64 v[16:17], 3, v[7:8]
	v_add_nc_u32_e32 v7, 0x100, v7
	v_add_co_u32 v60, vcc_lo, s12, v16
	v_add_co_ci_u32_e64 v61, null, s13, v17, vcc_lo
	global_load_dwordx4 v[16:19], v[60:61], off offset:16
	s_waitcnt vmcnt(1)
	v_subrev_nc_u32_e32 v10, s2, v10
	v_lshlrev_b32_e32 v20, 3, v10
	v_lshlrev_b64 v[20:21], 3, v[20:21]
	v_add_co_u32 v52, vcc_lo, s14, v20
	v_add_co_ci_u32_e64 v53, null, s15, v21, vcc_lo
	v_cmp_ge_i32_e32 vcc_lo, v9, v13
	global_load_dwordx4 v[20:23], v[60:61], off
	s_clause 0x1
	global_load_dwordx4 v[24:27], v[52:53], off
	global_load_dwordx4 v[28:31], v[52:53], off offset:16
	s_clause 0x3
	global_load_dwordx4 v[32:35], v[60:61], off offset:32
	global_load_dwordx4 v[36:39], v[60:61], off offset:48
	;; [unrolled: 1-line block ×4, first 2 shown]
	s_clause 0x1
	global_load_dwordx4 v[48:51], v[52:53], off offset:32
	global_load_dwordx4 v[52:55], v[52:53], off offset:48
	s_clause 0x1
	global_load_dwordx4 v[56:59], v[60:61], off offset:96
	global_load_dwordx4 v[60:63], v[60:61], off offset:112
	s_or_b32 s3, vcc_lo, s3
	s_waitcnt vmcnt(9)
	v_fmac_f32_e32 v14, v20, v24
	v_fmac_f32_e32 v11, v21, v24
	;; [unrolled: 1-line block ×4, first 2 shown]
	v_fma_f32 v10, -v21, v25, v14
	v_fmac_f32_e32 v11, v20, v25
	v_fma_f32 v14, -v23, v25, v15
	v_fmac_f32_e32 v12, v22, v25
	v_fmac_f32_e32 v10, v16, v26
	;; [unrolled: 1-line block ×5, first 2 shown]
	v_fma_f32 v10, -v17, v27, v10
	v_fmac_f32_e32 v11, v16, v27
	v_fma_f32 v14, -v19, v27, v14
	v_fmac_f32_e32 v12, v18, v27
	s_waitcnt vmcnt(7)
	v_fmac_f32_e32 v10, v32, v28
	v_fmac_f32_e32 v11, v33, v28
	v_fmac_f32_e32 v14, v34, v28
	v_fmac_f32_e32 v12, v35, v28
	v_fma_f32 v10, -v33, v29, v10
	v_fmac_f32_e32 v11, v32, v29
	v_fma_f32 v14, -v35, v29, v14
	v_fmac_f32_e32 v12, v34, v29
	s_waitcnt vmcnt(6)
	v_fmac_f32_e32 v10, v36, v30
	v_fmac_f32_e32 v11, v37, v30
	v_fmac_f32_e32 v14, v38, v30
	v_fmac_f32_e32 v12, v39, v30
	;; [unrolled: 9-line block ×3, first 2 shown]
	v_fma_f32 v10, -v45, v49, v10
	v_fmac_f32_e32 v11, v44, v49
	v_fma_f32 v14, -v47, v49, v14
	v_fmac_f32_e32 v12, v46, v49
	v_fmac_f32_e32 v10, v40, v50
	;; [unrolled: 1-line block ×5, first 2 shown]
	v_fma_f32 v10, -v41, v51, v10
	v_fmac_f32_e32 v11, v40, v51
	v_fma_f32 v14, -v43, v51, v14
	v_fmac_f32_e32 v12, v42, v51
	s_waitcnt vmcnt(1)
	v_fmac_f32_e32 v10, v56, v52
	v_fmac_f32_e32 v11, v57, v52
	;; [unrolled: 1-line block ×4, first 2 shown]
	v_fma_f32 v10, -v57, v53, v10
	v_fmac_f32_e32 v11, v56, v53
	v_fma_f32 v15, -v59, v53, v14
	v_fmac_f32_e32 v12, v58, v53
	s_waitcnt vmcnt(0)
	v_fmac_f32_e32 v10, v60, v54
	v_fmac_f32_e32 v11, v61, v54
	;; [unrolled: 1-line block ×4, first 2 shown]
	v_fma_f32 v14, -v61, v55, v10
	v_fmac_f32_e32 v11, v60, v55
	v_fma_f32 v15, -v63, v55, v15
	v_fmac_f32_e32 v12, v62, v55
	s_andn2_b32 exec_lo, exec_lo, s3
	s_cbranch_execnz .LBB184_7
; %bb.8:
	s_or_b32 exec_lo, exec_lo, s3
.LBB184_9:
	s_or_b32 exec_lo, exec_lo, s1
	s_cbranch_execz .LBB184_11
	s_branch .LBB184_16
.LBB184_10:
                                        ; implicit-def: $vgpr11
                                        ; implicit-def: $vgpr14
                                        ; implicit-def: $vgpr15
                                        ; implicit-def: $vgpr12
.LBB184_11:
	v_mov_b32_e32 v11, 0
	v_mov_b32_e32 v14, 0
	;; [unrolled: 1-line block ×4, first 2 shown]
	s_and_saveexec_b32 s1, s0
	s_cbranch_execz .LBB184_15
; %bb.12:
	v_mov_b32_e32 v9, 0
	v_lshlrev_b32_e32 v8, 4, v6
	s_mov_b32 s0, 0
	v_mov_b32_e32 v11, v9
	v_mov_b32_e32 v14, v9
	;; [unrolled: 1-line block ×4, first 2 shown]
.LBB184_13:                             ; =>This Inner Loop Header: Depth=1
	v_ashrrev_i32_e32 v7, 31, v6
	v_mov_b32_e32 v29, v9
	v_lshlrev_b64 v[16:17], 2, v[6:7]
	v_add_nc_u32_e32 v6, 16, v6
	v_add_co_u32 v16, vcc_lo, s10, v16
	v_add_co_ci_u32_e64 v17, null, s11, v17, vcc_lo
	global_load_dword v7, v[16:17], off
	v_lshlrev_b64 v[16:17], 3, v[8:9]
	v_add_nc_u32_e32 v8, 0x100, v8
	v_add_co_u32 v52, vcc_lo, s12, v16
	v_add_co_ci_u32_e64 v53, null, s13, v17, vcc_lo
	s_clause 0x2
	global_load_dwordx4 v[16:19], v[52:53], off offset:16
	global_load_dwordx4 v[20:23], v[52:53], off
	global_load_dwordx4 v[24:27], v[52:53], off offset:80
	s_waitcnt vmcnt(3)
	v_subrev_nc_u32_e32 v7, s2, v7
	v_lshlrev_b32_e32 v28, 3, v7
	v_lshlrev_b64 v[28:29], 3, v[28:29]
	v_add_co_u32 v60, vcc_lo, s14, v28
	v_add_co_ci_u32_e64 v61, null, s15, v29, vcc_lo
	v_cmp_ge_i32_e32 vcc_lo, v6, v13
	global_load_dwordx4 v[28:31], v[52:53], off offset:64
	s_clause 0x1
	global_load_dwordx4 v[32:35], v[60:61], off
	global_load_dwordx4 v[36:39], v[60:61], off offset:16
	s_clause 0x3
	global_load_dwordx4 v[40:43], v[52:53], off offset:48
	global_load_dwordx4 v[44:47], v[52:53], off offset:32
	;; [unrolled: 1-line block ×4, first 2 shown]
	s_clause 0x1
	global_load_dwordx4 v[56:59], v[60:61], off offset:32
	global_load_dwordx4 v[60:63], v[60:61], off offset:48
	s_or_b32 s0, vcc_lo, s0
	s_waitcnt vmcnt(7)
	v_fmac_f32_e32 v14, v20, v32
	v_fmac_f32_e32 v11, v21, v32
	v_fmac_f32_e32 v15, v28, v32
	v_fmac_f32_e32 v12, v29, v32
	v_fma_f32 v7, -v21, v33, v14
	v_fmac_f32_e32 v11, v20, v33
	v_fma_f32 v10, -v29, v33, v15
	v_fmac_f32_e32 v12, v28, v33
	v_fmac_f32_e32 v7, v22, v34
	v_fmac_f32_e32 v11, v23, v34
	v_fmac_f32_e32 v10, v30, v34
	v_fmac_f32_e32 v12, v31, v34
	v_fma_f32 v7, -v23, v35, v7
	v_fmac_f32_e32 v11, v22, v35
	v_fma_f32 v10, -v31, v35, v10
	v_fmac_f32_e32 v12, v30, v35
	s_waitcnt vmcnt(6)
	v_fmac_f32_e32 v7, v16, v36
	v_fmac_f32_e32 v11, v17, v36
	v_fmac_f32_e32 v10, v24, v36
	v_fmac_f32_e32 v12, v25, v36
	v_fma_f32 v7, -v17, v37, v7
	v_fmac_f32_e32 v11, v16, v37
	v_fma_f32 v10, -v25, v37, v10
	v_fmac_f32_e32 v12, v24, v37
	v_fmac_f32_e32 v7, v18, v38
	v_fmac_f32_e32 v11, v19, v38
	v_fmac_f32_e32 v10, v26, v38
	v_fmac_f32_e32 v12, v27, v38
	v_fma_f32 v7, -v19, v39, v7
	v_fmac_f32_e32 v11, v18, v39
	v_fma_f32 v10, -v27, v39, v10
	v_fmac_f32_e32 v12, v26, v39
	;; [unrolled: 17-line block ×4, first 2 shown]
	s_andn2_b32 exec_lo, exec_lo, s0
	s_cbranch_execnz .LBB184_13
; %bb.14:
	s_or_b32 exec_lo, exec_lo, s0
.LBB184_15:
	s_or_b32 exec_lo, exec_lo, s1
.LBB184_16:
	v_mbcnt_lo_u32_b32 v6, -1, 0
	v_xor_b32_e32 v7, 8, v6
	v_xor_b32_e32 v13, 4, v6
	v_cmp_gt_i32_e32 vcc_lo, 32, v7
	v_cndmask_b32_e32 v7, v6, v7, vcc_lo
	v_cmp_gt_i32_e32 vcc_lo, 32, v13
	v_lshlrev_b32_e32 v7, 2, v7
	v_cndmask_b32_e32 v13, v6, v13, vcc_lo
	ds_bpermute_b32 v8, v7, v14
	ds_bpermute_b32 v9, v7, v11
	;; [unrolled: 1-line block ×4, first 2 shown]
	v_lshlrev_b32_e32 v13, 2, v13
	s_waitcnt lgkmcnt(3)
	v_add_f32_e32 v8, v14, v8
	s_waitcnt lgkmcnt(2)
	v_add_f32_e32 v9, v11, v9
	;; [unrolled: 2-line block ×4, first 2 shown]
	v_xor_b32_e32 v15, 2, v6
	ds_bpermute_b32 v11, v13, v8
	ds_bpermute_b32 v12, v13, v9
	;; [unrolled: 1-line block ×4, first 2 shown]
	v_cmp_gt_i32_e32 vcc_lo, 32, v15
	v_cndmask_b32_e32 v15, v6, v15, vcc_lo
	v_lshlrev_b32_e32 v15, 2, v15
	s_waitcnt lgkmcnt(3)
	v_add_f32_e32 v8, v8, v11
	s_waitcnt lgkmcnt(2)
	v_add_f32_e32 v9, v9, v12
	;; [unrolled: 2-line block ×4, first 2 shown]
	ds_bpermute_b32 v11, v15, v8
	ds_bpermute_b32 v12, v15, v9
	;; [unrolled: 1-line block ×4, first 2 shown]
	v_xor_b32_e32 v15, 1, v6
	v_cmp_gt_i32_e32 vcc_lo, 32, v15
	v_cndmask_b32_e32 v6, v6, v15, vcc_lo
	v_cmp_eq_u32_e32 vcc_lo, 15, v0
	v_lshlrev_b32_e32 v15, 2, v6
	s_waitcnt lgkmcnt(3)
	v_add_f32_e32 v8, v8, v11
	s_waitcnt lgkmcnt(2)
	v_add_f32_e32 v9, v9, v12
	;; [unrolled: 2-line block ×4, first 2 shown]
	ds_bpermute_b32 v12, v15, v8
	ds_bpermute_b32 v13, v15, v9
	;; [unrolled: 1-line block ×4, first 2 shown]
	s_and_b32 exec_lo, exec_lo, vcc_lo
	s_cbranch_execz .LBB184_21
; %bb.17:
	s_load_dwordx2 s[2:3], s[4:5], 0x38
	v_cmp_eq_f32_e32 vcc_lo, 0, v3
	v_cmp_eq_f32_e64 s0, 0, v4
	s_waitcnt lgkmcnt(0)
	v_add_f32_e32 v0, v8, v12
	v_add_f32_e32 v8, v9, v13
	;; [unrolled: 1-line block ×4, first 2 shown]
	s_and_b32 s0, vcc_lo, s0
	s_and_saveexec_b32 s1, s0
	s_xor_b32 s0, exec_lo, s1
	s_cbranch_execz .LBB184_19
; %bb.18:
	v_lshlrev_b32_e32 v3, 1, v5
	v_mul_f32_e64 v9, v8, -v2
	v_mul_f32_e32 v10, v1, v8
	v_mul_f32_e64 v11, v7, -v2
	v_mul_f32_e32 v12, v1, v7
	v_ashrrev_i32_e32 v4, 31, v3
	v_fmac_f32_e32 v9, v1, v0
	v_fmac_f32_e32 v10, v2, v0
	;; [unrolled: 1-line block ×4, first 2 shown]
	v_lshlrev_b64 v[3:4], 3, v[3:4]
                                        ; implicit-def: $vgpr5
                                        ; implicit-def: $vgpr8
                                        ; implicit-def: $vgpr7
                                        ; implicit-def: $vgpr6
	v_add_co_u32 v0, vcc_lo, s2, v3
	v_add_co_ci_u32_e64 v1, null, s3, v4, vcc_lo
                                        ; implicit-def: $vgpr3_vgpr4
	global_store_dwordx4 v[0:1], v[9:12], off
                                        ; implicit-def: $vgpr1_vgpr2
                                        ; implicit-def: $vgpr0
.LBB184_19:
	s_andn2_saveexec_b32 s0, s0
	s_cbranch_execz .LBB184_21
; %bb.20:
	v_lshlrev_b32_e32 v9, 1, v5
	v_mul_f32_e64 v5, v8, -v2
	v_mul_f32_e32 v14, v1, v8
	v_mul_f32_e64 v8, v7, -v2
	v_mul_f32_e32 v16, v1, v7
	v_ashrrev_i32_e32 v10, 31, v9
	v_fmac_f32_e32 v5, v1, v0
	v_fmac_f32_e32 v14, v2, v0
	;; [unrolled: 1-line block ×4, first 2 shown]
	v_lshlrev_b64 v[9:10], 3, v[9:10]
	v_add_co_u32 v17, vcc_lo, s2, v9
	v_add_co_ci_u32_e64 v18, null, s3, v10, vcc_lo
	global_load_dwordx4 v[9:12], v[17:18], off
	s_waitcnt vmcnt(0)
	v_fmac_f32_e32 v5, v3, v9
	v_fmac_f32_e32 v14, v4, v9
	;; [unrolled: 1-line block ×4, first 2 shown]
	v_fma_f32 v13, -v4, v10, v5
	v_fmac_f32_e32 v14, v3, v10
	v_fma_f32 v15, -v4, v12, v8
	v_fmac_f32_e32 v16, v3, v12
	global_store_dwordx4 v[17:18], v[13:16], off
.LBB184_21:
	s_endpgm
	.section	.rodata,"a",@progbits
	.p2align	6, 0x0
	.amdhsa_kernel _ZN9rocsparseL19gebsrmvn_2xn_kernelILj128ELj8ELj16E21rocsparse_complex_numIfEEEvi20rocsparse_direction_NS_24const_host_device_scalarIT2_EEPKiS8_PKS5_SA_S6_PS5_21rocsparse_index_base_b
		.amdhsa_group_segment_fixed_size 0
		.amdhsa_private_segment_fixed_size 0
		.amdhsa_kernarg_size 72
		.amdhsa_user_sgpr_count 6
		.amdhsa_user_sgpr_private_segment_buffer 1
		.amdhsa_user_sgpr_dispatch_ptr 0
		.amdhsa_user_sgpr_queue_ptr 0
		.amdhsa_user_sgpr_kernarg_segment_ptr 1
		.amdhsa_user_sgpr_dispatch_id 0
		.amdhsa_user_sgpr_flat_scratch_init 0
		.amdhsa_user_sgpr_private_segment_size 0
		.amdhsa_wavefront_size32 1
		.amdhsa_uses_dynamic_stack 0
		.amdhsa_system_sgpr_private_segment_wavefront_offset 0
		.amdhsa_system_sgpr_workgroup_id_x 1
		.amdhsa_system_sgpr_workgroup_id_y 0
		.amdhsa_system_sgpr_workgroup_id_z 0
		.amdhsa_system_sgpr_workgroup_info 0
		.amdhsa_system_vgpr_workitem_id 0
		.amdhsa_next_free_vgpr 64
		.amdhsa_next_free_sgpr 16
		.amdhsa_reserve_vcc 1
		.amdhsa_reserve_flat_scratch 0
		.amdhsa_float_round_mode_32 0
		.amdhsa_float_round_mode_16_64 0
		.amdhsa_float_denorm_mode_32 3
		.amdhsa_float_denorm_mode_16_64 3
		.amdhsa_dx10_clamp 1
		.amdhsa_ieee_mode 1
		.amdhsa_fp16_overflow 0
		.amdhsa_workgroup_processor_mode 1
		.amdhsa_memory_ordered 1
		.amdhsa_forward_progress 1
		.amdhsa_shared_vgpr_count 0
		.amdhsa_exception_fp_ieee_invalid_op 0
		.amdhsa_exception_fp_denorm_src 0
		.amdhsa_exception_fp_ieee_div_zero 0
		.amdhsa_exception_fp_ieee_overflow 0
		.amdhsa_exception_fp_ieee_underflow 0
		.amdhsa_exception_fp_ieee_inexact 0
		.amdhsa_exception_int_div_zero 0
	.end_amdhsa_kernel
	.section	.text._ZN9rocsparseL19gebsrmvn_2xn_kernelILj128ELj8ELj16E21rocsparse_complex_numIfEEEvi20rocsparse_direction_NS_24const_host_device_scalarIT2_EEPKiS8_PKS5_SA_S6_PS5_21rocsparse_index_base_b,"axG",@progbits,_ZN9rocsparseL19gebsrmvn_2xn_kernelILj128ELj8ELj16E21rocsparse_complex_numIfEEEvi20rocsparse_direction_NS_24const_host_device_scalarIT2_EEPKiS8_PKS5_SA_S6_PS5_21rocsparse_index_base_b,comdat
.Lfunc_end184:
	.size	_ZN9rocsparseL19gebsrmvn_2xn_kernelILj128ELj8ELj16E21rocsparse_complex_numIfEEEvi20rocsparse_direction_NS_24const_host_device_scalarIT2_EEPKiS8_PKS5_SA_S6_PS5_21rocsparse_index_base_b, .Lfunc_end184-_ZN9rocsparseL19gebsrmvn_2xn_kernelILj128ELj8ELj16E21rocsparse_complex_numIfEEEvi20rocsparse_direction_NS_24const_host_device_scalarIT2_EEPKiS8_PKS5_SA_S6_PS5_21rocsparse_index_base_b
                                        ; -- End function
	.set _ZN9rocsparseL19gebsrmvn_2xn_kernelILj128ELj8ELj16E21rocsparse_complex_numIfEEEvi20rocsparse_direction_NS_24const_host_device_scalarIT2_EEPKiS8_PKS5_SA_S6_PS5_21rocsparse_index_base_b.num_vgpr, 64
	.set _ZN9rocsparseL19gebsrmvn_2xn_kernelILj128ELj8ELj16E21rocsparse_complex_numIfEEEvi20rocsparse_direction_NS_24const_host_device_scalarIT2_EEPKiS8_PKS5_SA_S6_PS5_21rocsparse_index_base_b.num_agpr, 0
	.set _ZN9rocsparseL19gebsrmvn_2xn_kernelILj128ELj8ELj16E21rocsparse_complex_numIfEEEvi20rocsparse_direction_NS_24const_host_device_scalarIT2_EEPKiS8_PKS5_SA_S6_PS5_21rocsparse_index_base_b.numbered_sgpr, 16
	.set _ZN9rocsparseL19gebsrmvn_2xn_kernelILj128ELj8ELj16E21rocsparse_complex_numIfEEEvi20rocsparse_direction_NS_24const_host_device_scalarIT2_EEPKiS8_PKS5_SA_S6_PS5_21rocsparse_index_base_b.num_named_barrier, 0
	.set _ZN9rocsparseL19gebsrmvn_2xn_kernelILj128ELj8ELj16E21rocsparse_complex_numIfEEEvi20rocsparse_direction_NS_24const_host_device_scalarIT2_EEPKiS8_PKS5_SA_S6_PS5_21rocsparse_index_base_b.private_seg_size, 0
	.set _ZN9rocsparseL19gebsrmvn_2xn_kernelILj128ELj8ELj16E21rocsparse_complex_numIfEEEvi20rocsparse_direction_NS_24const_host_device_scalarIT2_EEPKiS8_PKS5_SA_S6_PS5_21rocsparse_index_base_b.uses_vcc, 1
	.set _ZN9rocsparseL19gebsrmvn_2xn_kernelILj128ELj8ELj16E21rocsparse_complex_numIfEEEvi20rocsparse_direction_NS_24const_host_device_scalarIT2_EEPKiS8_PKS5_SA_S6_PS5_21rocsparse_index_base_b.uses_flat_scratch, 0
	.set _ZN9rocsparseL19gebsrmvn_2xn_kernelILj128ELj8ELj16E21rocsparse_complex_numIfEEEvi20rocsparse_direction_NS_24const_host_device_scalarIT2_EEPKiS8_PKS5_SA_S6_PS5_21rocsparse_index_base_b.has_dyn_sized_stack, 0
	.set _ZN9rocsparseL19gebsrmvn_2xn_kernelILj128ELj8ELj16E21rocsparse_complex_numIfEEEvi20rocsparse_direction_NS_24const_host_device_scalarIT2_EEPKiS8_PKS5_SA_S6_PS5_21rocsparse_index_base_b.has_recursion, 0
	.set _ZN9rocsparseL19gebsrmvn_2xn_kernelILj128ELj8ELj16E21rocsparse_complex_numIfEEEvi20rocsparse_direction_NS_24const_host_device_scalarIT2_EEPKiS8_PKS5_SA_S6_PS5_21rocsparse_index_base_b.has_indirect_call, 0
	.section	.AMDGPU.csdata,"",@progbits
; Kernel info:
; codeLenInByte = 2168
; TotalNumSgprs: 18
; NumVgprs: 64
; ScratchSize: 0
; MemoryBound: 0
; FloatMode: 240
; IeeeMode: 1
; LDSByteSize: 0 bytes/workgroup (compile time only)
; SGPRBlocks: 0
; VGPRBlocks: 7
; NumSGPRsForWavesPerEU: 18
; NumVGPRsForWavesPerEU: 64
; Occupancy: 16
; WaveLimiterHint : 1
; COMPUTE_PGM_RSRC2:SCRATCH_EN: 0
; COMPUTE_PGM_RSRC2:USER_SGPR: 6
; COMPUTE_PGM_RSRC2:TRAP_HANDLER: 0
; COMPUTE_PGM_RSRC2:TGID_X_EN: 1
; COMPUTE_PGM_RSRC2:TGID_Y_EN: 0
; COMPUTE_PGM_RSRC2:TGID_Z_EN: 0
; COMPUTE_PGM_RSRC2:TIDIG_COMP_CNT: 0
	.section	.text._ZN9rocsparseL19gebsrmvn_2xn_kernelILj128ELj8ELj32E21rocsparse_complex_numIfEEEvi20rocsparse_direction_NS_24const_host_device_scalarIT2_EEPKiS8_PKS5_SA_S6_PS5_21rocsparse_index_base_b,"axG",@progbits,_ZN9rocsparseL19gebsrmvn_2xn_kernelILj128ELj8ELj32E21rocsparse_complex_numIfEEEvi20rocsparse_direction_NS_24const_host_device_scalarIT2_EEPKiS8_PKS5_SA_S6_PS5_21rocsparse_index_base_b,comdat
	.globl	_ZN9rocsparseL19gebsrmvn_2xn_kernelILj128ELj8ELj32E21rocsparse_complex_numIfEEEvi20rocsparse_direction_NS_24const_host_device_scalarIT2_EEPKiS8_PKS5_SA_S6_PS5_21rocsparse_index_base_b ; -- Begin function _ZN9rocsparseL19gebsrmvn_2xn_kernelILj128ELj8ELj32E21rocsparse_complex_numIfEEEvi20rocsparse_direction_NS_24const_host_device_scalarIT2_EEPKiS8_PKS5_SA_S6_PS5_21rocsparse_index_base_b
	.p2align	8
	.type	_ZN9rocsparseL19gebsrmvn_2xn_kernelILj128ELj8ELj32E21rocsparse_complex_numIfEEEvi20rocsparse_direction_NS_24const_host_device_scalarIT2_EEPKiS8_PKS5_SA_S6_PS5_21rocsparse_index_base_b,@function
_ZN9rocsparseL19gebsrmvn_2xn_kernelILj128ELj8ELj32E21rocsparse_complex_numIfEEEvi20rocsparse_direction_NS_24const_host_device_scalarIT2_EEPKiS8_PKS5_SA_S6_PS5_21rocsparse_index_base_b: ; @_ZN9rocsparseL19gebsrmvn_2xn_kernelILj128ELj8ELj32E21rocsparse_complex_numIfEEEvi20rocsparse_direction_NS_24const_host_device_scalarIT2_EEPKiS8_PKS5_SA_S6_PS5_21rocsparse_index_base_b
; %bb.0:
	s_clause 0x2
	s_load_dwordx2 s[2:3], s[4:5], 0x40
	s_load_dwordx2 s[0:1], s[4:5], 0x8
	;; [unrolled: 1-line block ×3, first 2 shown]
	s_add_u32 s7, s4, 8
	s_addc_u32 s10, s5, 0
	s_add_u32 s11, s4, 48
	s_addc_u32 s12, s5, 0
	s_waitcnt lgkmcnt(0)
	s_bitcmp1_b32 s3, 0
	s_cselect_b32 s0, s7, s0
	s_cselect_b32 s1, s10, s1
	v_mov_b32_e32 v1, s0
	v_mov_b32_e32 v2, s1
	s_cselect_b32 s0, s11, s8
	s_cselect_b32 s1, s12, s9
	v_mov_b32_e32 v3, s0
	v_mov_b32_e32 v4, s1
	flat_load_dwordx2 v[1:2], v[1:2]
	flat_load_dwordx2 v[3:4], v[3:4]
	s_waitcnt vmcnt(1) lgkmcnt(1)
	v_cmp_eq_f32_e32 vcc_lo, 0, v1
	v_cmp_eq_f32_e64 s0, 0, v2
	s_and_b32 s3, vcc_lo, s0
	s_mov_b32 s0, -1
	s_and_saveexec_b32 s1, s3
	s_cbranch_execz .LBB185_2
; %bb.1:
	s_waitcnt vmcnt(0) lgkmcnt(0)
	v_cmp_neq_f32_e32 vcc_lo, 1.0, v3
	v_cmp_neq_f32_e64 s0, 0, v4
	s_or_b32 s0, vcc_lo, s0
	s_orn2_b32 s0, s0, exec_lo
.LBB185_2:
	s_or_b32 exec_lo, exec_lo, s1
	s_and_saveexec_b32 s1, s0
	s_cbranch_execz .LBB185_21
; %bb.3:
	s_load_dwordx2 s[0:1], s[4:5], 0x0
	v_lshrrev_b32_e32 v5, 5, v0
	v_lshl_or_b32 v5, s6, 2, v5
	s_waitcnt lgkmcnt(0)
	v_cmp_gt_i32_e32 vcc_lo, s0, v5
	s_and_b32 exec_lo, exec_lo, vcc_lo
	s_cbranch_execz .LBB185_21
; %bb.4:
	s_load_dwordx8 s[8:15], s[4:5], 0x10
	v_ashrrev_i32_e32 v6, 31, v5
	v_and_b32_e32 v0, 31, v0
	s_cmp_lg_u32 s1, 0
	v_lshlrev_b64 v[6:7], 2, v[5:6]
	s_waitcnt lgkmcnt(0)
	v_add_co_u32 v6, vcc_lo, s8, v6
	v_add_co_ci_u32_e64 v7, null, s9, v7, vcc_lo
	global_load_dwordx2 v[6:7], v[6:7], off
	s_waitcnt vmcnt(0)
	v_subrev_nc_u32_e32 v6, s2, v6
	v_subrev_nc_u32_e32 v13, s2, v7
	v_add_nc_u32_e32 v6, v6, v0
	v_cmp_lt_i32_e64 s0, v6, v13
	s_cbranch_scc0 .LBB185_10
; %bb.5:
	v_mov_b32_e32 v11, 0
	v_mov_b32_e32 v14, 0
	;; [unrolled: 1-line block ×4, first 2 shown]
	s_and_saveexec_b32 s1, s0
	s_cbranch_execz .LBB185_9
; %bb.6:
	v_mov_b32_e32 v8, 0
	v_lshlrev_b32_e32 v7, 4, v6
	v_mov_b32_e32 v9, v6
	s_mov_b32 s3, 0
	v_mov_b32_e32 v11, v8
	v_mov_b32_e32 v14, v8
	;; [unrolled: 1-line block ×4, first 2 shown]
.LBB185_7:                              ; =>This Inner Loop Header: Depth=1
	v_ashrrev_i32_e32 v10, 31, v9
	v_mov_b32_e32 v21, v8
	v_lshlrev_b64 v[16:17], 2, v[9:10]
	v_add_nc_u32_e32 v9, 32, v9
	v_add_co_u32 v16, vcc_lo, s10, v16
	v_add_co_ci_u32_e64 v17, null, s11, v17, vcc_lo
	global_load_dword v10, v[16:17], off
	v_lshlrev_b64 v[16:17], 3, v[7:8]
	v_add_nc_u32_e32 v7, 0x200, v7
	v_add_co_u32 v60, vcc_lo, s12, v16
	v_add_co_ci_u32_e64 v61, null, s13, v17, vcc_lo
	global_load_dwordx4 v[16:19], v[60:61], off offset:16
	s_waitcnt vmcnt(1)
	v_subrev_nc_u32_e32 v10, s2, v10
	v_lshlrev_b32_e32 v20, 3, v10
	v_lshlrev_b64 v[20:21], 3, v[20:21]
	v_add_co_u32 v52, vcc_lo, s14, v20
	v_add_co_ci_u32_e64 v53, null, s15, v21, vcc_lo
	v_cmp_ge_i32_e32 vcc_lo, v9, v13
	global_load_dwordx4 v[20:23], v[60:61], off
	s_clause 0x1
	global_load_dwordx4 v[24:27], v[52:53], off
	global_load_dwordx4 v[28:31], v[52:53], off offset:16
	s_clause 0x3
	global_load_dwordx4 v[32:35], v[60:61], off offset:32
	global_load_dwordx4 v[36:39], v[60:61], off offset:48
	global_load_dwordx4 v[40:43], v[60:61], off offset:80
	global_load_dwordx4 v[44:47], v[60:61], off offset:64
	s_clause 0x1
	global_load_dwordx4 v[48:51], v[52:53], off offset:32
	global_load_dwordx4 v[52:55], v[52:53], off offset:48
	s_clause 0x1
	global_load_dwordx4 v[56:59], v[60:61], off offset:96
	global_load_dwordx4 v[60:63], v[60:61], off offset:112
	s_or_b32 s3, vcc_lo, s3
	s_waitcnt vmcnt(9)
	v_fmac_f32_e32 v14, v20, v24
	v_fmac_f32_e32 v11, v21, v24
	;; [unrolled: 1-line block ×4, first 2 shown]
	v_fma_f32 v10, -v21, v25, v14
	v_fmac_f32_e32 v11, v20, v25
	v_fma_f32 v14, -v23, v25, v15
	v_fmac_f32_e32 v12, v22, v25
	v_fmac_f32_e32 v10, v16, v26
	;; [unrolled: 1-line block ×5, first 2 shown]
	v_fma_f32 v10, -v17, v27, v10
	v_fmac_f32_e32 v11, v16, v27
	v_fma_f32 v14, -v19, v27, v14
	v_fmac_f32_e32 v12, v18, v27
	s_waitcnt vmcnt(7)
	v_fmac_f32_e32 v10, v32, v28
	v_fmac_f32_e32 v11, v33, v28
	v_fmac_f32_e32 v14, v34, v28
	v_fmac_f32_e32 v12, v35, v28
	v_fma_f32 v10, -v33, v29, v10
	v_fmac_f32_e32 v11, v32, v29
	v_fma_f32 v14, -v35, v29, v14
	v_fmac_f32_e32 v12, v34, v29
	s_waitcnt vmcnt(6)
	v_fmac_f32_e32 v10, v36, v30
	v_fmac_f32_e32 v11, v37, v30
	v_fmac_f32_e32 v14, v38, v30
	v_fmac_f32_e32 v12, v39, v30
	v_fma_f32 v10, -v37, v31, v10
	v_fmac_f32_e32 v11, v36, v31
	v_fma_f32 v14, -v39, v31, v14
	v_fmac_f32_e32 v12, v38, v31
	s_waitcnt vmcnt(3)
	v_fmac_f32_e32 v10, v44, v48
	v_fmac_f32_e32 v11, v45, v48
	v_fmac_f32_e32 v14, v46, v48
	v_fmac_f32_e32 v12, v47, v48
	v_fma_f32 v10, -v45, v49, v10
	v_fmac_f32_e32 v11, v44, v49
	v_fma_f32 v14, -v47, v49, v14
	v_fmac_f32_e32 v12, v46, v49
	v_fmac_f32_e32 v10, v40, v50
	v_fmac_f32_e32 v11, v41, v50
	v_fmac_f32_e32 v14, v42, v50
	v_fmac_f32_e32 v12, v43, v50
	v_fma_f32 v10, -v41, v51, v10
	v_fmac_f32_e32 v11, v40, v51
	v_fma_f32 v14, -v43, v51, v14
	v_fmac_f32_e32 v12, v42, v51
	s_waitcnt vmcnt(1)
	v_fmac_f32_e32 v10, v56, v52
	v_fmac_f32_e32 v11, v57, v52
	;; [unrolled: 1-line block ×4, first 2 shown]
	v_fma_f32 v10, -v57, v53, v10
	v_fmac_f32_e32 v11, v56, v53
	v_fma_f32 v15, -v59, v53, v14
	v_fmac_f32_e32 v12, v58, v53
	s_waitcnt vmcnt(0)
	v_fmac_f32_e32 v10, v60, v54
	v_fmac_f32_e32 v11, v61, v54
	;; [unrolled: 1-line block ×4, first 2 shown]
	v_fma_f32 v14, -v61, v55, v10
	v_fmac_f32_e32 v11, v60, v55
	v_fma_f32 v15, -v63, v55, v15
	v_fmac_f32_e32 v12, v62, v55
	s_andn2_b32 exec_lo, exec_lo, s3
	s_cbranch_execnz .LBB185_7
; %bb.8:
	s_or_b32 exec_lo, exec_lo, s3
.LBB185_9:
	s_or_b32 exec_lo, exec_lo, s1
	s_cbranch_execz .LBB185_11
	s_branch .LBB185_16
.LBB185_10:
                                        ; implicit-def: $vgpr11
                                        ; implicit-def: $vgpr14
                                        ; implicit-def: $vgpr15
                                        ; implicit-def: $vgpr12
.LBB185_11:
	v_mov_b32_e32 v11, 0
	v_mov_b32_e32 v14, 0
	;; [unrolled: 1-line block ×4, first 2 shown]
	s_and_saveexec_b32 s1, s0
	s_cbranch_execz .LBB185_15
; %bb.12:
	v_mov_b32_e32 v9, 0
	v_lshlrev_b32_e32 v8, 4, v6
	s_mov_b32 s0, 0
	v_mov_b32_e32 v11, v9
	v_mov_b32_e32 v14, v9
	;; [unrolled: 1-line block ×4, first 2 shown]
.LBB185_13:                             ; =>This Inner Loop Header: Depth=1
	v_ashrrev_i32_e32 v7, 31, v6
	v_mov_b32_e32 v29, v9
	v_lshlrev_b64 v[16:17], 2, v[6:7]
	v_add_nc_u32_e32 v6, 32, v6
	v_add_co_u32 v16, vcc_lo, s10, v16
	v_add_co_ci_u32_e64 v17, null, s11, v17, vcc_lo
	global_load_dword v7, v[16:17], off
	v_lshlrev_b64 v[16:17], 3, v[8:9]
	v_add_nc_u32_e32 v8, 0x200, v8
	v_add_co_u32 v52, vcc_lo, s12, v16
	v_add_co_ci_u32_e64 v53, null, s13, v17, vcc_lo
	s_clause 0x2
	global_load_dwordx4 v[16:19], v[52:53], off offset:16
	global_load_dwordx4 v[20:23], v[52:53], off
	global_load_dwordx4 v[24:27], v[52:53], off offset:80
	s_waitcnt vmcnt(3)
	v_subrev_nc_u32_e32 v7, s2, v7
	v_lshlrev_b32_e32 v28, 3, v7
	v_lshlrev_b64 v[28:29], 3, v[28:29]
	v_add_co_u32 v60, vcc_lo, s14, v28
	v_add_co_ci_u32_e64 v61, null, s15, v29, vcc_lo
	v_cmp_ge_i32_e32 vcc_lo, v6, v13
	global_load_dwordx4 v[28:31], v[52:53], off offset:64
	s_clause 0x1
	global_load_dwordx4 v[32:35], v[60:61], off
	global_load_dwordx4 v[36:39], v[60:61], off offset:16
	s_clause 0x3
	global_load_dwordx4 v[40:43], v[52:53], off offset:48
	global_load_dwordx4 v[44:47], v[52:53], off offset:32
	;; [unrolled: 1-line block ×4, first 2 shown]
	s_clause 0x1
	global_load_dwordx4 v[56:59], v[60:61], off offset:32
	global_load_dwordx4 v[60:63], v[60:61], off offset:48
	s_or_b32 s0, vcc_lo, s0
	s_waitcnt vmcnt(7)
	v_fmac_f32_e32 v14, v20, v32
	v_fmac_f32_e32 v11, v21, v32
	v_fmac_f32_e32 v15, v28, v32
	v_fmac_f32_e32 v12, v29, v32
	v_fma_f32 v7, -v21, v33, v14
	v_fmac_f32_e32 v11, v20, v33
	v_fma_f32 v10, -v29, v33, v15
	v_fmac_f32_e32 v12, v28, v33
	v_fmac_f32_e32 v7, v22, v34
	v_fmac_f32_e32 v11, v23, v34
	v_fmac_f32_e32 v10, v30, v34
	v_fmac_f32_e32 v12, v31, v34
	v_fma_f32 v7, -v23, v35, v7
	v_fmac_f32_e32 v11, v22, v35
	v_fma_f32 v10, -v31, v35, v10
	v_fmac_f32_e32 v12, v30, v35
	s_waitcnt vmcnt(6)
	v_fmac_f32_e32 v7, v16, v36
	v_fmac_f32_e32 v11, v17, v36
	v_fmac_f32_e32 v10, v24, v36
	v_fmac_f32_e32 v12, v25, v36
	v_fma_f32 v7, -v17, v37, v7
	v_fmac_f32_e32 v11, v16, v37
	v_fma_f32 v10, -v25, v37, v10
	v_fmac_f32_e32 v12, v24, v37
	v_fmac_f32_e32 v7, v18, v38
	v_fmac_f32_e32 v11, v19, v38
	v_fmac_f32_e32 v10, v26, v38
	v_fmac_f32_e32 v12, v27, v38
	v_fma_f32 v7, -v19, v39, v7
	v_fmac_f32_e32 v11, v18, v39
	v_fma_f32 v10, -v27, v39, v10
	v_fmac_f32_e32 v12, v26, v39
	s_waitcnt vmcnt(1)
	v_fmac_f32_e32 v7, v44, v56
	v_fmac_f32_e32 v11, v45, v56
	v_fmac_f32_e32 v10, v52, v56
	v_fmac_f32_e32 v12, v53, v56
	v_fma_f32 v7, -v45, v57, v7
	v_fmac_f32_e32 v11, v44, v57
	v_fma_f32 v10, -v53, v57, v10
	v_fmac_f32_e32 v12, v52, v57
	v_fmac_f32_e32 v7, v46, v58
	v_fmac_f32_e32 v11, v47, v58
	v_fmac_f32_e32 v10, v54, v58
	v_fmac_f32_e32 v12, v55, v58
	v_fma_f32 v7, -v47, v59, v7
	v_fmac_f32_e32 v11, v46, v59
	v_fma_f32 v10, -v55, v59, v10
	v_fmac_f32_e32 v12, v54, v59
	s_waitcnt vmcnt(0)
	v_fmac_f32_e32 v7, v40, v60
	v_fmac_f32_e32 v11, v41, v60
	v_fmac_f32_e32 v10, v48, v60
	v_fmac_f32_e32 v12, v49, v60
	v_fma_f32 v7, -v41, v61, v7
	v_fmac_f32_e32 v11, v40, v61
	v_fma_f32 v10, -v49, v61, v10
	v_fmac_f32_e32 v12, v48, v61
	v_fmac_f32_e32 v7, v42, v62
	v_fmac_f32_e32 v11, v43, v62
	v_fmac_f32_e32 v10, v50, v62
	v_fmac_f32_e32 v12, v51, v62
	v_fma_f32 v14, -v43, v63, v7
	v_fmac_f32_e32 v11, v42, v63
	v_fma_f32 v15, -v51, v63, v10
	v_fmac_f32_e32 v12, v50, v63
	s_andn2_b32 exec_lo, exec_lo, s0
	s_cbranch_execnz .LBB185_13
; %bb.14:
	s_or_b32 exec_lo, exec_lo, s0
.LBB185_15:
	s_or_b32 exec_lo, exec_lo, s1
.LBB185_16:
	v_mbcnt_lo_u32_b32 v6, -1, 0
	v_xor_b32_e32 v7, 16, v6
	v_xor_b32_e32 v13, 8, v6
	v_cmp_gt_i32_e32 vcc_lo, 32, v7
	v_cndmask_b32_e32 v7, v6, v7, vcc_lo
	v_cmp_gt_i32_e32 vcc_lo, 32, v13
	v_lshlrev_b32_e32 v7, 2, v7
	v_cndmask_b32_e32 v13, v6, v13, vcc_lo
	ds_bpermute_b32 v8, v7, v14
	ds_bpermute_b32 v9, v7, v11
	;; [unrolled: 1-line block ×4, first 2 shown]
	v_lshlrev_b32_e32 v13, 2, v13
	s_waitcnt lgkmcnt(3)
	v_add_f32_e32 v8, v14, v8
	s_waitcnt lgkmcnt(2)
	v_add_f32_e32 v9, v11, v9
	;; [unrolled: 2-line block ×4, first 2 shown]
	v_xor_b32_e32 v15, 4, v6
	ds_bpermute_b32 v11, v13, v8
	ds_bpermute_b32 v12, v13, v9
	;; [unrolled: 1-line block ×4, first 2 shown]
	v_cmp_gt_i32_e32 vcc_lo, 32, v15
	v_cndmask_b32_e32 v15, v6, v15, vcc_lo
	v_lshlrev_b32_e32 v15, 2, v15
	s_waitcnt lgkmcnt(3)
	v_add_f32_e32 v8, v8, v11
	s_waitcnt lgkmcnt(2)
	v_add_f32_e32 v9, v9, v12
	;; [unrolled: 2-line block ×4, first 2 shown]
	ds_bpermute_b32 v11, v15, v8
	ds_bpermute_b32 v12, v15, v9
	;; [unrolled: 1-line block ×4, first 2 shown]
	v_xor_b32_e32 v15, 2, v6
	v_cmp_gt_i32_e32 vcc_lo, 32, v15
	v_cndmask_b32_e32 v15, v6, v15, vcc_lo
	v_lshlrev_b32_e32 v15, 2, v15
	s_waitcnt lgkmcnt(3)
	v_add_f32_e32 v8, v8, v11
	s_waitcnt lgkmcnt(2)
	v_add_f32_e32 v9, v9, v12
	;; [unrolled: 2-line block ×4, first 2 shown]
	ds_bpermute_b32 v11, v15, v8
	ds_bpermute_b32 v12, v15, v9
	;; [unrolled: 1-line block ×4, first 2 shown]
	v_xor_b32_e32 v15, 1, v6
	v_cmp_gt_i32_e32 vcc_lo, 32, v15
	v_cndmask_b32_e32 v6, v6, v15, vcc_lo
	v_cmp_eq_u32_e32 vcc_lo, 31, v0
	v_lshlrev_b32_e32 v15, 2, v6
	s_waitcnt lgkmcnt(3)
	v_add_f32_e32 v8, v8, v11
	s_waitcnt lgkmcnt(2)
	v_add_f32_e32 v9, v9, v12
	;; [unrolled: 2-line block ×4, first 2 shown]
	ds_bpermute_b32 v12, v15, v8
	ds_bpermute_b32 v13, v15, v9
	;; [unrolled: 1-line block ×4, first 2 shown]
	s_and_b32 exec_lo, exec_lo, vcc_lo
	s_cbranch_execz .LBB185_21
; %bb.17:
	s_load_dwordx2 s[2:3], s[4:5], 0x38
	v_cmp_eq_f32_e32 vcc_lo, 0, v3
	v_cmp_eq_f32_e64 s0, 0, v4
	s_waitcnt lgkmcnt(0)
	v_add_f32_e32 v0, v8, v12
	v_add_f32_e32 v8, v9, v13
	v_add_f32_e32 v6, v6, v10
	v_add_f32_e32 v7, v7, v11
	s_and_b32 s0, vcc_lo, s0
	s_and_saveexec_b32 s1, s0
	s_xor_b32 s0, exec_lo, s1
	s_cbranch_execz .LBB185_19
; %bb.18:
	v_lshlrev_b32_e32 v3, 1, v5
	v_mul_f32_e64 v9, v8, -v2
	v_mul_f32_e32 v10, v1, v8
	v_mul_f32_e64 v11, v7, -v2
	v_mul_f32_e32 v12, v1, v7
	v_ashrrev_i32_e32 v4, 31, v3
	v_fmac_f32_e32 v9, v1, v0
	v_fmac_f32_e32 v10, v2, v0
	;; [unrolled: 1-line block ×4, first 2 shown]
	v_lshlrev_b64 v[3:4], 3, v[3:4]
                                        ; implicit-def: $vgpr5
                                        ; implicit-def: $vgpr8
                                        ; implicit-def: $vgpr7
                                        ; implicit-def: $vgpr6
	v_add_co_u32 v0, vcc_lo, s2, v3
	v_add_co_ci_u32_e64 v1, null, s3, v4, vcc_lo
                                        ; implicit-def: $vgpr3_vgpr4
	global_store_dwordx4 v[0:1], v[9:12], off
                                        ; implicit-def: $vgpr1_vgpr2
                                        ; implicit-def: $vgpr0
.LBB185_19:
	s_andn2_saveexec_b32 s0, s0
	s_cbranch_execz .LBB185_21
; %bb.20:
	v_lshlrev_b32_e32 v9, 1, v5
	v_mul_f32_e64 v5, v8, -v2
	v_mul_f32_e32 v14, v1, v8
	v_mul_f32_e64 v8, v7, -v2
	v_mul_f32_e32 v16, v1, v7
	v_ashrrev_i32_e32 v10, 31, v9
	v_fmac_f32_e32 v5, v1, v0
	v_fmac_f32_e32 v14, v2, v0
	;; [unrolled: 1-line block ×4, first 2 shown]
	v_lshlrev_b64 v[9:10], 3, v[9:10]
	v_add_co_u32 v17, vcc_lo, s2, v9
	v_add_co_ci_u32_e64 v18, null, s3, v10, vcc_lo
	global_load_dwordx4 v[9:12], v[17:18], off
	s_waitcnt vmcnt(0)
	v_fmac_f32_e32 v5, v3, v9
	v_fmac_f32_e32 v14, v4, v9
	;; [unrolled: 1-line block ×4, first 2 shown]
	v_fma_f32 v13, -v4, v10, v5
	v_fmac_f32_e32 v14, v3, v10
	v_fma_f32 v15, -v4, v12, v8
	v_fmac_f32_e32 v16, v3, v12
	global_store_dwordx4 v[17:18], v[13:16], off
.LBB185_21:
	s_endpgm
	.section	.rodata,"a",@progbits
	.p2align	6, 0x0
	.amdhsa_kernel _ZN9rocsparseL19gebsrmvn_2xn_kernelILj128ELj8ELj32E21rocsparse_complex_numIfEEEvi20rocsparse_direction_NS_24const_host_device_scalarIT2_EEPKiS8_PKS5_SA_S6_PS5_21rocsparse_index_base_b
		.amdhsa_group_segment_fixed_size 0
		.amdhsa_private_segment_fixed_size 0
		.amdhsa_kernarg_size 72
		.amdhsa_user_sgpr_count 6
		.amdhsa_user_sgpr_private_segment_buffer 1
		.amdhsa_user_sgpr_dispatch_ptr 0
		.amdhsa_user_sgpr_queue_ptr 0
		.amdhsa_user_sgpr_kernarg_segment_ptr 1
		.amdhsa_user_sgpr_dispatch_id 0
		.amdhsa_user_sgpr_flat_scratch_init 0
		.amdhsa_user_sgpr_private_segment_size 0
		.amdhsa_wavefront_size32 1
		.amdhsa_uses_dynamic_stack 0
		.amdhsa_system_sgpr_private_segment_wavefront_offset 0
		.amdhsa_system_sgpr_workgroup_id_x 1
		.amdhsa_system_sgpr_workgroup_id_y 0
		.amdhsa_system_sgpr_workgroup_id_z 0
		.amdhsa_system_sgpr_workgroup_info 0
		.amdhsa_system_vgpr_workitem_id 0
		.amdhsa_next_free_vgpr 64
		.amdhsa_next_free_sgpr 16
		.amdhsa_reserve_vcc 1
		.amdhsa_reserve_flat_scratch 0
		.amdhsa_float_round_mode_32 0
		.amdhsa_float_round_mode_16_64 0
		.amdhsa_float_denorm_mode_32 3
		.amdhsa_float_denorm_mode_16_64 3
		.amdhsa_dx10_clamp 1
		.amdhsa_ieee_mode 1
		.amdhsa_fp16_overflow 0
		.amdhsa_workgroup_processor_mode 1
		.amdhsa_memory_ordered 1
		.amdhsa_forward_progress 1
		.amdhsa_shared_vgpr_count 0
		.amdhsa_exception_fp_ieee_invalid_op 0
		.amdhsa_exception_fp_denorm_src 0
		.amdhsa_exception_fp_ieee_div_zero 0
		.amdhsa_exception_fp_ieee_overflow 0
		.amdhsa_exception_fp_ieee_underflow 0
		.amdhsa_exception_fp_ieee_inexact 0
		.amdhsa_exception_int_div_zero 0
	.end_amdhsa_kernel
	.section	.text._ZN9rocsparseL19gebsrmvn_2xn_kernelILj128ELj8ELj32E21rocsparse_complex_numIfEEEvi20rocsparse_direction_NS_24const_host_device_scalarIT2_EEPKiS8_PKS5_SA_S6_PS5_21rocsparse_index_base_b,"axG",@progbits,_ZN9rocsparseL19gebsrmvn_2xn_kernelILj128ELj8ELj32E21rocsparse_complex_numIfEEEvi20rocsparse_direction_NS_24const_host_device_scalarIT2_EEPKiS8_PKS5_SA_S6_PS5_21rocsparse_index_base_b,comdat
.Lfunc_end185:
	.size	_ZN9rocsparseL19gebsrmvn_2xn_kernelILj128ELj8ELj32E21rocsparse_complex_numIfEEEvi20rocsparse_direction_NS_24const_host_device_scalarIT2_EEPKiS8_PKS5_SA_S6_PS5_21rocsparse_index_base_b, .Lfunc_end185-_ZN9rocsparseL19gebsrmvn_2xn_kernelILj128ELj8ELj32E21rocsparse_complex_numIfEEEvi20rocsparse_direction_NS_24const_host_device_scalarIT2_EEPKiS8_PKS5_SA_S6_PS5_21rocsparse_index_base_b
                                        ; -- End function
	.set _ZN9rocsparseL19gebsrmvn_2xn_kernelILj128ELj8ELj32E21rocsparse_complex_numIfEEEvi20rocsparse_direction_NS_24const_host_device_scalarIT2_EEPKiS8_PKS5_SA_S6_PS5_21rocsparse_index_base_b.num_vgpr, 64
	.set _ZN9rocsparseL19gebsrmvn_2xn_kernelILj128ELj8ELj32E21rocsparse_complex_numIfEEEvi20rocsparse_direction_NS_24const_host_device_scalarIT2_EEPKiS8_PKS5_SA_S6_PS5_21rocsparse_index_base_b.num_agpr, 0
	.set _ZN9rocsparseL19gebsrmvn_2xn_kernelILj128ELj8ELj32E21rocsparse_complex_numIfEEEvi20rocsparse_direction_NS_24const_host_device_scalarIT2_EEPKiS8_PKS5_SA_S6_PS5_21rocsparse_index_base_b.numbered_sgpr, 16
	.set _ZN9rocsparseL19gebsrmvn_2xn_kernelILj128ELj8ELj32E21rocsparse_complex_numIfEEEvi20rocsparse_direction_NS_24const_host_device_scalarIT2_EEPKiS8_PKS5_SA_S6_PS5_21rocsparse_index_base_b.num_named_barrier, 0
	.set _ZN9rocsparseL19gebsrmvn_2xn_kernelILj128ELj8ELj32E21rocsparse_complex_numIfEEEvi20rocsparse_direction_NS_24const_host_device_scalarIT2_EEPKiS8_PKS5_SA_S6_PS5_21rocsparse_index_base_b.private_seg_size, 0
	.set _ZN9rocsparseL19gebsrmvn_2xn_kernelILj128ELj8ELj32E21rocsparse_complex_numIfEEEvi20rocsparse_direction_NS_24const_host_device_scalarIT2_EEPKiS8_PKS5_SA_S6_PS5_21rocsparse_index_base_b.uses_vcc, 1
	.set _ZN9rocsparseL19gebsrmvn_2xn_kernelILj128ELj8ELj32E21rocsparse_complex_numIfEEEvi20rocsparse_direction_NS_24const_host_device_scalarIT2_EEPKiS8_PKS5_SA_S6_PS5_21rocsparse_index_base_b.uses_flat_scratch, 0
	.set _ZN9rocsparseL19gebsrmvn_2xn_kernelILj128ELj8ELj32E21rocsparse_complex_numIfEEEvi20rocsparse_direction_NS_24const_host_device_scalarIT2_EEPKiS8_PKS5_SA_S6_PS5_21rocsparse_index_base_b.has_dyn_sized_stack, 0
	.set _ZN9rocsparseL19gebsrmvn_2xn_kernelILj128ELj8ELj32E21rocsparse_complex_numIfEEEvi20rocsparse_direction_NS_24const_host_device_scalarIT2_EEPKiS8_PKS5_SA_S6_PS5_21rocsparse_index_base_b.has_recursion, 0
	.set _ZN9rocsparseL19gebsrmvn_2xn_kernelILj128ELj8ELj32E21rocsparse_complex_numIfEEEvi20rocsparse_direction_NS_24const_host_device_scalarIT2_EEPKiS8_PKS5_SA_S6_PS5_21rocsparse_index_base_b.has_indirect_call, 0
	.section	.AMDGPU.csdata,"",@progbits
; Kernel info:
; codeLenInByte = 2248
; TotalNumSgprs: 18
; NumVgprs: 64
; ScratchSize: 0
; MemoryBound: 0
; FloatMode: 240
; IeeeMode: 1
; LDSByteSize: 0 bytes/workgroup (compile time only)
; SGPRBlocks: 0
; VGPRBlocks: 7
; NumSGPRsForWavesPerEU: 18
; NumVGPRsForWavesPerEU: 64
; Occupancy: 16
; WaveLimiterHint : 1
; COMPUTE_PGM_RSRC2:SCRATCH_EN: 0
; COMPUTE_PGM_RSRC2:USER_SGPR: 6
; COMPUTE_PGM_RSRC2:TRAP_HANDLER: 0
; COMPUTE_PGM_RSRC2:TGID_X_EN: 1
; COMPUTE_PGM_RSRC2:TGID_Y_EN: 0
; COMPUTE_PGM_RSRC2:TGID_Z_EN: 0
; COMPUTE_PGM_RSRC2:TIDIG_COMP_CNT: 0
	.section	.text._ZN9rocsparseL19gebsrmvn_2xn_kernelILj128ELj8ELj64E21rocsparse_complex_numIfEEEvi20rocsparse_direction_NS_24const_host_device_scalarIT2_EEPKiS8_PKS5_SA_S6_PS5_21rocsparse_index_base_b,"axG",@progbits,_ZN9rocsparseL19gebsrmvn_2xn_kernelILj128ELj8ELj64E21rocsparse_complex_numIfEEEvi20rocsparse_direction_NS_24const_host_device_scalarIT2_EEPKiS8_PKS5_SA_S6_PS5_21rocsparse_index_base_b,comdat
	.globl	_ZN9rocsparseL19gebsrmvn_2xn_kernelILj128ELj8ELj64E21rocsparse_complex_numIfEEEvi20rocsparse_direction_NS_24const_host_device_scalarIT2_EEPKiS8_PKS5_SA_S6_PS5_21rocsparse_index_base_b ; -- Begin function _ZN9rocsparseL19gebsrmvn_2xn_kernelILj128ELj8ELj64E21rocsparse_complex_numIfEEEvi20rocsparse_direction_NS_24const_host_device_scalarIT2_EEPKiS8_PKS5_SA_S6_PS5_21rocsparse_index_base_b
	.p2align	8
	.type	_ZN9rocsparseL19gebsrmvn_2xn_kernelILj128ELj8ELj64E21rocsparse_complex_numIfEEEvi20rocsparse_direction_NS_24const_host_device_scalarIT2_EEPKiS8_PKS5_SA_S6_PS5_21rocsparse_index_base_b,@function
_ZN9rocsparseL19gebsrmvn_2xn_kernelILj128ELj8ELj64E21rocsparse_complex_numIfEEEvi20rocsparse_direction_NS_24const_host_device_scalarIT2_EEPKiS8_PKS5_SA_S6_PS5_21rocsparse_index_base_b: ; @_ZN9rocsparseL19gebsrmvn_2xn_kernelILj128ELj8ELj64E21rocsparse_complex_numIfEEEvi20rocsparse_direction_NS_24const_host_device_scalarIT2_EEPKiS8_PKS5_SA_S6_PS5_21rocsparse_index_base_b
; %bb.0:
	s_clause 0x2
	s_load_dwordx2 s[2:3], s[4:5], 0x40
	s_load_dwordx2 s[0:1], s[4:5], 0x8
	;; [unrolled: 1-line block ×3, first 2 shown]
	s_add_u32 s7, s4, 8
	s_addc_u32 s10, s5, 0
	s_add_u32 s11, s4, 48
	s_addc_u32 s12, s5, 0
	s_waitcnt lgkmcnt(0)
	s_bitcmp1_b32 s3, 0
	s_cselect_b32 s0, s7, s0
	s_cselect_b32 s1, s10, s1
	v_mov_b32_e32 v1, s0
	v_mov_b32_e32 v2, s1
	s_cselect_b32 s0, s11, s8
	s_cselect_b32 s1, s12, s9
	v_mov_b32_e32 v3, s0
	v_mov_b32_e32 v4, s1
	flat_load_dwordx2 v[1:2], v[1:2]
	flat_load_dwordx2 v[3:4], v[3:4]
	s_waitcnt vmcnt(1) lgkmcnt(1)
	v_cmp_eq_f32_e32 vcc_lo, 0, v1
	v_cmp_eq_f32_e64 s0, 0, v2
	s_and_b32 s3, vcc_lo, s0
	s_mov_b32 s0, -1
	s_and_saveexec_b32 s1, s3
	s_cbranch_execz .LBB186_2
; %bb.1:
	s_waitcnt vmcnt(0) lgkmcnt(0)
	v_cmp_neq_f32_e32 vcc_lo, 1.0, v3
	v_cmp_neq_f32_e64 s0, 0, v4
	s_or_b32 s0, vcc_lo, s0
	s_orn2_b32 s0, s0, exec_lo
.LBB186_2:
	s_or_b32 exec_lo, exec_lo, s1
	s_and_saveexec_b32 s1, s0
	s_cbranch_execz .LBB186_21
; %bb.3:
	s_load_dwordx2 s[0:1], s[4:5], 0x0
	v_lshrrev_b32_e32 v5, 6, v0
	v_lshl_or_b32 v5, s6, 1, v5
	s_waitcnt lgkmcnt(0)
	v_cmp_gt_i32_e32 vcc_lo, s0, v5
	s_and_b32 exec_lo, exec_lo, vcc_lo
	s_cbranch_execz .LBB186_21
; %bb.4:
	s_load_dwordx8 s[8:15], s[4:5], 0x10
	v_ashrrev_i32_e32 v6, 31, v5
	v_and_b32_e32 v0, 63, v0
	s_cmp_lg_u32 s1, 0
	v_lshlrev_b64 v[6:7], 2, v[5:6]
	s_waitcnt lgkmcnt(0)
	v_add_co_u32 v6, vcc_lo, s8, v6
	v_add_co_ci_u32_e64 v7, null, s9, v7, vcc_lo
	global_load_dwordx2 v[6:7], v[6:7], off
	s_waitcnt vmcnt(0)
	v_subrev_nc_u32_e32 v6, s2, v6
	v_subrev_nc_u32_e32 v13, s2, v7
	v_add_nc_u32_e32 v6, v6, v0
	v_cmp_lt_i32_e64 s0, v6, v13
	s_cbranch_scc0 .LBB186_10
; %bb.5:
	v_mov_b32_e32 v11, 0
	v_mov_b32_e32 v14, 0
	;; [unrolled: 1-line block ×4, first 2 shown]
	s_and_saveexec_b32 s1, s0
	s_cbranch_execz .LBB186_9
; %bb.6:
	v_mov_b32_e32 v8, 0
	v_lshlrev_b32_e32 v7, 4, v6
	v_mov_b32_e32 v9, v6
	s_mov_b32 s3, 0
	v_mov_b32_e32 v11, v8
	v_mov_b32_e32 v14, v8
	;; [unrolled: 1-line block ×4, first 2 shown]
.LBB186_7:                              ; =>This Inner Loop Header: Depth=1
	v_ashrrev_i32_e32 v10, 31, v9
	v_mov_b32_e32 v21, v8
	v_lshlrev_b64 v[16:17], 2, v[9:10]
	v_add_nc_u32_e32 v9, 64, v9
	v_add_co_u32 v16, vcc_lo, s10, v16
	v_add_co_ci_u32_e64 v17, null, s11, v17, vcc_lo
	global_load_dword v10, v[16:17], off
	v_lshlrev_b64 v[16:17], 3, v[7:8]
	v_add_nc_u32_e32 v7, 0x400, v7
	v_add_co_u32 v60, vcc_lo, s12, v16
	v_add_co_ci_u32_e64 v61, null, s13, v17, vcc_lo
	global_load_dwordx4 v[16:19], v[60:61], off offset:16
	s_waitcnt vmcnt(1)
	v_subrev_nc_u32_e32 v10, s2, v10
	v_lshlrev_b32_e32 v20, 3, v10
	v_lshlrev_b64 v[20:21], 3, v[20:21]
	v_add_co_u32 v52, vcc_lo, s14, v20
	v_add_co_ci_u32_e64 v53, null, s15, v21, vcc_lo
	v_cmp_ge_i32_e32 vcc_lo, v9, v13
	global_load_dwordx4 v[20:23], v[60:61], off
	s_clause 0x1
	global_load_dwordx4 v[24:27], v[52:53], off
	global_load_dwordx4 v[28:31], v[52:53], off offset:16
	s_clause 0x3
	global_load_dwordx4 v[32:35], v[60:61], off offset:32
	global_load_dwordx4 v[36:39], v[60:61], off offset:48
	;; [unrolled: 1-line block ×4, first 2 shown]
	s_clause 0x1
	global_load_dwordx4 v[48:51], v[52:53], off offset:32
	global_load_dwordx4 v[52:55], v[52:53], off offset:48
	s_clause 0x1
	global_load_dwordx4 v[56:59], v[60:61], off offset:96
	global_load_dwordx4 v[60:63], v[60:61], off offset:112
	s_or_b32 s3, vcc_lo, s3
	s_waitcnt vmcnt(9)
	v_fmac_f32_e32 v14, v20, v24
	v_fmac_f32_e32 v11, v21, v24
	;; [unrolled: 1-line block ×4, first 2 shown]
	v_fma_f32 v10, -v21, v25, v14
	v_fmac_f32_e32 v11, v20, v25
	v_fma_f32 v14, -v23, v25, v15
	v_fmac_f32_e32 v12, v22, v25
	v_fmac_f32_e32 v10, v16, v26
	;; [unrolled: 1-line block ×5, first 2 shown]
	v_fma_f32 v10, -v17, v27, v10
	v_fmac_f32_e32 v11, v16, v27
	v_fma_f32 v14, -v19, v27, v14
	v_fmac_f32_e32 v12, v18, v27
	s_waitcnt vmcnt(7)
	v_fmac_f32_e32 v10, v32, v28
	v_fmac_f32_e32 v11, v33, v28
	v_fmac_f32_e32 v14, v34, v28
	v_fmac_f32_e32 v12, v35, v28
	v_fma_f32 v10, -v33, v29, v10
	v_fmac_f32_e32 v11, v32, v29
	v_fma_f32 v14, -v35, v29, v14
	v_fmac_f32_e32 v12, v34, v29
	s_waitcnt vmcnt(6)
	v_fmac_f32_e32 v10, v36, v30
	v_fmac_f32_e32 v11, v37, v30
	v_fmac_f32_e32 v14, v38, v30
	v_fmac_f32_e32 v12, v39, v30
	;; [unrolled: 9-line block ×3, first 2 shown]
	v_fma_f32 v10, -v45, v49, v10
	v_fmac_f32_e32 v11, v44, v49
	v_fma_f32 v14, -v47, v49, v14
	v_fmac_f32_e32 v12, v46, v49
	v_fmac_f32_e32 v10, v40, v50
	;; [unrolled: 1-line block ×5, first 2 shown]
	v_fma_f32 v10, -v41, v51, v10
	v_fmac_f32_e32 v11, v40, v51
	v_fma_f32 v14, -v43, v51, v14
	v_fmac_f32_e32 v12, v42, v51
	s_waitcnt vmcnt(1)
	v_fmac_f32_e32 v10, v56, v52
	v_fmac_f32_e32 v11, v57, v52
	;; [unrolled: 1-line block ×4, first 2 shown]
	v_fma_f32 v10, -v57, v53, v10
	v_fmac_f32_e32 v11, v56, v53
	v_fma_f32 v15, -v59, v53, v14
	v_fmac_f32_e32 v12, v58, v53
	s_waitcnt vmcnt(0)
	v_fmac_f32_e32 v10, v60, v54
	v_fmac_f32_e32 v11, v61, v54
	;; [unrolled: 1-line block ×4, first 2 shown]
	v_fma_f32 v14, -v61, v55, v10
	v_fmac_f32_e32 v11, v60, v55
	v_fma_f32 v15, -v63, v55, v15
	v_fmac_f32_e32 v12, v62, v55
	s_andn2_b32 exec_lo, exec_lo, s3
	s_cbranch_execnz .LBB186_7
; %bb.8:
	s_or_b32 exec_lo, exec_lo, s3
.LBB186_9:
	s_or_b32 exec_lo, exec_lo, s1
	s_cbranch_execz .LBB186_11
	s_branch .LBB186_16
.LBB186_10:
                                        ; implicit-def: $vgpr11
                                        ; implicit-def: $vgpr14
                                        ; implicit-def: $vgpr15
                                        ; implicit-def: $vgpr12
.LBB186_11:
	v_mov_b32_e32 v11, 0
	v_mov_b32_e32 v14, 0
	;; [unrolled: 1-line block ×4, first 2 shown]
	s_and_saveexec_b32 s1, s0
	s_cbranch_execz .LBB186_15
; %bb.12:
	v_mov_b32_e32 v9, 0
	v_lshlrev_b32_e32 v8, 4, v6
	s_mov_b32 s0, 0
	v_mov_b32_e32 v11, v9
	v_mov_b32_e32 v14, v9
	v_mov_b32_e32 v15, v9
	v_mov_b32_e32 v12, v9
.LBB186_13:                             ; =>This Inner Loop Header: Depth=1
	v_ashrrev_i32_e32 v7, 31, v6
	v_mov_b32_e32 v29, v9
	v_lshlrev_b64 v[16:17], 2, v[6:7]
	v_add_nc_u32_e32 v6, 64, v6
	v_add_co_u32 v16, vcc_lo, s10, v16
	v_add_co_ci_u32_e64 v17, null, s11, v17, vcc_lo
	global_load_dword v7, v[16:17], off
	v_lshlrev_b64 v[16:17], 3, v[8:9]
	v_add_nc_u32_e32 v8, 0x400, v8
	v_add_co_u32 v52, vcc_lo, s12, v16
	v_add_co_ci_u32_e64 v53, null, s13, v17, vcc_lo
	s_clause 0x2
	global_load_dwordx4 v[16:19], v[52:53], off offset:16
	global_load_dwordx4 v[20:23], v[52:53], off
	global_load_dwordx4 v[24:27], v[52:53], off offset:80
	s_waitcnt vmcnt(3)
	v_subrev_nc_u32_e32 v7, s2, v7
	v_lshlrev_b32_e32 v28, 3, v7
	v_lshlrev_b64 v[28:29], 3, v[28:29]
	v_add_co_u32 v60, vcc_lo, s14, v28
	v_add_co_ci_u32_e64 v61, null, s15, v29, vcc_lo
	v_cmp_ge_i32_e32 vcc_lo, v6, v13
	global_load_dwordx4 v[28:31], v[52:53], off offset:64
	s_clause 0x1
	global_load_dwordx4 v[32:35], v[60:61], off
	global_load_dwordx4 v[36:39], v[60:61], off offset:16
	s_clause 0x3
	global_load_dwordx4 v[40:43], v[52:53], off offset:48
	global_load_dwordx4 v[44:47], v[52:53], off offset:32
	;; [unrolled: 1-line block ×4, first 2 shown]
	s_clause 0x1
	global_load_dwordx4 v[56:59], v[60:61], off offset:32
	global_load_dwordx4 v[60:63], v[60:61], off offset:48
	s_or_b32 s0, vcc_lo, s0
	s_waitcnt vmcnt(7)
	v_fmac_f32_e32 v14, v20, v32
	v_fmac_f32_e32 v11, v21, v32
	v_fmac_f32_e32 v15, v28, v32
	v_fmac_f32_e32 v12, v29, v32
	v_fma_f32 v7, -v21, v33, v14
	v_fmac_f32_e32 v11, v20, v33
	v_fma_f32 v10, -v29, v33, v15
	v_fmac_f32_e32 v12, v28, v33
	v_fmac_f32_e32 v7, v22, v34
	v_fmac_f32_e32 v11, v23, v34
	v_fmac_f32_e32 v10, v30, v34
	v_fmac_f32_e32 v12, v31, v34
	v_fma_f32 v7, -v23, v35, v7
	v_fmac_f32_e32 v11, v22, v35
	v_fma_f32 v10, -v31, v35, v10
	v_fmac_f32_e32 v12, v30, v35
	s_waitcnt vmcnt(6)
	v_fmac_f32_e32 v7, v16, v36
	v_fmac_f32_e32 v11, v17, v36
	v_fmac_f32_e32 v10, v24, v36
	v_fmac_f32_e32 v12, v25, v36
	v_fma_f32 v7, -v17, v37, v7
	v_fmac_f32_e32 v11, v16, v37
	v_fma_f32 v10, -v25, v37, v10
	v_fmac_f32_e32 v12, v24, v37
	v_fmac_f32_e32 v7, v18, v38
	v_fmac_f32_e32 v11, v19, v38
	v_fmac_f32_e32 v10, v26, v38
	v_fmac_f32_e32 v12, v27, v38
	v_fma_f32 v7, -v19, v39, v7
	v_fmac_f32_e32 v11, v18, v39
	v_fma_f32 v10, -v27, v39, v10
	v_fmac_f32_e32 v12, v26, v39
	;; [unrolled: 17-line block ×4, first 2 shown]
	s_andn2_b32 exec_lo, exec_lo, s0
	s_cbranch_execnz .LBB186_13
; %bb.14:
	s_or_b32 exec_lo, exec_lo, s0
.LBB186_15:
	s_or_b32 exec_lo, exec_lo, s1
.LBB186_16:
	v_mbcnt_lo_u32_b32 v6, -1, 0
	v_or_b32_e32 v7, 32, v6
	v_xor_b32_e32 v13, 16, v6
	v_cmp_gt_i32_e32 vcc_lo, 32, v7
	v_cndmask_b32_e32 v7, v6, v7, vcc_lo
	v_cmp_gt_i32_e32 vcc_lo, 32, v13
	v_lshlrev_b32_e32 v7, 2, v7
	v_cndmask_b32_e32 v13, v6, v13, vcc_lo
	ds_bpermute_b32 v8, v7, v14
	ds_bpermute_b32 v9, v7, v11
	;; [unrolled: 1-line block ×4, first 2 shown]
	v_lshlrev_b32_e32 v13, 2, v13
	s_waitcnt lgkmcnt(3)
	v_add_f32_e32 v8, v14, v8
	s_waitcnt lgkmcnt(2)
	v_add_f32_e32 v9, v11, v9
	s_waitcnt lgkmcnt(1)
	v_add_f32_e32 v10, v15, v10
	s_waitcnt lgkmcnt(0)
	v_add_f32_e32 v7, v12, v7
	v_xor_b32_e32 v15, 8, v6
	ds_bpermute_b32 v11, v13, v8
	ds_bpermute_b32 v12, v13, v9
	;; [unrolled: 1-line block ×4, first 2 shown]
	v_cmp_gt_i32_e32 vcc_lo, 32, v15
	v_cndmask_b32_e32 v15, v6, v15, vcc_lo
	v_lshlrev_b32_e32 v15, 2, v15
	s_waitcnt lgkmcnt(3)
	v_add_f32_e32 v8, v8, v11
	s_waitcnt lgkmcnt(2)
	v_add_f32_e32 v9, v9, v12
	s_waitcnt lgkmcnt(1)
	v_add_f32_e32 v10, v10, v14
	s_waitcnt lgkmcnt(0)
	v_add_f32_e32 v7, v7, v13
	ds_bpermute_b32 v11, v15, v8
	ds_bpermute_b32 v12, v15, v9
	ds_bpermute_b32 v13, v15, v10
	ds_bpermute_b32 v14, v15, v7
	v_xor_b32_e32 v15, 4, v6
	v_cmp_gt_i32_e32 vcc_lo, 32, v15
	v_cndmask_b32_e32 v15, v6, v15, vcc_lo
	v_lshlrev_b32_e32 v15, 2, v15
	s_waitcnt lgkmcnt(3)
	v_add_f32_e32 v8, v8, v11
	s_waitcnt lgkmcnt(2)
	v_add_f32_e32 v9, v9, v12
	s_waitcnt lgkmcnt(1)
	v_add_f32_e32 v10, v10, v13
	s_waitcnt lgkmcnt(0)
	v_add_f32_e32 v7, v7, v14
	ds_bpermute_b32 v11, v15, v8
	ds_bpermute_b32 v12, v15, v9
	ds_bpermute_b32 v13, v15, v10
	ds_bpermute_b32 v14, v15, v7
	v_xor_b32_e32 v15, 2, v6
	;; [unrolled: 16-line block ×3, first 2 shown]
	v_cmp_gt_i32_e32 vcc_lo, 32, v15
	v_cndmask_b32_e32 v6, v6, v15, vcc_lo
	v_cmp_eq_u32_e32 vcc_lo, 63, v0
	v_lshlrev_b32_e32 v15, 2, v6
	s_waitcnt lgkmcnt(3)
	v_add_f32_e32 v8, v8, v11
	s_waitcnt lgkmcnt(2)
	v_add_f32_e32 v9, v9, v12
	;; [unrolled: 2-line block ×4, first 2 shown]
	ds_bpermute_b32 v12, v15, v8
	ds_bpermute_b32 v13, v15, v9
	ds_bpermute_b32 v10, v15, v6
	ds_bpermute_b32 v11, v15, v7
	s_and_b32 exec_lo, exec_lo, vcc_lo
	s_cbranch_execz .LBB186_21
; %bb.17:
	s_load_dwordx2 s[2:3], s[4:5], 0x38
	v_cmp_eq_f32_e32 vcc_lo, 0, v3
	v_cmp_eq_f32_e64 s0, 0, v4
	s_waitcnt lgkmcnt(0)
	v_add_f32_e32 v0, v8, v12
	v_add_f32_e32 v8, v9, v13
	;; [unrolled: 1-line block ×4, first 2 shown]
	s_and_b32 s0, vcc_lo, s0
	s_and_saveexec_b32 s1, s0
	s_xor_b32 s0, exec_lo, s1
	s_cbranch_execz .LBB186_19
; %bb.18:
	v_lshlrev_b32_e32 v3, 1, v5
	v_mul_f32_e64 v9, v8, -v2
	v_mul_f32_e32 v10, v1, v8
	v_mul_f32_e64 v11, v7, -v2
	v_mul_f32_e32 v12, v1, v7
	v_ashrrev_i32_e32 v4, 31, v3
	v_fmac_f32_e32 v9, v1, v0
	v_fmac_f32_e32 v10, v2, v0
	;; [unrolled: 1-line block ×4, first 2 shown]
	v_lshlrev_b64 v[3:4], 3, v[3:4]
                                        ; implicit-def: $vgpr5
                                        ; implicit-def: $vgpr8
                                        ; implicit-def: $vgpr7
                                        ; implicit-def: $vgpr6
	v_add_co_u32 v0, vcc_lo, s2, v3
	v_add_co_ci_u32_e64 v1, null, s3, v4, vcc_lo
                                        ; implicit-def: $vgpr3_vgpr4
	global_store_dwordx4 v[0:1], v[9:12], off
                                        ; implicit-def: $vgpr1_vgpr2
                                        ; implicit-def: $vgpr0
.LBB186_19:
	s_andn2_saveexec_b32 s0, s0
	s_cbranch_execz .LBB186_21
; %bb.20:
	v_lshlrev_b32_e32 v9, 1, v5
	v_mul_f32_e64 v5, v8, -v2
	v_mul_f32_e32 v14, v1, v8
	v_mul_f32_e64 v8, v7, -v2
	v_mul_f32_e32 v16, v1, v7
	v_ashrrev_i32_e32 v10, 31, v9
	v_fmac_f32_e32 v5, v1, v0
	v_fmac_f32_e32 v14, v2, v0
	;; [unrolled: 1-line block ×4, first 2 shown]
	v_lshlrev_b64 v[9:10], 3, v[9:10]
	v_add_co_u32 v17, vcc_lo, s2, v9
	v_add_co_ci_u32_e64 v18, null, s3, v10, vcc_lo
	global_load_dwordx4 v[9:12], v[17:18], off
	s_waitcnt vmcnt(0)
	v_fmac_f32_e32 v5, v3, v9
	v_fmac_f32_e32 v14, v4, v9
	v_fmac_f32_e32 v8, v3, v11
	v_fmac_f32_e32 v16, v4, v11
	v_fma_f32 v13, -v4, v10, v5
	v_fmac_f32_e32 v14, v3, v10
	v_fma_f32 v15, -v4, v12, v8
	v_fmac_f32_e32 v16, v3, v12
	global_store_dwordx4 v[17:18], v[13:16], off
.LBB186_21:
	s_endpgm
	.section	.rodata,"a",@progbits
	.p2align	6, 0x0
	.amdhsa_kernel _ZN9rocsparseL19gebsrmvn_2xn_kernelILj128ELj8ELj64E21rocsparse_complex_numIfEEEvi20rocsparse_direction_NS_24const_host_device_scalarIT2_EEPKiS8_PKS5_SA_S6_PS5_21rocsparse_index_base_b
		.amdhsa_group_segment_fixed_size 0
		.amdhsa_private_segment_fixed_size 0
		.amdhsa_kernarg_size 72
		.amdhsa_user_sgpr_count 6
		.amdhsa_user_sgpr_private_segment_buffer 1
		.amdhsa_user_sgpr_dispatch_ptr 0
		.amdhsa_user_sgpr_queue_ptr 0
		.amdhsa_user_sgpr_kernarg_segment_ptr 1
		.amdhsa_user_sgpr_dispatch_id 0
		.amdhsa_user_sgpr_flat_scratch_init 0
		.amdhsa_user_sgpr_private_segment_size 0
		.amdhsa_wavefront_size32 1
		.amdhsa_uses_dynamic_stack 0
		.amdhsa_system_sgpr_private_segment_wavefront_offset 0
		.amdhsa_system_sgpr_workgroup_id_x 1
		.amdhsa_system_sgpr_workgroup_id_y 0
		.amdhsa_system_sgpr_workgroup_id_z 0
		.amdhsa_system_sgpr_workgroup_info 0
		.amdhsa_system_vgpr_workitem_id 0
		.amdhsa_next_free_vgpr 64
		.amdhsa_next_free_sgpr 16
		.amdhsa_reserve_vcc 1
		.amdhsa_reserve_flat_scratch 0
		.amdhsa_float_round_mode_32 0
		.amdhsa_float_round_mode_16_64 0
		.amdhsa_float_denorm_mode_32 3
		.amdhsa_float_denorm_mode_16_64 3
		.amdhsa_dx10_clamp 1
		.amdhsa_ieee_mode 1
		.amdhsa_fp16_overflow 0
		.amdhsa_workgroup_processor_mode 1
		.amdhsa_memory_ordered 1
		.amdhsa_forward_progress 1
		.amdhsa_shared_vgpr_count 0
		.amdhsa_exception_fp_ieee_invalid_op 0
		.amdhsa_exception_fp_denorm_src 0
		.amdhsa_exception_fp_ieee_div_zero 0
		.amdhsa_exception_fp_ieee_overflow 0
		.amdhsa_exception_fp_ieee_underflow 0
		.amdhsa_exception_fp_ieee_inexact 0
		.amdhsa_exception_int_div_zero 0
	.end_amdhsa_kernel
	.section	.text._ZN9rocsparseL19gebsrmvn_2xn_kernelILj128ELj8ELj64E21rocsparse_complex_numIfEEEvi20rocsparse_direction_NS_24const_host_device_scalarIT2_EEPKiS8_PKS5_SA_S6_PS5_21rocsparse_index_base_b,"axG",@progbits,_ZN9rocsparseL19gebsrmvn_2xn_kernelILj128ELj8ELj64E21rocsparse_complex_numIfEEEvi20rocsparse_direction_NS_24const_host_device_scalarIT2_EEPKiS8_PKS5_SA_S6_PS5_21rocsparse_index_base_b,comdat
.Lfunc_end186:
	.size	_ZN9rocsparseL19gebsrmvn_2xn_kernelILj128ELj8ELj64E21rocsparse_complex_numIfEEEvi20rocsparse_direction_NS_24const_host_device_scalarIT2_EEPKiS8_PKS5_SA_S6_PS5_21rocsparse_index_base_b, .Lfunc_end186-_ZN9rocsparseL19gebsrmvn_2xn_kernelILj128ELj8ELj64E21rocsparse_complex_numIfEEEvi20rocsparse_direction_NS_24const_host_device_scalarIT2_EEPKiS8_PKS5_SA_S6_PS5_21rocsparse_index_base_b
                                        ; -- End function
	.set _ZN9rocsparseL19gebsrmvn_2xn_kernelILj128ELj8ELj64E21rocsparse_complex_numIfEEEvi20rocsparse_direction_NS_24const_host_device_scalarIT2_EEPKiS8_PKS5_SA_S6_PS5_21rocsparse_index_base_b.num_vgpr, 64
	.set _ZN9rocsparseL19gebsrmvn_2xn_kernelILj128ELj8ELj64E21rocsparse_complex_numIfEEEvi20rocsparse_direction_NS_24const_host_device_scalarIT2_EEPKiS8_PKS5_SA_S6_PS5_21rocsparse_index_base_b.num_agpr, 0
	.set _ZN9rocsparseL19gebsrmvn_2xn_kernelILj128ELj8ELj64E21rocsparse_complex_numIfEEEvi20rocsparse_direction_NS_24const_host_device_scalarIT2_EEPKiS8_PKS5_SA_S6_PS5_21rocsparse_index_base_b.numbered_sgpr, 16
	.set _ZN9rocsparseL19gebsrmvn_2xn_kernelILj128ELj8ELj64E21rocsparse_complex_numIfEEEvi20rocsparse_direction_NS_24const_host_device_scalarIT2_EEPKiS8_PKS5_SA_S6_PS5_21rocsparse_index_base_b.num_named_barrier, 0
	.set _ZN9rocsparseL19gebsrmvn_2xn_kernelILj128ELj8ELj64E21rocsparse_complex_numIfEEEvi20rocsparse_direction_NS_24const_host_device_scalarIT2_EEPKiS8_PKS5_SA_S6_PS5_21rocsparse_index_base_b.private_seg_size, 0
	.set _ZN9rocsparseL19gebsrmvn_2xn_kernelILj128ELj8ELj64E21rocsparse_complex_numIfEEEvi20rocsparse_direction_NS_24const_host_device_scalarIT2_EEPKiS8_PKS5_SA_S6_PS5_21rocsparse_index_base_b.uses_vcc, 1
	.set _ZN9rocsparseL19gebsrmvn_2xn_kernelILj128ELj8ELj64E21rocsparse_complex_numIfEEEvi20rocsparse_direction_NS_24const_host_device_scalarIT2_EEPKiS8_PKS5_SA_S6_PS5_21rocsparse_index_base_b.uses_flat_scratch, 0
	.set _ZN9rocsparseL19gebsrmvn_2xn_kernelILj128ELj8ELj64E21rocsparse_complex_numIfEEEvi20rocsparse_direction_NS_24const_host_device_scalarIT2_EEPKiS8_PKS5_SA_S6_PS5_21rocsparse_index_base_b.has_dyn_sized_stack, 0
	.set _ZN9rocsparseL19gebsrmvn_2xn_kernelILj128ELj8ELj64E21rocsparse_complex_numIfEEEvi20rocsparse_direction_NS_24const_host_device_scalarIT2_EEPKiS8_PKS5_SA_S6_PS5_21rocsparse_index_base_b.has_recursion, 0
	.set _ZN9rocsparseL19gebsrmvn_2xn_kernelILj128ELj8ELj64E21rocsparse_complex_numIfEEEvi20rocsparse_direction_NS_24const_host_device_scalarIT2_EEPKiS8_PKS5_SA_S6_PS5_21rocsparse_index_base_b.has_indirect_call, 0
	.section	.AMDGPU.csdata,"",@progbits
; Kernel info:
; codeLenInByte = 2328
; TotalNumSgprs: 18
; NumVgprs: 64
; ScratchSize: 0
; MemoryBound: 0
; FloatMode: 240
; IeeeMode: 1
; LDSByteSize: 0 bytes/workgroup (compile time only)
; SGPRBlocks: 0
; VGPRBlocks: 7
; NumSGPRsForWavesPerEU: 18
; NumVGPRsForWavesPerEU: 64
; Occupancy: 16
; WaveLimiterHint : 1
; COMPUTE_PGM_RSRC2:SCRATCH_EN: 0
; COMPUTE_PGM_RSRC2:USER_SGPR: 6
; COMPUTE_PGM_RSRC2:TRAP_HANDLER: 0
; COMPUTE_PGM_RSRC2:TGID_X_EN: 1
; COMPUTE_PGM_RSRC2:TGID_Y_EN: 0
; COMPUTE_PGM_RSRC2:TGID_Z_EN: 0
; COMPUTE_PGM_RSRC2:TIDIG_COMP_CNT: 0
	.section	.text._ZN9rocsparseL19gebsrmvn_2xn_kernelILj128ELj9ELj4E21rocsparse_complex_numIfEEEvi20rocsparse_direction_NS_24const_host_device_scalarIT2_EEPKiS8_PKS5_SA_S6_PS5_21rocsparse_index_base_b,"axG",@progbits,_ZN9rocsparseL19gebsrmvn_2xn_kernelILj128ELj9ELj4E21rocsparse_complex_numIfEEEvi20rocsparse_direction_NS_24const_host_device_scalarIT2_EEPKiS8_PKS5_SA_S6_PS5_21rocsparse_index_base_b,comdat
	.globl	_ZN9rocsparseL19gebsrmvn_2xn_kernelILj128ELj9ELj4E21rocsparse_complex_numIfEEEvi20rocsparse_direction_NS_24const_host_device_scalarIT2_EEPKiS8_PKS5_SA_S6_PS5_21rocsparse_index_base_b ; -- Begin function _ZN9rocsparseL19gebsrmvn_2xn_kernelILj128ELj9ELj4E21rocsparse_complex_numIfEEEvi20rocsparse_direction_NS_24const_host_device_scalarIT2_EEPKiS8_PKS5_SA_S6_PS5_21rocsparse_index_base_b
	.p2align	8
	.type	_ZN9rocsparseL19gebsrmvn_2xn_kernelILj128ELj9ELj4E21rocsparse_complex_numIfEEEvi20rocsparse_direction_NS_24const_host_device_scalarIT2_EEPKiS8_PKS5_SA_S6_PS5_21rocsparse_index_base_b,@function
_ZN9rocsparseL19gebsrmvn_2xn_kernelILj128ELj9ELj4E21rocsparse_complex_numIfEEEvi20rocsparse_direction_NS_24const_host_device_scalarIT2_EEPKiS8_PKS5_SA_S6_PS5_21rocsparse_index_base_b: ; @_ZN9rocsparseL19gebsrmvn_2xn_kernelILj128ELj9ELj4E21rocsparse_complex_numIfEEEvi20rocsparse_direction_NS_24const_host_device_scalarIT2_EEPKiS8_PKS5_SA_S6_PS5_21rocsparse_index_base_b
; %bb.0:
	s_clause 0x2
	s_load_dwordx2 s[2:3], s[4:5], 0x40
	s_load_dwordx2 s[0:1], s[4:5], 0x8
	;; [unrolled: 1-line block ×3, first 2 shown]
	s_add_u32 s7, s4, 8
	s_addc_u32 s10, s5, 0
	s_add_u32 s11, s4, 48
	s_addc_u32 s12, s5, 0
	s_waitcnt lgkmcnt(0)
	s_bitcmp1_b32 s3, 0
	s_cselect_b32 s0, s7, s0
	s_cselect_b32 s1, s10, s1
	v_mov_b32_e32 v1, s0
	v_mov_b32_e32 v2, s1
	s_cselect_b32 s0, s11, s8
	s_cselect_b32 s1, s12, s9
	v_mov_b32_e32 v3, s0
	v_mov_b32_e32 v4, s1
	flat_load_dwordx2 v[1:2], v[1:2]
	flat_load_dwordx2 v[3:4], v[3:4]
	s_waitcnt vmcnt(1) lgkmcnt(1)
	v_cmp_eq_f32_e32 vcc_lo, 0, v1
	v_cmp_eq_f32_e64 s0, 0, v2
	s_and_b32 s3, vcc_lo, s0
	s_mov_b32 s0, -1
	s_and_saveexec_b32 s1, s3
	s_cbranch_execz .LBB187_2
; %bb.1:
	s_waitcnt vmcnt(0) lgkmcnt(0)
	v_cmp_neq_f32_e32 vcc_lo, 1.0, v3
	v_cmp_neq_f32_e64 s0, 0, v4
	s_or_b32 s0, vcc_lo, s0
	s_orn2_b32 s0, s0, exec_lo
.LBB187_2:
	s_or_b32 exec_lo, exec_lo, s1
	s_and_saveexec_b32 s1, s0
	s_cbranch_execz .LBB187_21
; %bb.3:
	s_load_dwordx2 s[0:1], s[4:5], 0x0
	v_lshrrev_b32_e32 v5, 2, v0
	v_lshl_or_b32 v5, s6, 5, v5
	s_waitcnt lgkmcnt(0)
	v_cmp_gt_i32_e32 vcc_lo, s0, v5
	s_and_b32 exec_lo, exec_lo, vcc_lo
	s_cbranch_execz .LBB187_21
; %bb.4:
	s_load_dwordx8 s[8:15], s[4:5], 0x10
	v_ashrrev_i32_e32 v6, 31, v5
	v_and_b32_e32 v0, 3, v0
	s_cmp_lg_u32 s1, 0
	v_lshlrev_b64 v[6:7], 2, v[5:6]
	s_waitcnt lgkmcnt(0)
	v_add_co_u32 v6, vcc_lo, s8, v6
	v_add_co_ci_u32_e64 v7, null, s9, v7, vcc_lo
	global_load_dwordx2 v[6:7], v[6:7], off
	s_waitcnt vmcnt(0)
	v_subrev_nc_u32_e32 v6, s2, v6
	v_subrev_nc_u32_e32 v16, s2, v7
	v_add_nc_u32_e32 v6, v6, v0
	v_cmp_lt_i32_e64 s0, v6, v16
	s_cbranch_scc0 .LBB187_10
; %bb.5:
	v_mov_b32_e32 v14, 0
	v_mov_b32_e32 v17, 0
	;; [unrolled: 1-line block ×4, first 2 shown]
	s_and_saveexec_b32 s1, s0
	s_cbranch_execz .LBB187_9
; %bb.6:
	v_mad_u64_u32 v[7:8], null, v6, 18, 16
	v_mov_b32_e32 v10, 0
	v_mov_b32_e32 v11, v6
	;; [unrolled: 1-line block ×6, first 2 shown]
	s_mov_b32 s3, 0
.LBB187_7:                              ; =>This Inner Loop Header: Depth=1
	v_ashrrev_i32_e32 v12, 31, v11
	v_mov_b32_e32 v13, v10
	v_lshlrev_b64 v[8:9], 2, v[11:12]
	v_add_nc_u32_e32 v11, 4, v11
	v_add_co_u32 v8, vcc_lo, s10, v8
	v_add_co_ci_u32_e64 v9, null, s11, v9, vcc_lo
	global_load_dword v12, v[8:9], off
	v_add_nc_u32_e32 v9, -16, v7
	v_mov_b32_e32 v8, v10
	v_lshlrev_b64 v[19:20], 3, v[9:10]
	v_add_nc_u32_e32 v9, -14, v7
	v_lshlrev_b64 v[21:22], 3, v[7:8]
	v_lshlrev_b64 v[8:9], 3, v[9:10]
	v_add_co_u32 v19, vcc_lo, s12, v19
	v_add_co_ci_u32_e64 v20, null, s13, v20, vcc_lo
	v_add_co_u32 v51, vcc_lo, s12, v21
	v_add_co_ci_u32_e64 v52, null, s13, v22, vcc_lo
	;; [unrolled: 2-line block ×3, first 2 shown]
	s_clause 0x1
	global_load_dwordx4 v[19:22], v[19:20], off
	global_load_dwordx4 v[23:26], v[8:9], off
	s_waitcnt vmcnt(2)
	v_subrev_nc_u32_e32 v8, s2, v12
	v_lshl_add_u32 v12, v8, 3, v8
	v_lshlrev_b64 v[27:28], 3, v[12:13]
	v_add_nc_u32_e32 v9, 1, v12
	v_lshlrev_b64 v[29:30], 3, v[9:10]
	v_add_co_u32 v27, vcc_lo, s14, v27
	v_add_co_ci_u32_e64 v28, null, s15, v28, vcc_lo
	v_add_nc_u32_e32 v9, -12, v7
	v_add_co_u32 v29, vcc_lo, s14, v29
	global_load_dwordx2 v[55:56], v[27:28], off
	v_add_co_ci_u32_e64 v30, null, s15, v30, vcc_lo
	v_lshlrev_b64 v[31:32], 3, v[9:10]
	v_add_nc_u32_e32 v9, 2, v12
	global_load_dwordx2 v[57:58], v[29:30], off
	v_lshlrev_b64 v[27:28], 3, v[9:10]
	v_add_nc_u32_e32 v9, -10, v7
	v_add_co_u32 v29, vcc_lo, s12, v31
	v_add_co_ci_u32_e64 v30, null, s13, v32, vcc_lo
	v_lshlrev_b64 v[31:32], 3, v[9:10]
	v_add_nc_u32_e32 v9, 3, v12
	v_add_co_u32 v33, vcc_lo, s14, v27
	v_add_co_ci_u32_e64 v34, null, s15, v28, vcc_lo
	v_lshlrev_b64 v[35:36], 3, v[9:10]
	v_add_nc_u32_e32 v9, -8, v7
	global_load_dwordx4 v[27:30], v[29:30], off
	global_load_dwordx2 v[59:60], v[33:34], off
	v_add_co_u32 v31, vcc_lo, s12, v31
	v_lshlrev_b64 v[37:38], 3, v[9:10]
	v_add_nc_u32_e32 v9, 4, v12
	v_add_co_ci_u32_e64 v32, null, s13, v32, vcc_lo
	v_add_co_u32 v35, vcc_lo, s14, v35
	v_add_co_ci_u32_e64 v36, null, s15, v36, vcc_lo
	v_lshlrev_b64 v[39:40], 3, v[9:10]
	v_add_nc_u32_e32 v9, -6, v7
	global_load_dwordx2 v[61:62], v[35:36], off
	global_load_dwordx4 v[31:34], v[31:32], off
	v_add_co_u32 v35, vcc_lo, s12, v37
	v_lshlrev_b64 v[41:42], 3, v[9:10]
	v_add_nc_u32_e32 v9, 5, v12
	v_add_co_ci_u32_e64 v36, null, s13, v38, vcc_lo
	v_add_co_u32 v39, vcc_lo, s14, v39
	v_add_co_ci_u32_e64 v40, null, s15, v40, vcc_lo
	v_lshlrev_b64 v[43:44], 3, v[9:10]
	v_add_nc_u32_e32 v9, -4, v7
	global_load_dwordx4 v[35:38], v[35:36], off
	global_load_dwordx2 v[63:64], v[39:40], off
	v_add_co_u32 v39, vcc_lo, s12, v41
	v_lshlrev_b64 v[45:46], 3, v[9:10]
	v_add_nc_u32_e32 v9, 6, v12
	v_add_co_ci_u32_e64 v40, null, s13, v42, vcc_lo
	v_add_co_u32 v43, vcc_lo, s14, v43
	v_add_co_ci_u32_e64 v44, null, s15, v44, vcc_lo
	v_lshlrev_b64 v[47:48], 3, v[9:10]
	v_add_nc_u32_e32 v9, -2, v7
	global_load_dwordx4 v[39:42], v[39:40], off
	global_load_dwordx2 v[65:66], v[43:44], off
	v_add_co_u32 v43, vcc_lo, s12, v45
	v_add_co_ci_u32_e64 v44, null, s13, v46, vcc_lo
	v_lshlrev_b64 v[49:50], 3, v[9:10]
	v_add_nc_u32_e32 v9, 7, v12
	v_add_co_u32 v47, vcc_lo, s14, v47
	v_add_co_ci_u32_e64 v48, null, s15, v48, vcc_lo
	v_lshlrev_b64 v[53:54], 3, v[9:10]
	global_load_dwordx4 v[43:46], v[43:44], off
	v_add_nc_u32_e32 v9, 8, v12
	global_load_dwordx2 v[67:68], v[47:48], off
	v_add_co_u32 v12, vcc_lo, s12, v49
	v_add_co_ci_u32_e64 v13, null, s13, v50, vcc_lo
	v_add_co_u32 v53, vcc_lo, s14, v53
	v_add_co_ci_u32_e64 v54, null, s15, v54, vcc_lo
	v_lshlrev_b64 v[8:9], 3, v[9:10]
	global_load_dwordx4 v[47:50], v[12:13], off
	global_load_dwordx2 v[12:13], v[53:54], off
	v_add_nc_u32_e32 v7, 0x48, v7
	v_add_co_u32 v8, vcc_lo, s14, v8
	v_add_co_ci_u32_e64 v9, null, s15, v9, vcc_lo
	global_load_dwordx4 v[51:54], v[51:52], off
	global_load_dwordx2 v[8:9], v[8:9], off
	v_cmp_ge_i32_e32 vcc_lo, v11, v16
	s_or_b32 s3, vcc_lo, s3
	s_waitcnt vmcnt(15)
	v_fmac_f32_e32 v17, v19, v55
	v_fmac_f32_e32 v14, v20, v55
	v_fmac_f32_e32 v18, v21, v55
	v_fmac_f32_e32 v15, v22, v55
	v_fma_f32 v17, -v20, v56, v17
	v_fmac_f32_e32 v14, v19, v56
	v_fma_f32 v18, -v22, v56, v18
	v_fmac_f32_e32 v15, v21, v56
	s_waitcnt vmcnt(14)
	v_fmac_f32_e32 v17, v23, v57
	v_fmac_f32_e32 v14, v24, v57
	v_fmac_f32_e32 v18, v25, v57
	v_fmac_f32_e32 v15, v26, v57
	v_fma_f32 v17, -v24, v58, v17
	v_fmac_f32_e32 v14, v23, v58
	v_fma_f32 v18, -v26, v58, v18
	v_fmac_f32_e32 v15, v25, v58
	;; [unrolled: 9-line block ×9, first 2 shown]
	s_andn2_b32 exec_lo, exec_lo, s3
	s_cbranch_execnz .LBB187_7
; %bb.8:
	s_or_b32 exec_lo, exec_lo, s3
.LBB187_9:
	s_or_b32 exec_lo, exec_lo, s1
	s_cbranch_execz .LBB187_11
	s_branch .LBB187_16
.LBB187_10:
                                        ; implicit-def: $vgpr14
                                        ; implicit-def: $vgpr17
                                        ; implicit-def: $vgpr18
                                        ; implicit-def: $vgpr15
.LBB187_11:
	v_mov_b32_e32 v14, 0
	v_mov_b32_e32 v17, 0
	;; [unrolled: 1-line block ×4, first 2 shown]
	s_and_saveexec_b32 s1, s0
	s_cbranch_execz .LBB187_15
; %bb.12:
	v_mad_u64_u32 v[8:9], null, v6, 18, 17
	v_mov_b32_e32 v11, 0
	v_mov_b32_e32 v14, 0
	;; [unrolled: 1-line block ×5, first 2 shown]
	s_mov_b32 s0, 0
.LBB187_13:                             ; =>This Inner Loop Header: Depth=1
	v_ashrrev_i32_e32 v7, 31, v6
	v_subrev_nc_u32_e32 v10, 17, v8
	v_add_nc_u32_e32 v19, -8, v8
	v_mov_b32_e32 v20, v11
	v_mov_b32_e32 v9, v11
	v_lshlrev_b64 v[21:22], 2, v[6:7]
	v_lshlrev_b64 v[23:24], 3, v[10:11]
	v_mov_b32_e32 v13, v11
	v_lshlrev_b64 v[19:20], 3, v[19:20]
	v_lshlrev_b64 v[9:10], 3, v[8:9]
	v_add_nc_u32_e32 v6, 4, v6
	v_add_co_u32 v21, vcc_lo, s10, v21
	v_add_co_ci_u32_e64 v22, null, s11, v22, vcc_lo
	v_add_co_u32 v23, vcc_lo, s12, v23
	v_add_co_ci_u32_e64 v24, null, s13, v24, vcc_lo
	global_load_dword v7, v[21:22], off
	v_add_co_u32 v19, vcc_lo, s12, v19
	v_add_co_ci_u32_e64 v20, null, s13, v20, vcc_lo
	v_add_co_u32 v25, vcc_lo, s12, v9
	v_add_co_ci_u32_e64 v26, null, s13, v10, vcc_lo
	s_waitcnt vmcnt(0)
	v_subrev_nc_u32_e32 v7, s2, v7
	v_lshl_add_u32 v12, v7, 3, v7
	v_add_nc_u32_e32 v10, 1, v12
	v_lshlrev_b64 v[21:22], 3, v[12:13]
	v_lshlrev_b64 v[27:28], 3, v[10:11]
	v_add_nc_u32_e32 v10, -7, v8
	v_add_co_u32 v21, vcc_lo, s14, v21
	v_add_co_ci_u32_e64 v22, null, s15, v22, vcc_lo
	v_lshlrev_b64 v[29:30], 3, v[10:11]
	v_add_nc_u32_e32 v10, -15, v8
	v_add_co_u32 v27, vcc_lo, s14, v27
	v_add_co_ci_u32_e64 v28, null, s15, v28, vcc_lo
	v_lshlrev_b64 v[31:32], 3, v[10:11]
	v_add_nc_u32_e32 v10, 2, v12
	v_add_co_u32 v29, vcc_lo, s12, v29
	v_add_co_ci_u32_e64 v30, null, s13, v30, vcc_lo
	v_lshlrev_b64 v[33:34], 3, v[10:11]
	v_add_nc_u32_e32 v10, -6, v8
	v_add_co_u32 v31, vcc_lo, s12, v31
	v_add_co_ci_u32_e64 v32, null, s13, v32, vcc_lo
	v_lshlrev_b64 v[35:36], 3, v[10:11]
	v_add_nc_u32_e32 v10, -14, v8
	v_add_co_u32 v33, vcc_lo, s14, v33
	v_add_co_ci_u32_e64 v34, null, s15, v34, vcc_lo
	v_lshlrev_b64 v[37:38], 3, v[10:11]
	v_add_nc_u32_e32 v10, 3, v12
	v_add_co_u32 v35, vcc_lo, s12, v35
	v_add_co_ci_u32_e64 v36, null, s13, v36, vcc_lo
	;; [unrolled: 12-line block ×6, first 2 shown]
	v_lshlrev_b64 v[9:10], 3, v[10:11]
	v_add_co_u32 v61, vcc_lo, s12, v61
	v_add_co_ci_u32_e64 v62, null, s13, v62, vcc_lo
	v_add_co_u32 v63, vcc_lo, s14, v9
	v_add_co_ci_u32_e64 v64, null, s15, v10, vcc_lo
	v_add_nc_u32_e32 v10, -1, v8
	v_lshlrev_b64 v[65:66], 3, v[10:11]
	v_add_nc_u32_e32 v10, -9, v8
	v_add_nc_u32_e32 v8, 0x48, v8
	v_lshlrev_b64 v[67:68], 3, v[10:11]
	v_add_nc_u32_e32 v10, 8, v12
	v_add_co_u32 v12, vcc_lo, s12, v65
	v_add_co_ci_u32_e64 v13, null, s13, v66, vcc_lo
	global_load_dwordx2 v[19:20], v[19:20], off
	global_load_dwordx2 v[65:66], v[21:22], off
	s_waitcnt vmcnt(0)
	v_fmac_f32_e32 v18, v19, v65
	v_fmac_f32_e32 v15, v20, v65
	v_fma_f32 v7, -v20, v66, v18
	v_fmac_f32_e32 v15, v19, v66
	global_load_dwordx4 v[18:21], v[23:24], off
	s_waitcnt vmcnt(0)
	v_fmac_f32_e32 v17, v18, v65
	v_fmac_f32_e32 v14, v19, v65
	v_fma_f32 v9, -v19, v66, v17
	v_fmac_f32_e32 v14, v18, v66
	global_load_dwordx2 v[17:18], v[27:28], off
	s_clause 0x1
	global_load_dwordx2 v[22:23], v[29:30], off
	global_load_dwordx2 v[27:28], v[31:32], off
	global_load_dwordx2 v[29:30], v[33:34], off
	s_clause 0x1
	global_load_dwordx2 v[31:32], v[35:36], off
	global_load_dwordx2 v[33:34], v[37:38], off
	;; [unrolled: 4-line block ×4, first 2 shown]
	global_load_dwordx2 v[45:46], v[49:50], off
	global_load_dwordx2 v[47:48], v[51:52], off
	s_clause 0x1
	global_load_dwordx2 v[49:50], v[53:54], off
	global_load_dwordx2 v[51:52], v[55:56], off
	;; [unrolled: 1-line block ×3, first 2 shown]
	s_clause 0x1
	global_load_dwordx2 v[55:56], v[59:60], off
	global_load_dwordx2 v[57:58], v[61:62], off
	;; [unrolled: 1-line block ×4, first 2 shown]
	v_add_co_u32 v19, vcc_lo, s12, v67
	s_waitcnt vmcnt(20)
	v_fmac_f32_e32 v9, v20, v17
	v_fmac_f32_e32 v14, v21, v17
	s_waitcnt vmcnt(19)
	v_fmac_f32_e32 v7, v22, v17
	v_fmac_f32_e32 v15, v23, v17
	v_fma_f32 v21, -v21, v18, v9
	v_lshlrev_b64 v[9:10], 3, v[10:11]
	v_fmac_f32_e32 v14, v20, v18
	v_add_co_ci_u32_e64 v20, null, s13, v68, vcc_lo
	v_fma_f32 v7, -v23, v18, v7
	v_fmac_f32_e32 v15, v22, v18
	v_add_co_u32 v9, vcc_lo, s14, v9
	v_add_co_ci_u32_e64 v10, null, s15, v10, vcc_lo
	global_load_dwordx2 v[19:20], v[19:20], off
	global_load_dwordx2 v[9:10], v[9:10], off
	s_waitcnt vmcnt(19)
	v_fmac_f32_e32 v21, v27, v29
	v_fmac_f32_e32 v14, v28, v29
	s_waitcnt vmcnt(18)
	v_fmac_f32_e32 v7, v31, v29
	v_fmac_f32_e32 v15, v32, v29
	v_cmp_ge_i32_e32 vcc_lo, v6, v16
	v_fma_f32 v17, -v28, v30, v21
	v_fmac_f32_e32 v14, v27, v30
	v_fma_f32 v7, -v32, v30, v7
	v_fmac_f32_e32 v15, v31, v30
	s_or_b32 s0, vcc_lo, s0
	s_waitcnt vmcnt(16)
	v_fmac_f32_e32 v17, v33, v35
	v_fmac_f32_e32 v14, v34, v35
	s_waitcnt vmcnt(15)
	v_fmac_f32_e32 v7, v37, v35
	v_fmac_f32_e32 v15, v38, v35
	v_fma_f32 v17, -v34, v36, v17
	v_fmac_f32_e32 v14, v33, v36
	v_fma_f32 v7, -v38, v36, v7
	v_fmac_f32_e32 v15, v37, v36
	s_waitcnt vmcnt(13)
	v_fmac_f32_e32 v17, v39, v41
	v_fmac_f32_e32 v14, v40, v41
	s_waitcnt vmcnt(12)
	v_fmac_f32_e32 v7, v43, v41
	v_fmac_f32_e32 v15, v44, v41
	v_fma_f32 v17, -v40, v42, v17
	v_fmac_f32_e32 v14, v39, v42
	v_fma_f32 v7, -v44, v42, v7
	v_fmac_f32_e32 v15, v43, v42
	;; [unrolled: 10-line block ×5, first 2 shown]
	s_waitcnt vmcnt(0)
	v_fmac_f32_e32 v17, v19, v9
	v_fmac_f32_e32 v14, v20, v9
	v_fmac_f32_e32 v7, v24, v9
	v_fmac_f32_e32 v15, v25, v9
	v_fma_f32 v17, -v20, v10, v17
	v_fmac_f32_e32 v14, v19, v10
	v_fma_f32 v18, -v25, v10, v7
	v_fmac_f32_e32 v15, v24, v10
	s_andn2_b32 exec_lo, exec_lo, s0
	s_cbranch_execnz .LBB187_13
; %bb.14:
	s_or_b32 exec_lo, exec_lo, s0
.LBB187_15:
	s_or_b32 exec_lo, exec_lo, s1
.LBB187_16:
	v_mbcnt_lo_u32_b32 v6, -1, 0
	v_xor_b32_e32 v7, 2, v6
	v_xor_b32_e32 v11, 1, v6
	v_cmp_gt_i32_e32 vcc_lo, 32, v7
	v_cndmask_b32_e32 v7, v6, v7, vcc_lo
	v_cmp_gt_i32_e32 vcc_lo, 32, v11
	v_lshlrev_b32_e32 v7, 2, v7
	v_cndmask_b32_e32 v6, v6, v11, vcc_lo
	v_cmp_eq_u32_e32 vcc_lo, 3, v0
	ds_bpermute_b32 v8, v7, v17
	ds_bpermute_b32 v9, v7, v14
	;; [unrolled: 1-line block ×4, first 2 shown]
	v_lshlrev_b32_e32 v11, 2, v6
	s_waitcnt lgkmcnt(3)
	v_add_f32_e32 v8, v17, v8
	s_waitcnt lgkmcnt(2)
	v_add_f32_e32 v9, v14, v9
	;; [unrolled: 2-line block ×4, first 2 shown]
	ds_bpermute_b32 v12, v11, v8
	ds_bpermute_b32 v13, v11, v9
	;; [unrolled: 1-line block ×4, first 2 shown]
	s_and_b32 exec_lo, exec_lo, vcc_lo
	s_cbranch_execz .LBB187_21
; %bb.17:
	s_load_dwordx2 s[2:3], s[4:5], 0x38
	v_cmp_eq_f32_e32 vcc_lo, 0, v3
	v_cmp_eq_f32_e64 s0, 0, v4
	s_waitcnt lgkmcnt(0)
	v_add_f32_e32 v0, v8, v12
	v_add_f32_e32 v8, v9, v13
	;; [unrolled: 1-line block ×4, first 2 shown]
	s_and_b32 s0, vcc_lo, s0
	s_and_saveexec_b32 s1, s0
	s_xor_b32 s0, exec_lo, s1
	s_cbranch_execz .LBB187_19
; %bb.18:
	v_lshlrev_b32_e32 v3, 1, v5
	v_mul_f32_e64 v9, v8, -v2
	v_mul_f32_e32 v10, v1, v8
	v_mul_f32_e64 v11, v7, -v2
	v_mul_f32_e32 v12, v1, v7
	v_ashrrev_i32_e32 v4, 31, v3
	v_fmac_f32_e32 v9, v1, v0
	v_fmac_f32_e32 v10, v2, v0
	v_fmac_f32_e32 v11, v1, v6
	v_fmac_f32_e32 v12, v2, v6
	v_lshlrev_b64 v[3:4], 3, v[3:4]
                                        ; implicit-def: $vgpr5
                                        ; implicit-def: $vgpr8
                                        ; implicit-def: $vgpr7
                                        ; implicit-def: $vgpr6
	v_add_co_u32 v0, vcc_lo, s2, v3
	v_add_co_ci_u32_e64 v1, null, s3, v4, vcc_lo
                                        ; implicit-def: $vgpr3_vgpr4
	global_store_dwordx4 v[0:1], v[9:12], off
                                        ; implicit-def: $vgpr1_vgpr2
                                        ; implicit-def: $vgpr0
.LBB187_19:
	s_andn2_saveexec_b32 s0, s0
	s_cbranch_execz .LBB187_21
; %bb.20:
	v_lshlrev_b32_e32 v9, 1, v5
	v_mul_f32_e64 v5, v8, -v2
	v_mul_f32_e32 v14, v1, v8
	v_mul_f32_e64 v8, v7, -v2
	v_mul_f32_e32 v16, v1, v7
	v_ashrrev_i32_e32 v10, 31, v9
	v_fmac_f32_e32 v5, v1, v0
	v_fmac_f32_e32 v14, v2, v0
	;; [unrolled: 1-line block ×4, first 2 shown]
	v_lshlrev_b64 v[9:10], 3, v[9:10]
	v_add_co_u32 v17, vcc_lo, s2, v9
	v_add_co_ci_u32_e64 v18, null, s3, v10, vcc_lo
	global_load_dwordx4 v[9:12], v[17:18], off
	s_waitcnt vmcnt(0)
	v_fmac_f32_e32 v5, v3, v9
	v_fmac_f32_e32 v14, v4, v9
	;; [unrolled: 1-line block ×4, first 2 shown]
	v_fma_f32 v13, -v4, v10, v5
	v_fmac_f32_e32 v14, v3, v10
	v_fma_f32 v15, -v4, v12, v8
	v_fmac_f32_e32 v16, v3, v12
	global_store_dwordx4 v[17:18], v[13:16], off
.LBB187_21:
	s_endpgm
	.section	.rodata,"a",@progbits
	.p2align	6, 0x0
	.amdhsa_kernel _ZN9rocsparseL19gebsrmvn_2xn_kernelILj128ELj9ELj4E21rocsparse_complex_numIfEEEvi20rocsparse_direction_NS_24const_host_device_scalarIT2_EEPKiS8_PKS5_SA_S6_PS5_21rocsparse_index_base_b
		.amdhsa_group_segment_fixed_size 0
		.amdhsa_private_segment_fixed_size 0
		.amdhsa_kernarg_size 72
		.amdhsa_user_sgpr_count 6
		.amdhsa_user_sgpr_private_segment_buffer 1
		.amdhsa_user_sgpr_dispatch_ptr 0
		.amdhsa_user_sgpr_queue_ptr 0
		.amdhsa_user_sgpr_kernarg_segment_ptr 1
		.amdhsa_user_sgpr_dispatch_id 0
		.amdhsa_user_sgpr_flat_scratch_init 0
		.amdhsa_user_sgpr_private_segment_size 0
		.amdhsa_wavefront_size32 1
		.amdhsa_uses_dynamic_stack 0
		.amdhsa_system_sgpr_private_segment_wavefront_offset 0
		.amdhsa_system_sgpr_workgroup_id_x 1
		.amdhsa_system_sgpr_workgroup_id_y 0
		.amdhsa_system_sgpr_workgroup_id_z 0
		.amdhsa_system_sgpr_workgroup_info 0
		.amdhsa_system_vgpr_workitem_id 0
		.amdhsa_next_free_vgpr 69
		.amdhsa_next_free_sgpr 16
		.amdhsa_reserve_vcc 1
		.amdhsa_reserve_flat_scratch 0
		.amdhsa_float_round_mode_32 0
		.amdhsa_float_round_mode_16_64 0
		.amdhsa_float_denorm_mode_32 3
		.amdhsa_float_denorm_mode_16_64 3
		.amdhsa_dx10_clamp 1
		.amdhsa_ieee_mode 1
		.amdhsa_fp16_overflow 0
		.amdhsa_workgroup_processor_mode 1
		.amdhsa_memory_ordered 1
		.amdhsa_forward_progress 1
		.amdhsa_shared_vgpr_count 0
		.amdhsa_exception_fp_ieee_invalid_op 0
		.amdhsa_exception_fp_denorm_src 0
		.amdhsa_exception_fp_ieee_div_zero 0
		.amdhsa_exception_fp_ieee_overflow 0
		.amdhsa_exception_fp_ieee_underflow 0
		.amdhsa_exception_fp_ieee_inexact 0
		.amdhsa_exception_int_div_zero 0
	.end_amdhsa_kernel
	.section	.text._ZN9rocsparseL19gebsrmvn_2xn_kernelILj128ELj9ELj4E21rocsparse_complex_numIfEEEvi20rocsparse_direction_NS_24const_host_device_scalarIT2_EEPKiS8_PKS5_SA_S6_PS5_21rocsparse_index_base_b,"axG",@progbits,_ZN9rocsparseL19gebsrmvn_2xn_kernelILj128ELj9ELj4E21rocsparse_complex_numIfEEEvi20rocsparse_direction_NS_24const_host_device_scalarIT2_EEPKiS8_PKS5_SA_S6_PS5_21rocsparse_index_base_b,comdat
.Lfunc_end187:
	.size	_ZN9rocsparseL19gebsrmvn_2xn_kernelILj128ELj9ELj4E21rocsparse_complex_numIfEEEvi20rocsparse_direction_NS_24const_host_device_scalarIT2_EEPKiS8_PKS5_SA_S6_PS5_21rocsparse_index_base_b, .Lfunc_end187-_ZN9rocsparseL19gebsrmvn_2xn_kernelILj128ELj9ELj4E21rocsparse_complex_numIfEEEvi20rocsparse_direction_NS_24const_host_device_scalarIT2_EEPKiS8_PKS5_SA_S6_PS5_21rocsparse_index_base_b
                                        ; -- End function
	.set _ZN9rocsparseL19gebsrmvn_2xn_kernelILj128ELj9ELj4E21rocsparse_complex_numIfEEEvi20rocsparse_direction_NS_24const_host_device_scalarIT2_EEPKiS8_PKS5_SA_S6_PS5_21rocsparse_index_base_b.num_vgpr, 69
	.set _ZN9rocsparseL19gebsrmvn_2xn_kernelILj128ELj9ELj4E21rocsparse_complex_numIfEEEvi20rocsparse_direction_NS_24const_host_device_scalarIT2_EEPKiS8_PKS5_SA_S6_PS5_21rocsparse_index_base_b.num_agpr, 0
	.set _ZN9rocsparseL19gebsrmvn_2xn_kernelILj128ELj9ELj4E21rocsparse_complex_numIfEEEvi20rocsparse_direction_NS_24const_host_device_scalarIT2_EEPKiS8_PKS5_SA_S6_PS5_21rocsparse_index_base_b.numbered_sgpr, 16
	.set _ZN9rocsparseL19gebsrmvn_2xn_kernelILj128ELj9ELj4E21rocsparse_complex_numIfEEEvi20rocsparse_direction_NS_24const_host_device_scalarIT2_EEPKiS8_PKS5_SA_S6_PS5_21rocsparse_index_base_b.num_named_barrier, 0
	.set _ZN9rocsparseL19gebsrmvn_2xn_kernelILj128ELj9ELj4E21rocsparse_complex_numIfEEEvi20rocsparse_direction_NS_24const_host_device_scalarIT2_EEPKiS8_PKS5_SA_S6_PS5_21rocsparse_index_base_b.private_seg_size, 0
	.set _ZN9rocsparseL19gebsrmvn_2xn_kernelILj128ELj9ELj4E21rocsparse_complex_numIfEEEvi20rocsparse_direction_NS_24const_host_device_scalarIT2_EEPKiS8_PKS5_SA_S6_PS5_21rocsparse_index_base_b.uses_vcc, 1
	.set _ZN9rocsparseL19gebsrmvn_2xn_kernelILj128ELj9ELj4E21rocsparse_complex_numIfEEEvi20rocsparse_direction_NS_24const_host_device_scalarIT2_EEPKiS8_PKS5_SA_S6_PS5_21rocsparse_index_base_b.uses_flat_scratch, 0
	.set _ZN9rocsparseL19gebsrmvn_2xn_kernelILj128ELj9ELj4E21rocsparse_complex_numIfEEEvi20rocsparse_direction_NS_24const_host_device_scalarIT2_EEPKiS8_PKS5_SA_S6_PS5_21rocsparse_index_base_b.has_dyn_sized_stack, 0
	.set _ZN9rocsparseL19gebsrmvn_2xn_kernelILj128ELj9ELj4E21rocsparse_complex_numIfEEEvi20rocsparse_direction_NS_24const_host_device_scalarIT2_EEPKiS8_PKS5_SA_S6_PS5_21rocsparse_index_base_b.has_recursion, 0
	.set _ZN9rocsparseL19gebsrmvn_2xn_kernelILj128ELj9ELj4E21rocsparse_complex_numIfEEEvi20rocsparse_direction_NS_24const_host_device_scalarIT2_EEPKiS8_PKS5_SA_S6_PS5_21rocsparse_index_base_b.has_indirect_call, 0
	.section	.AMDGPU.csdata,"",@progbits
; Kernel info:
; codeLenInByte = 3456
; TotalNumSgprs: 18
; NumVgprs: 69
; ScratchSize: 0
; MemoryBound: 0
; FloatMode: 240
; IeeeMode: 1
; LDSByteSize: 0 bytes/workgroup (compile time only)
; SGPRBlocks: 0
; VGPRBlocks: 8
; NumSGPRsForWavesPerEU: 18
; NumVGPRsForWavesPerEU: 69
; Occupancy: 12
; WaveLimiterHint : 1
; COMPUTE_PGM_RSRC2:SCRATCH_EN: 0
; COMPUTE_PGM_RSRC2:USER_SGPR: 6
; COMPUTE_PGM_RSRC2:TRAP_HANDLER: 0
; COMPUTE_PGM_RSRC2:TGID_X_EN: 1
; COMPUTE_PGM_RSRC2:TGID_Y_EN: 0
; COMPUTE_PGM_RSRC2:TGID_Z_EN: 0
; COMPUTE_PGM_RSRC2:TIDIG_COMP_CNT: 0
	.section	.text._ZN9rocsparseL19gebsrmvn_2xn_kernelILj128ELj9ELj8E21rocsparse_complex_numIfEEEvi20rocsparse_direction_NS_24const_host_device_scalarIT2_EEPKiS8_PKS5_SA_S6_PS5_21rocsparse_index_base_b,"axG",@progbits,_ZN9rocsparseL19gebsrmvn_2xn_kernelILj128ELj9ELj8E21rocsparse_complex_numIfEEEvi20rocsparse_direction_NS_24const_host_device_scalarIT2_EEPKiS8_PKS5_SA_S6_PS5_21rocsparse_index_base_b,comdat
	.globl	_ZN9rocsparseL19gebsrmvn_2xn_kernelILj128ELj9ELj8E21rocsparse_complex_numIfEEEvi20rocsparse_direction_NS_24const_host_device_scalarIT2_EEPKiS8_PKS5_SA_S6_PS5_21rocsparse_index_base_b ; -- Begin function _ZN9rocsparseL19gebsrmvn_2xn_kernelILj128ELj9ELj8E21rocsparse_complex_numIfEEEvi20rocsparse_direction_NS_24const_host_device_scalarIT2_EEPKiS8_PKS5_SA_S6_PS5_21rocsparse_index_base_b
	.p2align	8
	.type	_ZN9rocsparseL19gebsrmvn_2xn_kernelILj128ELj9ELj8E21rocsparse_complex_numIfEEEvi20rocsparse_direction_NS_24const_host_device_scalarIT2_EEPKiS8_PKS5_SA_S6_PS5_21rocsparse_index_base_b,@function
_ZN9rocsparseL19gebsrmvn_2xn_kernelILj128ELj9ELj8E21rocsparse_complex_numIfEEEvi20rocsparse_direction_NS_24const_host_device_scalarIT2_EEPKiS8_PKS5_SA_S6_PS5_21rocsparse_index_base_b: ; @_ZN9rocsparseL19gebsrmvn_2xn_kernelILj128ELj9ELj8E21rocsparse_complex_numIfEEEvi20rocsparse_direction_NS_24const_host_device_scalarIT2_EEPKiS8_PKS5_SA_S6_PS5_21rocsparse_index_base_b
; %bb.0:
	s_clause 0x2
	s_load_dwordx2 s[2:3], s[4:5], 0x40
	s_load_dwordx2 s[0:1], s[4:5], 0x8
	s_load_dwordx2 s[8:9], s[4:5], 0x30
	s_add_u32 s7, s4, 8
	s_addc_u32 s10, s5, 0
	s_add_u32 s11, s4, 48
	s_addc_u32 s12, s5, 0
	s_waitcnt lgkmcnt(0)
	s_bitcmp1_b32 s3, 0
	s_cselect_b32 s0, s7, s0
	s_cselect_b32 s1, s10, s1
	v_mov_b32_e32 v1, s0
	v_mov_b32_e32 v2, s1
	s_cselect_b32 s0, s11, s8
	s_cselect_b32 s1, s12, s9
	v_mov_b32_e32 v3, s0
	v_mov_b32_e32 v4, s1
	flat_load_dwordx2 v[1:2], v[1:2]
	flat_load_dwordx2 v[3:4], v[3:4]
	s_waitcnt vmcnt(1) lgkmcnt(1)
	v_cmp_eq_f32_e32 vcc_lo, 0, v1
	v_cmp_eq_f32_e64 s0, 0, v2
	s_and_b32 s3, vcc_lo, s0
	s_mov_b32 s0, -1
	s_and_saveexec_b32 s1, s3
	s_cbranch_execz .LBB188_2
; %bb.1:
	s_waitcnt vmcnt(0) lgkmcnt(0)
	v_cmp_neq_f32_e32 vcc_lo, 1.0, v3
	v_cmp_neq_f32_e64 s0, 0, v4
	s_or_b32 s0, vcc_lo, s0
	s_orn2_b32 s0, s0, exec_lo
.LBB188_2:
	s_or_b32 exec_lo, exec_lo, s1
	s_and_saveexec_b32 s1, s0
	s_cbranch_execz .LBB188_21
; %bb.3:
	s_load_dwordx2 s[0:1], s[4:5], 0x0
	v_lshrrev_b32_e32 v5, 3, v0
	v_lshl_or_b32 v5, s6, 4, v5
	s_waitcnt lgkmcnt(0)
	v_cmp_gt_i32_e32 vcc_lo, s0, v5
	s_and_b32 exec_lo, exec_lo, vcc_lo
	s_cbranch_execz .LBB188_21
; %bb.4:
	s_load_dwordx8 s[8:15], s[4:5], 0x10
	v_ashrrev_i32_e32 v6, 31, v5
	v_and_b32_e32 v0, 7, v0
	s_cmp_lg_u32 s1, 0
	v_lshlrev_b64 v[6:7], 2, v[5:6]
	s_waitcnt lgkmcnt(0)
	v_add_co_u32 v6, vcc_lo, s8, v6
	v_add_co_ci_u32_e64 v7, null, s9, v7, vcc_lo
	global_load_dwordx2 v[6:7], v[6:7], off
	s_waitcnt vmcnt(0)
	v_subrev_nc_u32_e32 v6, s2, v6
	v_subrev_nc_u32_e32 v16, s2, v7
	v_add_nc_u32_e32 v6, v6, v0
	v_cmp_lt_i32_e64 s0, v6, v16
	s_cbranch_scc0 .LBB188_10
; %bb.5:
	v_mov_b32_e32 v14, 0
	v_mov_b32_e32 v17, 0
	;; [unrolled: 1-line block ×4, first 2 shown]
	s_and_saveexec_b32 s1, s0
	s_cbranch_execz .LBB188_9
; %bb.6:
	v_mad_u64_u32 v[7:8], null, v6, 18, 16
	v_mov_b32_e32 v10, 0
	v_mov_b32_e32 v11, v6
	;; [unrolled: 1-line block ×6, first 2 shown]
	s_mov_b32 s3, 0
.LBB188_7:                              ; =>This Inner Loop Header: Depth=1
	v_ashrrev_i32_e32 v12, 31, v11
	v_mov_b32_e32 v13, v10
	v_lshlrev_b64 v[8:9], 2, v[11:12]
	v_add_nc_u32_e32 v11, 8, v11
	v_add_co_u32 v8, vcc_lo, s10, v8
	v_add_co_ci_u32_e64 v9, null, s11, v9, vcc_lo
	global_load_dword v12, v[8:9], off
	v_add_nc_u32_e32 v9, -16, v7
	v_mov_b32_e32 v8, v10
	v_lshlrev_b64 v[19:20], 3, v[9:10]
	v_add_nc_u32_e32 v9, -14, v7
	v_lshlrev_b64 v[21:22], 3, v[7:8]
	v_lshlrev_b64 v[8:9], 3, v[9:10]
	v_add_co_u32 v19, vcc_lo, s12, v19
	v_add_co_ci_u32_e64 v20, null, s13, v20, vcc_lo
	v_add_co_u32 v51, vcc_lo, s12, v21
	v_add_co_ci_u32_e64 v52, null, s13, v22, vcc_lo
	;; [unrolled: 2-line block ×3, first 2 shown]
	s_clause 0x1
	global_load_dwordx4 v[19:22], v[19:20], off
	global_load_dwordx4 v[23:26], v[8:9], off
	s_waitcnt vmcnt(2)
	v_subrev_nc_u32_e32 v8, s2, v12
	v_lshl_add_u32 v12, v8, 3, v8
	v_lshlrev_b64 v[27:28], 3, v[12:13]
	v_add_nc_u32_e32 v9, 1, v12
	v_lshlrev_b64 v[29:30], 3, v[9:10]
	v_add_co_u32 v27, vcc_lo, s14, v27
	v_add_co_ci_u32_e64 v28, null, s15, v28, vcc_lo
	v_add_nc_u32_e32 v9, -12, v7
	v_add_co_u32 v29, vcc_lo, s14, v29
	global_load_dwordx2 v[55:56], v[27:28], off
	v_add_co_ci_u32_e64 v30, null, s15, v30, vcc_lo
	v_lshlrev_b64 v[31:32], 3, v[9:10]
	v_add_nc_u32_e32 v9, 2, v12
	global_load_dwordx2 v[57:58], v[29:30], off
	v_lshlrev_b64 v[27:28], 3, v[9:10]
	v_add_nc_u32_e32 v9, -10, v7
	v_add_co_u32 v29, vcc_lo, s12, v31
	v_add_co_ci_u32_e64 v30, null, s13, v32, vcc_lo
	v_lshlrev_b64 v[31:32], 3, v[9:10]
	v_add_nc_u32_e32 v9, 3, v12
	v_add_co_u32 v33, vcc_lo, s14, v27
	v_add_co_ci_u32_e64 v34, null, s15, v28, vcc_lo
	v_lshlrev_b64 v[35:36], 3, v[9:10]
	v_add_nc_u32_e32 v9, -8, v7
	global_load_dwordx4 v[27:30], v[29:30], off
	global_load_dwordx2 v[59:60], v[33:34], off
	v_add_co_u32 v31, vcc_lo, s12, v31
	v_lshlrev_b64 v[37:38], 3, v[9:10]
	v_add_nc_u32_e32 v9, 4, v12
	v_add_co_ci_u32_e64 v32, null, s13, v32, vcc_lo
	v_add_co_u32 v35, vcc_lo, s14, v35
	v_add_co_ci_u32_e64 v36, null, s15, v36, vcc_lo
	v_lshlrev_b64 v[39:40], 3, v[9:10]
	v_add_nc_u32_e32 v9, -6, v7
	global_load_dwordx2 v[61:62], v[35:36], off
	global_load_dwordx4 v[31:34], v[31:32], off
	v_add_co_u32 v35, vcc_lo, s12, v37
	v_lshlrev_b64 v[41:42], 3, v[9:10]
	v_add_nc_u32_e32 v9, 5, v12
	v_add_co_ci_u32_e64 v36, null, s13, v38, vcc_lo
	v_add_co_u32 v39, vcc_lo, s14, v39
	v_add_co_ci_u32_e64 v40, null, s15, v40, vcc_lo
	v_lshlrev_b64 v[43:44], 3, v[9:10]
	v_add_nc_u32_e32 v9, -4, v7
	global_load_dwordx4 v[35:38], v[35:36], off
	global_load_dwordx2 v[63:64], v[39:40], off
	v_add_co_u32 v39, vcc_lo, s12, v41
	v_lshlrev_b64 v[45:46], 3, v[9:10]
	v_add_nc_u32_e32 v9, 6, v12
	v_add_co_ci_u32_e64 v40, null, s13, v42, vcc_lo
	v_add_co_u32 v43, vcc_lo, s14, v43
	v_add_co_ci_u32_e64 v44, null, s15, v44, vcc_lo
	v_lshlrev_b64 v[47:48], 3, v[9:10]
	v_add_nc_u32_e32 v9, -2, v7
	global_load_dwordx4 v[39:42], v[39:40], off
	global_load_dwordx2 v[65:66], v[43:44], off
	v_add_co_u32 v43, vcc_lo, s12, v45
	v_add_co_ci_u32_e64 v44, null, s13, v46, vcc_lo
	v_lshlrev_b64 v[49:50], 3, v[9:10]
	v_add_nc_u32_e32 v9, 7, v12
	v_add_co_u32 v47, vcc_lo, s14, v47
	v_add_co_ci_u32_e64 v48, null, s15, v48, vcc_lo
	v_lshlrev_b64 v[53:54], 3, v[9:10]
	global_load_dwordx4 v[43:46], v[43:44], off
	v_add_nc_u32_e32 v9, 8, v12
	global_load_dwordx2 v[67:68], v[47:48], off
	v_add_co_u32 v12, vcc_lo, s12, v49
	v_add_co_ci_u32_e64 v13, null, s13, v50, vcc_lo
	v_add_co_u32 v53, vcc_lo, s14, v53
	v_add_co_ci_u32_e64 v54, null, s15, v54, vcc_lo
	v_lshlrev_b64 v[8:9], 3, v[9:10]
	global_load_dwordx4 v[47:50], v[12:13], off
	global_load_dwordx2 v[12:13], v[53:54], off
	v_add_nc_u32_e32 v7, 0x90, v7
	v_add_co_u32 v8, vcc_lo, s14, v8
	v_add_co_ci_u32_e64 v9, null, s15, v9, vcc_lo
	global_load_dwordx4 v[51:54], v[51:52], off
	global_load_dwordx2 v[8:9], v[8:9], off
	v_cmp_ge_i32_e32 vcc_lo, v11, v16
	s_or_b32 s3, vcc_lo, s3
	s_waitcnt vmcnt(15)
	v_fmac_f32_e32 v17, v19, v55
	v_fmac_f32_e32 v14, v20, v55
	v_fmac_f32_e32 v18, v21, v55
	v_fmac_f32_e32 v15, v22, v55
	v_fma_f32 v17, -v20, v56, v17
	v_fmac_f32_e32 v14, v19, v56
	v_fma_f32 v18, -v22, v56, v18
	v_fmac_f32_e32 v15, v21, v56
	s_waitcnt vmcnt(14)
	v_fmac_f32_e32 v17, v23, v57
	v_fmac_f32_e32 v14, v24, v57
	v_fmac_f32_e32 v18, v25, v57
	v_fmac_f32_e32 v15, v26, v57
	v_fma_f32 v17, -v24, v58, v17
	v_fmac_f32_e32 v14, v23, v58
	v_fma_f32 v18, -v26, v58, v18
	v_fmac_f32_e32 v15, v25, v58
	;; [unrolled: 9-line block ×9, first 2 shown]
	s_andn2_b32 exec_lo, exec_lo, s3
	s_cbranch_execnz .LBB188_7
; %bb.8:
	s_or_b32 exec_lo, exec_lo, s3
.LBB188_9:
	s_or_b32 exec_lo, exec_lo, s1
	s_cbranch_execz .LBB188_11
	s_branch .LBB188_16
.LBB188_10:
                                        ; implicit-def: $vgpr14
                                        ; implicit-def: $vgpr17
                                        ; implicit-def: $vgpr18
                                        ; implicit-def: $vgpr15
.LBB188_11:
	v_mov_b32_e32 v14, 0
	v_mov_b32_e32 v17, 0
	;; [unrolled: 1-line block ×4, first 2 shown]
	s_and_saveexec_b32 s1, s0
	s_cbranch_execz .LBB188_15
; %bb.12:
	v_mad_u64_u32 v[8:9], null, v6, 18, 17
	v_mov_b32_e32 v11, 0
	v_mov_b32_e32 v14, 0
	;; [unrolled: 1-line block ×5, first 2 shown]
	s_mov_b32 s0, 0
.LBB188_13:                             ; =>This Inner Loop Header: Depth=1
	v_ashrrev_i32_e32 v7, 31, v6
	v_subrev_nc_u32_e32 v10, 17, v8
	v_add_nc_u32_e32 v19, -8, v8
	v_mov_b32_e32 v20, v11
	v_mov_b32_e32 v9, v11
	v_lshlrev_b64 v[21:22], 2, v[6:7]
	v_lshlrev_b64 v[23:24], 3, v[10:11]
	v_mov_b32_e32 v13, v11
	v_lshlrev_b64 v[19:20], 3, v[19:20]
	v_lshlrev_b64 v[9:10], 3, v[8:9]
	v_add_nc_u32_e32 v6, 8, v6
	v_add_co_u32 v21, vcc_lo, s10, v21
	v_add_co_ci_u32_e64 v22, null, s11, v22, vcc_lo
	v_add_co_u32 v23, vcc_lo, s12, v23
	v_add_co_ci_u32_e64 v24, null, s13, v24, vcc_lo
	global_load_dword v7, v[21:22], off
	v_add_co_u32 v19, vcc_lo, s12, v19
	v_add_co_ci_u32_e64 v20, null, s13, v20, vcc_lo
	v_add_co_u32 v25, vcc_lo, s12, v9
	v_add_co_ci_u32_e64 v26, null, s13, v10, vcc_lo
	s_waitcnt vmcnt(0)
	v_subrev_nc_u32_e32 v7, s2, v7
	v_lshl_add_u32 v12, v7, 3, v7
	v_add_nc_u32_e32 v10, 1, v12
	v_lshlrev_b64 v[21:22], 3, v[12:13]
	v_lshlrev_b64 v[27:28], 3, v[10:11]
	v_add_nc_u32_e32 v10, -7, v8
	v_add_co_u32 v21, vcc_lo, s14, v21
	v_add_co_ci_u32_e64 v22, null, s15, v22, vcc_lo
	v_lshlrev_b64 v[29:30], 3, v[10:11]
	v_add_nc_u32_e32 v10, -15, v8
	v_add_co_u32 v27, vcc_lo, s14, v27
	v_add_co_ci_u32_e64 v28, null, s15, v28, vcc_lo
	v_lshlrev_b64 v[31:32], 3, v[10:11]
	v_add_nc_u32_e32 v10, 2, v12
	v_add_co_u32 v29, vcc_lo, s12, v29
	v_add_co_ci_u32_e64 v30, null, s13, v30, vcc_lo
	v_lshlrev_b64 v[33:34], 3, v[10:11]
	v_add_nc_u32_e32 v10, -6, v8
	v_add_co_u32 v31, vcc_lo, s12, v31
	v_add_co_ci_u32_e64 v32, null, s13, v32, vcc_lo
	v_lshlrev_b64 v[35:36], 3, v[10:11]
	v_add_nc_u32_e32 v10, -14, v8
	v_add_co_u32 v33, vcc_lo, s14, v33
	v_add_co_ci_u32_e64 v34, null, s15, v34, vcc_lo
	v_lshlrev_b64 v[37:38], 3, v[10:11]
	v_add_nc_u32_e32 v10, 3, v12
	v_add_co_u32 v35, vcc_lo, s12, v35
	v_add_co_ci_u32_e64 v36, null, s13, v36, vcc_lo
	;; [unrolled: 12-line block ×6, first 2 shown]
	v_lshlrev_b64 v[9:10], 3, v[10:11]
	v_add_co_u32 v61, vcc_lo, s12, v61
	v_add_co_ci_u32_e64 v62, null, s13, v62, vcc_lo
	v_add_co_u32 v63, vcc_lo, s14, v9
	v_add_co_ci_u32_e64 v64, null, s15, v10, vcc_lo
	v_add_nc_u32_e32 v10, -1, v8
	v_lshlrev_b64 v[65:66], 3, v[10:11]
	v_add_nc_u32_e32 v10, -9, v8
	v_add_nc_u32_e32 v8, 0x90, v8
	v_lshlrev_b64 v[67:68], 3, v[10:11]
	v_add_nc_u32_e32 v10, 8, v12
	v_add_co_u32 v12, vcc_lo, s12, v65
	v_add_co_ci_u32_e64 v13, null, s13, v66, vcc_lo
	global_load_dwordx2 v[19:20], v[19:20], off
	global_load_dwordx2 v[65:66], v[21:22], off
	s_waitcnt vmcnt(0)
	v_fmac_f32_e32 v18, v19, v65
	v_fmac_f32_e32 v15, v20, v65
	v_fma_f32 v7, -v20, v66, v18
	v_fmac_f32_e32 v15, v19, v66
	global_load_dwordx4 v[18:21], v[23:24], off
	s_waitcnt vmcnt(0)
	v_fmac_f32_e32 v17, v18, v65
	v_fmac_f32_e32 v14, v19, v65
	v_fma_f32 v9, -v19, v66, v17
	v_fmac_f32_e32 v14, v18, v66
	global_load_dwordx2 v[17:18], v[27:28], off
	s_clause 0x1
	global_load_dwordx2 v[22:23], v[29:30], off
	global_load_dwordx2 v[27:28], v[31:32], off
	global_load_dwordx2 v[29:30], v[33:34], off
	s_clause 0x1
	global_load_dwordx2 v[31:32], v[35:36], off
	global_load_dwordx2 v[33:34], v[37:38], off
	;; [unrolled: 4-line block ×4, first 2 shown]
	global_load_dwordx2 v[45:46], v[49:50], off
	global_load_dwordx2 v[47:48], v[51:52], off
	s_clause 0x1
	global_load_dwordx2 v[49:50], v[53:54], off
	global_load_dwordx2 v[51:52], v[55:56], off
	;; [unrolled: 1-line block ×3, first 2 shown]
	s_clause 0x1
	global_load_dwordx2 v[55:56], v[59:60], off
	global_load_dwordx2 v[57:58], v[61:62], off
	;; [unrolled: 1-line block ×4, first 2 shown]
	v_add_co_u32 v19, vcc_lo, s12, v67
	s_waitcnt vmcnt(20)
	v_fmac_f32_e32 v9, v20, v17
	v_fmac_f32_e32 v14, v21, v17
	s_waitcnt vmcnt(19)
	v_fmac_f32_e32 v7, v22, v17
	v_fmac_f32_e32 v15, v23, v17
	v_fma_f32 v21, -v21, v18, v9
	v_lshlrev_b64 v[9:10], 3, v[10:11]
	v_fmac_f32_e32 v14, v20, v18
	v_add_co_ci_u32_e64 v20, null, s13, v68, vcc_lo
	v_fma_f32 v7, -v23, v18, v7
	v_fmac_f32_e32 v15, v22, v18
	v_add_co_u32 v9, vcc_lo, s14, v9
	v_add_co_ci_u32_e64 v10, null, s15, v10, vcc_lo
	global_load_dwordx2 v[19:20], v[19:20], off
	global_load_dwordx2 v[9:10], v[9:10], off
	s_waitcnt vmcnt(19)
	v_fmac_f32_e32 v21, v27, v29
	v_fmac_f32_e32 v14, v28, v29
	s_waitcnt vmcnt(18)
	v_fmac_f32_e32 v7, v31, v29
	v_fmac_f32_e32 v15, v32, v29
	v_cmp_ge_i32_e32 vcc_lo, v6, v16
	v_fma_f32 v17, -v28, v30, v21
	v_fmac_f32_e32 v14, v27, v30
	v_fma_f32 v7, -v32, v30, v7
	v_fmac_f32_e32 v15, v31, v30
	s_or_b32 s0, vcc_lo, s0
	s_waitcnt vmcnt(16)
	v_fmac_f32_e32 v17, v33, v35
	v_fmac_f32_e32 v14, v34, v35
	s_waitcnt vmcnt(15)
	v_fmac_f32_e32 v7, v37, v35
	v_fmac_f32_e32 v15, v38, v35
	v_fma_f32 v17, -v34, v36, v17
	v_fmac_f32_e32 v14, v33, v36
	v_fma_f32 v7, -v38, v36, v7
	v_fmac_f32_e32 v15, v37, v36
	s_waitcnt vmcnt(13)
	v_fmac_f32_e32 v17, v39, v41
	v_fmac_f32_e32 v14, v40, v41
	s_waitcnt vmcnt(12)
	v_fmac_f32_e32 v7, v43, v41
	v_fmac_f32_e32 v15, v44, v41
	v_fma_f32 v17, -v40, v42, v17
	v_fmac_f32_e32 v14, v39, v42
	v_fma_f32 v7, -v44, v42, v7
	v_fmac_f32_e32 v15, v43, v42
	;; [unrolled: 10-line block ×5, first 2 shown]
	s_waitcnt vmcnt(0)
	v_fmac_f32_e32 v17, v19, v9
	v_fmac_f32_e32 v14, v20, v9
	;; [unrolled: 1-line block ×4, first 2 shown]
	v_fma_f32 v17, -v20, v10, v17
	v_fmac_f32_e32 v14, v19, v10
	v_fma_f32 v18, -v25, v10, v7
	v_fmac_f32_e32 v15, v24, v10
	s_andn2_b32 exec_lo, exec_lo, s0
	s_cbranch_execnz .LBB188_13
; %bb.14:
	s_or_b32 exec_lo, exec_lo, s0
.LBB188_15:
	s_or_b32 exec_lo, exec_lo, s1
.LBB188_16:
	v_mbcnt_lo_u32_b32 v6, -1, 0
	v_xor_b32_e32 v7, 4, v6
	v_xor_b32_e32 v11, 2, v6
	v_cmp_gt_i32_e32 vcc_lo, 32, v7
	v_cndmask_b32_e32 v7, v6, v7, vcc_lo
	v_cmp_gt_i32_e32 vcc_lo, 32, v11
	v_lshlrev_b32_e32 v7, 2, v7
	v_cndmask_b32_e32 v11, v6, v11, vcc_lo
	ds_bpermute_b32 v8, v7, v17
	ds_bpermute_b32 v9, v7, v14
	;; [unrolled: 1-line block ×4, first 2 shown]
	v_lshlrev_b32_e32 v11, 2, v11
	s_waitcnt lgkmcnt(3)
	v_add_f32_e32 v8, v17, v8
	s_waitcnt lgkmcnt(2)
	v_add_f32_e32 v9, v14, v9
	;; [unrolled: 2-line block ×4, first 2 shown]
	v_xor_b32_e32 v15, 1, v6
	ds_bpermute_b32 v12, v11, v8
	ds_bpermute_b32 v13, v11, v9
	;; [unrolled: 1-line block ×4, first 2 shown]
	v_cmp_gt_i32_e32 vcc_lo, 32, v15
	v_cndmask_b32_e32 v6, v6, v15, vcc_lo
	v_cmp_eq_u32_e32 vcc_lo, 7, v0
	v_lshlrev_b32_e32 v15, 2, v6
	s_waitcnt lgkmcnt(3)
	v_add_f32_e32 v8, v8, v12
	s_waitcnt lgkmcnt(2)
	v_add_f32_e32 v9, v9, v13
	;; [unrolled: 2-line block ×4, first 2 shown]
	ds_bpermute_b32 v12, v15, v8
	ds_bpermute_b32 v13, v15, v9
	;; [unrolled: 1-line block ×4, first 2 shown]
	s_and_b32 exec_lo, exec_lo, vcc_lo
	s_cbranch_execz .LBB188_21
; %bb.17:
	s_load_dwordx2 s[2:3], s[4:5], 0x38
	v_cmp_eq_f32_e32 vcc_lo, 0, v3
	v_cmp_eq_f32_e64 s0, 0, v4
	s_waitcnt lgkmcnt(0)
	v_add_f32_e32 v0, v8, v12
	v_add_f32_e32 v8, v9, v13
	;; [unrolled: 1-line block ×4, first 2 shown]
	s_and_b32 s0, vcc_lo, s0
	s_and_saveexec_b32 s1, s0
	s_xor_b32 s0, exec_lo, s1
	s_cbranch_execz .LBB188_19
; %bb.18:
	v_lshlrev_b32_e32 v3, 1, v5
	v_mul_f32_e64 v9, v8, -v2
	v_mul_f32_e32 v10, v1, v8
	v_mul_f32_e64 v11, v7, -v2
	v_mul_f32_e32 v12, v1, v7
	v_ashrrev_i32_e32 v4, 31, v3
	v_fmac_f32_e32 v9, v1, v0
	v_fmac_f32_e32 v10, v2, v0
	v_fmac_f32_e32 v11, v1, v6
	v_fmac_f32_e32 v12, v2, v6
	v_lshlrev_b64 v[3:4], 3, v[3:4]
                                        ; implicit-def: $vgpr5
                                        ; implicit-def: $vgpr8
                                        ; implicit-def: $vgpr7
                                        ; implicit-def: $vgpr6
	v_add_co_u32 v0, vcc_lo, s2, v3
	v_add_co_ci_u32_e64 v1, null, s3, v4, vcc_lo
                                        ; implicit-def: $vgpr3_vgpr4
	global_store_dwordx4 v[0:1], v[9:12], off
                                        ; implicit-def: $vgpr1_vgpr2
                                        ; implicit-def: $vgpr0
.LBB188_19:
	s_andn2_saveexec_b32 s0, s0
	s_cbranch_execz .LBB188_21
; %bb.20:
	v_lshlrev_b32_e32 v9, 1, v5
	v_mul_f32_e64 v5, v8, -v2
	v_mul_f32_e32 v14, v1, v8
	v_mul_f32_e64 v8, v7, -v2
	v_mul_f32_e32 v16, v1, v7
	v_ashrrev_i32_e32 v10, 31, v9
	v_fmac_f32_e32 v5, v1, v0
	v_fmac_f32_e32 v14, v2, v0
	v_fmac_f32_e32 v8, v1, v6
	v_fmac_f32_e32 v16, v2, v6
	v_lshlrev_b64 v[9:10], 3, v[9:10]
	v_add_co_u32 v17, vcc_lo, s2, v9
	v_add_co_ci_u32_e64 v18, null, s3, v10, vcc_lo
	global_load_dwordx4 v[9:12], v[17:18], off
	s_waitcnt vmcnt(0)
	v_fmac_f32_e32 v5, v3, v9
	v_fmac_f32_e32 v14, v4, v9
	;; [unrolled: 1-line block ×4, first 2 shown]
	v_fma_f32 v13, -v4, v10, v5
	v_fmac_f32_e32 v14, v3, v10
	v_fma_f32 v15, -v4, v12, v8
	v_fmac_f32_e32 v16, v3, v12
	global_store_dwordx4 v[17:18], v[13:16], off
.LBB188_21:
	s_endpgm
	.section	.rodata,"a",@progbits
	.p2align	6, 0x0
	.amdhsa_kernel _ZN9rocsparseL19gebsrmvn_2xn_kernelILj128ELj9ELj8E21rocsparse_complex_numIfEEEvi20rocsparse_direction_NS_24const_host_device_scalarIT2_EEPKiS8_PKS5_SA_S6_PS5_21rocsparse_index_base_b
		.amdhsa_group_segment_fixed_size 0
		.amdhsa_private_segment_fixed_size 0
		.amdhsa_kernarg_size 72
		.amdhsa_user_sgpr_count 6
		.amdhsa_user_sgpr_private_segment_buffer 1
		.amdhsa_user_sgpr_dispatch_ptr 0
		.amdhsa_user_sgpr_queue_ptr 0
		.amdhsa_user_sgpr_kernarg_segment_ptr 1
		.amdhsa_user_sgpr_dispatch_id 0
		.amdhsa_user_sgpr_flat_scratch_init 0
		.amdhsa_user_sgpr_private_segment_size 0
		.amdhsa_wavefront_size32 1
		.amdhsa_uses_dynamic_stack 0
		.amdhsa_system_sgpr_private_segment_wavefront_offset 0
		.amdhsa_system_sgpr_workgroup_id_x 1
		.amdhsa_system_sgpr_workgroup_id_y 0
		.amdhsa_system_sgpr_workgroup_id_z 0
		.amdhsa_system_sgpr_workgroup_info 0
		.amdhsa_system_vgpr_workitem_id 0
		.amdhsa_next_free_vgpr 69
		.amdhsa_next_free_sgpr 16
		.amdhsa_reserve_vcc 1
		.amdhsa_reserve_flat_scratch 0
		.amdhsa_float_round_mode_32 0
		.amdhsa_float_round_mode_16_64 0
		.amdhsa_float_denorm_mode_32 3
		.amdhsa_float_denorm_mode_16_64 3
		.amdhsa_dx10_clamp 1
		.amdhsa_ieee_mode 1
		.amdhsa_fp16_overflow 0
		.amdhsa_workgroup_processor_mode 1
		.amdhsa_memory_ordered 1
		.amdhsa_forward_progress 1
		.amdhsa_shared_vgpr_count 0
		.amdhsa_exception_fp_ieee_invalid_op 0
		.amdhsa_exception_fp_denorm_src 0
		.amdhsa_exception_fp_ieee_div_zero 0
		.amdhsa_exception_fp_ieee_overflow 0
		.amdhsa_exception_fp_ieee_underflow 0
		.amdhsa_exception_fp_ieee_inexact 0
		.amdhsa_exception_int_div_zero 0
	.end_amdhsa_kernel
	.section	.text._ZN9rocsparseL19gebsrmvn_2xn_kernelILj128ELj9ELj8E21rocsparse_complex_numIfEEEvi20rocsparse_direction_NS_24const_host_device_scalarIT2_EEPKiS8_PKS5_SA_S6_PS5_21rocsparse_index_base_b,"axG",@progbits,_ZN9rocsparseL19gebsrmvn_2xn_kernelILj128ELj9ELj8E21rocsparse_complex_numIfEEEvi20rocsparse_direction_NS_24const_host_device_scalarIT2_EEPKiS8_PKS5_SA_S6_PS5_21rocsparse_index_base_b,comdat
.Lfunc_end188:
	.size	_ZN9rocsparseL19gebsrmvn_2xn_kernelILj128ELj9ELj8E21rocsparse_complex_numIfEEEvi20rocsparse_direction_NS_24const_host_device_scalarIT2_EEPKiS8_PKS5_SA_S6_PS5_21rocsparse_index_base_b, .Lfunc_end188-_ZN9rocsparseL19gebsrmvn_2xn_kernelILj128ELj9ELj8E21rocsparse_complex_numIfEEEvi20rocsparse_direction_NS_24const_host_device_scalarIT2_EEPKiS8_PKS5_SA_S6_PS5_21rocsparse_index_base_b
                                        ; -- End function
	.set _ZN9rocsparseL19gebsrmvn_2xn_kernelILj128ELj9ELj8E21rocsparse_complex_numIfEEEvi20rocsparse_direction_NS_24const_host_device_scalarIT2_EEPKiS8_PKS5_SA_S6_PS5_21rocsparse_index_base_b.num_vgpr, 69
	.set _ZN9rocsparseL19gebsrmvn_2xn_kernelILj128ELj9ELj8E21rocsparse_complex_numIfEEEvi20rocsparse_direction_NS_24const_host_device_scalarIT2_EEPKiS8_PKS5_SA_S6_PS5_21rocsparse_index_base_b.num_agpr, 0
	.set _ZN9rocsparseL19gebsrmvn_2xn_kernelILj128ELj9ELj8E21rocsparse_complex_numIfEEEvi20rocsparse_direction_NS_24const_host_device_scalarIT2_EEPKiS8_PKS5_SA_S6_PS5_21rocsparse_index_base_b.numbered_sgpr, 16
	.set _ZN9rocsparseL19gebsrmvn_2xn_kernelILj128ELj9ELj8E21rocsparse_complex_numIfEEEvi20rocsparse_direction_NS_24const_host_device_scalarIT2_EEPKiS8_PKS5_SA_S6_PS5_21rocsparse_index_base_b.num_named_barrier, 0
	.set _ZN9rocsparseL19gebsrmvn_2xn_kernelILj128ELj9ELj8E21rocsparse_complex_numIfEEEvi20rocsparse_direction_NS_24const_host_device_scalarIT2_EEPKiS8_PKS5_SA_S6_PS5_21rocsparse_index_base_b.private_seg_size, 0
	.set _ZN9rocsparseL19gebsrmvn_2xn_kernelILj128ELj9ELj8E21rocsparse_complex_numIfEEEvi20rocsparse_direction_NS_24const_host_device_scalarIT2_EEPKiS8_PKS5_SA_S6_PS5_21rocsparse_index_base_b.uses_vcc, 1
	.set _ZN9rocsparseL19gebsrmvn_2xn_kernelILj128ELj9ELj8E21rocsparse_complex_numIfEEEvi20rocsparse_direction_NS_24const_host_device_scalarIT2_EEPKiS8_PKS5_SA_S6_PS5_21rocsparse_index_base_b.uses_flat_scratch, 0
	.set _ZN9rocsparseL19gebsrmvn_2xn_kernelILj128ELj9ELj8E21rocsparse_complex_numIfEEEvi20rocsparse_direction_NS_24const_host_device_scalarIT2_EEPKiS8_PKS5_SA_S6_PS5_21rocsparse_index_base_b.has_dyn_sized_stack, 0
	.set _ZN9rocsparseL19gebsrmvn_2xn_kernelILj128ELj9ELj8E21rocsparse_complex_numIfEEEvi20rocsparse_direction_NS_24const_host_device_scalarIT2_EEPKiS8_PKS5_SA_S6_PS5_21rocsparse_index_base_b.has_recursion, 0
	.set _ZN9rocsparseL19gebsrmvn_2xn_kernelILj128ELj9ELj8E21rocsparse_complex_numIfEEEvi20rocsparse_direction_NS_24const_host_device_scalarIT2_EEPKiS8_PKS5_SA_S6_PS5_21rocsparse_index_base_b.has_indirect_call, 0
	.section	.AMDGPU.csdata,"",@progbits
; Kernel info:
; codeLenInByte = 3536
; TotalNumSgprs: 18
; NumVgprs: 69
; ScratchSize: 0
; MemoryBound: 0
; FloatMode: 240
; IeeeMode: 1
; LDSByteSize: 0 bytes/workgroup (compile time only)
; SGPRBlocks: 0
; VGPRBlocks: 8
; NumSGPRsForWavesPerEU: 18
; NumVGPRsForWavesPerEU: 69
; Occupancy: 12
; WaveLimiterHint : 1
; COMPUTE_PGM_RSRC2:SCRATCH_EN: 0
; COMPUTE_PGM_RSRC2:USER_SGPR: 6
; COMPUTE_PGM_RSRC2:TRAP_HANDLER: 0
; COMPUTE_PGM_RSRC2:TGID_X_EN: 1
; COMPUTE_PGM_RSRC2:TGID_Y_EN: 0
; COMPUTE_PGM_RSRC2:TGID_Z_EN: 0
; COMPUTE_PGM_RSRC2:TIDIG_COMP_CNT: 0
	.section	.text._ZN9rocsparseL19gebsrmvn_2xn_kernelILj128ELj9ELj16E21rocsparse_complex_numIfEEEvi20rocsparse_direction_NS_24const_host_device_scalarIT2_EEPKiS8_PKS5_SA_S6_PS5_21rocsparse_index_base_b,"axG",@progbits,_ZN9rocsparseL19gebsrmvn_2xn_kernelILj128ELj9ELj16E21rocsparse_complex_numIfEEEvi20rocsparse_direction_NS_24const_host_device_scalarIT2_EEPKiS8_PKS5_SA_S6_PS5_21rocsparse_index_base_b,comdat
	.globl	_ZN9rocsparseL19gebsrmvn_2xn_kernelILj128ELj9ELj16E21rocsparse_complex_numIfEEEvi20rocsparse_direction_NS_24const_host_device_scalarIT2_EEPKiS8_PKS5_SA_S6_PS5_21rocsparse_index_base_b ; -- Begin function _ZN9rocsparseL19gebsrmvn_2xn_kernelILj128ELj9ELj16E21rocsparse_complex_numIfEEEvi20rocsparse_direction_NS_24const_host_device_scalarIT2_EEPKiS8_PKS5_SA_S6_PS5_21rocsparse_index_base_b
	.p2align	8
	.type	_ZN9rocsparseL19gebsrmvn_2xn_kernelILj128ELj9ELj16E21rocsparse_complex_numIfEEEvi20rocsparse_direction_NS_24const_host_device_scalarIT2_EEPKiS8_PKS5_SA_S6_PS5_21rocsparse_index_base_b,@function
_ZN9rocsparseL19gebsrmvn_2xn_kernelILj128ELj9ELj16E21rocsparse_complex_numIfEEEvi20rocsparse_direction_NS_24const_host_device_scalarIT2_EEPKiS8_PKS5_SA_S6_PS5_21rocsparse_index_base_b: ; @_ZN9rocsparseL19gebsrmvn_2xn_kernelILj128ELj9ELj16E21rocsparse_complex_numIfEEEvi20rocsparse_direction_NS_24const_host_device_scalarIT2_EEPKiS8_PKS5_SA_S6_PS5_21rocsparse_index_base_b
; %bb.0:
	s_clause 0x2
	s_load_dwordx2 s[2:3], s[4:5], 0x40
	s_load_dwordx2 s[0:1], s[4:5], 0x8
	;; [unrolled: 1-line block ×3, first 2 shown]
	s_add_u32 s7, s4, 8
	s_addc_u32 s10, s5, 0
	s_add_u32 s11, s4, 48
	s_addc_u32 s12, s5, 0
	s_waitcnt lgkmcnt(0)
	s_bitcmp1_b32 s3, 0
	s_cselect_b32 s0, s7, s0
	s_cselect_b32 s1, s10, s1
	v_mov_b32_e32 v1, s0
	v_mov_b32_e32 v2, s1
	s_cselect_b32 s0, s11, s8
	s_cselect_b32 s1, s12, s9
	v_mov_b32_e32 v3, s0
	v_mov_b32_e32 v4, s1
	flat_load_dwordx2 v[1:2], v[1:2]
	flat_load_dwordx2 v[3:4], v[3:4]
	s_waitcnt vmcnt(1) lgkmcnt(1)
	v_cmp_eq_f32_e32 vcc_lo, 0, v1
	v_cmp_eq_f32_e64 s0, 0, v2
	s_and_b32 s3, vcc_lo, s0
	s_mov_b32 s0, -1
	s_and_saveexec_b32 s1, s3
	s_cbranch_execz .LBB189_2
; %bb.1:
	s_waitcnt vmcnt(0) lgkmcnt(0)
	v_cmp_neq_f32_e32 vcc_lo, 1.0, v3
	v_cmp_neq_f32_e64 s0, 0, v4
	s_or_b32 s0, vcc_lo, s0
	s_orn2_b32 s0, s0, exec_lo
.LBB189_2:
	s_or_b32 exec_lo, exec_lo, s1
	s_and_saveexec_b32 s1, s0
	s_cbranch_execz .LBB189_21
; %bb.3:
	s_load_dwordx2 s[0:1], s[4:5], 0x0
	v_lshrrev_b32_e32 v5, 4, v0
	v_lshl_or_b32 v5, s6, 3, v5
	s_waitcnt lgkmcnt(0)
	v_cmp_gt_i32_e32 vcc_lo, s0, v5
	s_and_b32 exec_lo, exec_lo, vcc_lo
	s_cbranch_execz .LBB189_21
; %bb.4:
	s_load_dwordx8 s[8:15], s[4:5], 0x10
	v_ashrrev_i32_e32 v6, 31, v5
	v_and_b32_e32 v0, 15, v0
	s_cmp_lg_u32 s1, 0
	v_lshlrev_b64 v[6:7], 2, v[5:6]
	s_waitcnt lgkmcnt(0)
	v_add_co_u32 v6, vcc_lo, s8, v6
	v_add_co_ci_u32_e64 v7, null, s9, v7, vcc_lo
	global_load_dwordx2 v[6:7], v[6:7], off
	s_waitcnt vmcnt(0)
	v_subrev_nc_u32_e32 v6, s2, v6
	v_subrev_nc_u32_e32 v16, s2, v7
	v_add_nc_u32_e32 v6, v6, v0
	v_cmp_lt_i32_e64 s0, v6, v16
	s_cbranch_scc0 .LBB189_10
; %bb.5:
	v_mov_b32_e32 v14, 0
	v_mov_b32_e32 v17, 0
	;; [unrolled: 1-line block ×4, first 2 shown]
	s_and_saveexec_b32 s1, s0
	s_cbranch_execz .LBB189_9
; %bb.6:
	v_mad_u64_u32 v[7:8], null, v6, 18, 16
	v_mov_b32_e32 v10, 0
	v_mov_b32_e32 v11, v6
	v_mov_b32_e32 v14, 0
	v_mov_b32_e32 v17, 0
	v_mov_b32_e32 v18, 0
	v_mov_b32_e32 v15, 0
	s_mov_b32 s3, 0
.LBB189_7:                              ; =>This Inner Loop Header: Depth=1
	v_ashrrev_i32_e32 v12, 31, v11
	v_mov_b32_e32 v13, v10
	v_lshlrev_b64 v[8:9], 2, v[11:12]
	v_add_nc_u32_e32 v11, 16, v11
	v_add_co_u32 v8, vcc_lo, s10, v8
	v_add_co_ci_u32_e64 v9, null, s11, v9, vcc_lo
	global_load_dword v12, v[8:9], off
	v_add_nc_u32_e32 v9, -16, v7
	v_mov_b32_e32 v8, v10
	v_lshlrev_b64 v[19:20], 3, v[9:10]
	v_add_nc_u32_e32 v9, -14, v7
	v_lshlrev_b64 v[21:22], 3, v[7:8]
	v_lshlrev_b64 v[8:9], 3, v[9:10]
	v_add_co_u32 v19, vcc_lo, s12, v19
	v_add_co_ci_u32_e64 v20, null, s13, v20, vcc_lo
	v_add_co_u32 v51, vcc_lo, s12, v21
	v_add_co_ci_u32_e64 v52, null, s13, v22, vcc_lo
	;; [unrolled: 2-line block ×3, first 2 shown]
	s_clause 0x1
	global_load_dwordx4 v[19:22], v[19:20], off
	global_load_dwordx4 v[23:26], v[8:9], off
	s_waitcnt vmcnt(2)
	v_subrev_nc_u32_e32 v8, s2, v12
	v_lshl_add_u32 v12, v8, 3, v8
	v_lshlrev_b64 v[27:28], 3, v[12:13]
	v_add_nc_u32_e32 v9, 1, v12
	v_lshlrev_b64 v[29:30], 3, v[9:10]
	v_add_co_u32 v27, vcc_lo, s14, v27
	v_add_co_ci_u32_e64 v28, null, s15, v28, vcc_lo
	v_add_nc_u32_e32 v9, -12, v7
	v_add_co_u32 v29, vcc_lo, s14, v29
	global_load_dwordx2 v[55:56], v[27:28], off
	v_add_co_ci_u32_e64 v30, null, s15, v30, vcc_lo
	v_lshlrev_b64 v[31:32], 3, v[9:10]
	v_add_nc_u32_e32 v9, 2, v12
	global_load_dwordx2 v[57:58], v[29:30], off
	v_lshlrev_b64 v[27:28], 3, v[9:10]
	v_add_nc_u32_e32 v9, -10, v7
	v_add_co_u32 v29, vcc_lo, s12, v31
	v_add_co_ci_u32_e64 v30, null, s13, v32, vcc_lo
	v_lshlrev_b64 v[31:32], 3, v[9:10]
	v_add_nc_u32_e32 v9, 3, v12
	v_add_co_u32 v33, vcc_lo, s14, v27
	v_add_co_ci_u32_e64 v34, null, s15, v28, vcc_lo
	v_lshlrev_b64 v[35:36], 3, v[9:10]
	v_add_nc_u32_e32 v9, -8, v7
	global_load_dwordx4 v[27:30], v[29:30], off
	global_load_dwordx2 v[59:60], v[33:34], off
	v_add_co_u32 v31, vcc_lo, s12, v31
	v_lshlrev_b64 v[37:38], 3, v[9:10]
	v_add_nc_u32_e32 v9, 4, v12
	v_add_co_ci_u32_e64 v32, null, s13, v32, vcc_lo
	v_add_co_u32 v35, vcc_lo, s14, v35
	v_add_co_ci_u32_e64 v36, null, s15, v36, vcc_lo
	v_lshlrev_b64 v[39:40], 3, v[9:10]
	v_add_nc_u32_e32 v9, -6, v7
	global_load_dwordx2 v[61:62], v[35:36], off
	global_load_dwordx4 v[31:34], v[31:32], off
	v_add_co_u32 v35, vcc_lo, s12, v37
	v_lshlrev_b64 v[41:42], 3, v[9:10]
	v_add_nc_u32_e32 v9, 5, v12
	v_add_co_ci_u32_e64 v36, null, s13, v38, vcc_lo
	v_add_co_u32 v39, vcc_lo, s14, v39
	v_add_co_ci_u32_e64 v40, null, s15, v40, vcc_lo
	v_lshlrev_b64 v[43:44], 3, v[9:10]
	v_add_nc_u32_e32 v9, -4, v7
	global_load_dwordx4 v[35:38], v[35:36], off
	global_load_dwordx2 v[63:64], v[39:40], off
	v_add_co_u32 v39, vcc_lo, s12, v41
	v_lshlrev_b64 v[45:46], 3, v[9:10]
	v_add_nc_u32_e32 v9, 6, v12
	v_add_co_ci_u32_e64 v40, null, s13, v42, vcc_lo
	v_add_co_u32 v43, vcc_lo, s14, v43
	v_add_co_ci_u32_e64 v44, null, s15, v44, vcc_lo
	v_lshlrev_b64 v[47:48], 3, v[9:10]
	v_add_nc_u32_e32 v9, -2, v7
	global_load_dwordx4 v[39:42], v[39:40], off
	global_load_dwordx2 v[65:66], v[43:44], off
	v_add_co_u32 v43, vcc_lo, s12, v45
	v_add_co_ci_u32_e64 v44, null, s13, v46, vcc_lo
	v_lshlrev_b64 v[49:50], 3, v[9:10]
	v_add_nc_u32_e32 v9, 7, v12
	v_add_co_u32 v47, vcc_lo, s14, v47
	v_add_co_ci_u32_e64 v48, null, s15, v48, vcc_lo
	v_lshlrev_b64 v[53:54], 3, v[9:10]
	global_load_dwordx4 v[43:46], v[43:44], off
	v_add_nc_u32_e32 v9, 8, v12
	global_load_dwordx2 v[67:68], v[47:48], off
	v_add_co_u32 v12, vcc_lo, s12, v49
	v_add_co_ci_u32_e64 v13, null, s13, v50, vcc_lo
	v_add_co_u32 v53, vcc_lo, s14, v53
	v_add_co_ci_u32_e64 v54, null, s15, v54, vcc_lo
	v_lshlrev_b64 v[8:9], 3, v[9:10]
	global_load_dwordx4 v[47:50], v[12:13], off
	global_load_dwordx2 v[12:13], v[53:54], off
	v_add_nc_u32_e32 v7, 0x120, v7
	v_add_co_u32 v8, vcc_lo, s14, v8
	v_add_co_ci_u32_e64 v9, null, s15, v9, vcc_lo
	global_load_dwordx4 v[51:54], v[51:52], off
	global_load_dwordx2 v[8:9], v[8:9], off
	v_cmp_ge_i32_e32 vcc_lo, v11, v16
	s_or_b32 s3, vcc_lo, s3
	s_waitcnt vmcnt(15)
	v_fmac_f32_e32 v17, v19, v55
	v_fmac_f32_e32 v14, v20, v55
	v_fmac_f32_e32 v18, v21, v55
	v_fmac_f32_e32 v15, v22, v55
	v_fma_f32 v17, -v20, v56, v17
	v_fmac_f32_e32 v14, v19, v56
	v_fma_f32 v18, -v22, v56, v18
	v_fmac_f32_e32 v15, v21, v56
	s_waitcnt vmcnt(14)
	v_fmac_f32_e32 v17, v23, v57
	v_fmac_f32_e32 v14, v24, v57
	v_fmac_f32_e32 v18, v25, v57
	v_fmac_f32_e32 v15, v26, v57
	v_fma_f32 v17, -v24, v58, v17
	v_fmac_f32_e32 v14, v23, v58
	v_fma_f32 v18, -v26, v58, v18
	v_fmac_f32_e32 v15, v25, v58
	;; [unrolled: 9-line block ×9, first 2 shown]
	s_andn2_b32 exec_lo, exec_lo, s3
	s_cbranch_execnz .LBB189_7
; %bb.8:
	s_or_b32 exec_lo, exec_lo, s3
.LBB189_9:
	s_or_b32 exec_lo, exec_lo, s1
	s_cbranch_execz .LBB189_11
	s_branch .LBB189_16
.LBB189_10:
                                        ; implicit-def: $vgpr14
                                        ; implicit-def: $vgpr17
                                        ; implicit-def: $vgpr18
                                        ; implicit-def: $vgpr15
.LBB189_11:
	v_mov_b32_e32 v14, 0
	v_mov_b32_e32 v17, 0
	;; [unrolled: 1-line block ×4, first 2 shown]
	s_and_saveexec_b32 s1, s0
	s_cbranch_execz .LBB189_15
; %bb.12:
	v_mad_u64_u32 v[8:9], null, v6, 18, 17
	v_mov_b32_e32 v11, 0
	v_mov_b32_e32 v14, 0
	;; [unrolled: 1-line block ×5, first 2 shown]
	s_mov_b32 s0, 0
.LBB189_13:                             ; =>This Inner Loop Header: Depth=1
	v_ashrrev_i32_e32 v7, 31, v6
	v_subrev_nc_u32_e32 v10, 17, v8
	v_add_nc_u32_e32 v19, -8, v8
	v_mov_b32_e32 v20, v11
	v_mov_b32_e32 v9, v11
	v_lshlrev_b64 v[21:22], 2, v[6:7]
	v_lshlrev_b64 v[23:24], 3, v[10:11]
	v_mov_b32_e32 v13, v11
	v_lshlrev_b64 v[19:20], 3, v[19:20]
	v_lshlrev_b64 v[9:10], 3, v[8:9]
	v_add_nc_u32_e32 v6, 16, v6
	v_add_co_u32 v21, vcc_lo, s10, v21
	v_add_co_ci_u32_e64 v22, null, s11, v22, vcc_lo
	v_add_co_u32 v23, vcc_lo, s12, v23
	v_add_co_ci_u32_e64 v24, null, s13, v24, vcc_lo
	global_load_dword v7, v[21:22], off
	v_add_co_u32 v19, vcc_lo, s12, v19
	v_add_co_ci_u32_e64 v20, null, s13, v20, vcc_lo
	v_add_co_u32 v25, vcc_lo, s12, v9
	v_add_co_ci_u32_e64 v26, null, s13, v10, vcc_lo
	s_waitcnt vmcnt(0)
	v_subrev_nc_u32_e32 v7, s2, v7
	v_lshl_add_u32 v12, v7, 3, v7
	v_add_nc_u32_e32 v10, 1, v12
	v_lshlrev_b64 v[21:22], 3, v[12:13]
	v_lshlrev_b64 v[27:28], 3, v[10:11]
	v_add_nc_u32_e32 v10, -7, v8
	v_add_co_u32 v21, vcc_lo, s14, v21
	v_add_co_ci_u32_e64 v22, null, s15, v22, vcc_lo
	v_lshlrev_b64 v[29:30], 3, v[10:11]
	v_add_nc_u32_e32 v10, -15, v8
	v_add_co_u32 v27, vcc_lo, s14, v27
	v_add_co_ci_u32_e64 v28, null, s15, v28, vcc_lo
	v_lshlrev_b64 v[31:32], 3, v[10:11]
	v_add_nc_u32_e32 v10, 2, v12
	v_add_co_u32 v29, vcc_lo, s12, v29
	v_add_co_ci_u32_e64 v30, null, s13, v30, vcc_lo
	v_lshlrev_b64 v[33:34], 3, v[10:11]
	v_add_nc_u32_e32 v10, -6, v8
	v_add_co_u32 v31, vcc_lo, s12, v31
	v_add_co_ci_u32_e64 v32, null, s13, v32, vcc_lo
	v_lshlrev_b64 v[35:36], 3, v[10:11]
	v_add_nc_u32_e32 v10, -14, v8
	v_add_co_u32 v33, vcc_lo, s14, v33
	v_add_co_ci_u32_e64 v34, null, s15, v34, vcc_lo
	v_lshlrev_b64 v[37:38], 3, v[10:11]
	v_add_nc_u32_e32 v10, 3, v12
	v_add_co_u32 v35, vcc_lo, s12, v35
	v_add_co_ci_u32_e64 v36, null, s13, v36, vcc_lo
	;; [unrolled: 12-line block ×6, first 2 shown]
	v_lshlrev_b64 v[9:10], 3, v[10:11]
	v_add_co_u32 v61, vcc_lo, s12, v61
	v_add_co_ci_u32_e64 v62, null, s13, v62, vcc_lo
	v_add_co_u32 v63, vcc_lo, s14, v9
	v_add_co_ci_u32_e64 v64, null, s15, v10, vcc_lo
	v_add_nc_u32_e32 v10, -1, v8
	v_lshlrev_b64 v[65:66], 3, v[10:11]
	v_add_nc_u32_e32 v10, -9, v8
	v_add_nc_u32_e32 v8, 0x120, v8
	v_lshlrev_b64 v[67:68], 3, v[10:11]
	v_add_nc_u32_e32 v10, 8, v12
	v_add_co_u32 v12, vcc_lo, s12, v65
	v_add_co_ci_u32_e64 v13, null, s13, v66, vcc_lo
	global_load_dwordx2 v[19:20], v[19:20], off
	global_load_dwordx2 v[65:66], v[21:22], off
	s_waitcnt vmcnt(0)
	v_fmac_f32_e32 v18, v19, v65
	v_fmac_f32_e32 v15, v20, v65
	v_fma_f32 v7, -v20, v66, v18
	v_fmac_f32_e32 v15, v19, v66
	global_load_dwordx4 v[18:21], v[23:24], off
	s_waitcnt vmcnt(0)
	v_fmac_f32_e32 v17, v18, v65
	v_fmac_f32_e32 v14, v19, v65
	v_fma_f32 v9, -v19, v66, v17
	v_fmac_f32_e32 v14, v18, v66
	global_load_dwordx2 v[17:18], v[27:28], off
	s_clause 0x1
	global_load_dwordx2 v[22:23], v[29:30], off
	global_load_dwordx2 v[27:28], v[31:32], off
	global_load_dwordx2 v[29:30], v[33:34], off
	s_clause 0x1
	global_load_dwordx2 v[31:32], v[35:36], off
	global_load_dwordx2 v[33:34], v[37:38], off
	;; [unrolled: 4-line block ×4, first 2 shown]
	global_load_dwordx2 v[45:46], v[49:50], off
	global_load_dwordx2 v[47:48], v[51:52], off
	s_clause 0x1
	global_load_dwordx2 v[49:50], v[53:54], off
	global_load_dwordx2 v[51:52], v[55:56], off
	;; [unrolled: 1-line block ×3, first 2 shown]
	s_clause 0x1
	global_load_dwordx2 v[55:56], v[59:60], off
	global_load_dwordx2 v[57:58], v[61:62], off
	;; [unrolled: 1-line block ×4, first 2 shown]
	v_add_co_u32 v19, vcc_lo, s12, v67
	s_waitcnt vmcnt(20)
	v_fmac_f32_e32 v9, v20, v17
	v_fmac_f32_e32 v14, v21, v17
	s_waitcnt vmcnt(19)
	v_fmac_f32_e32 v7, v22, v17
	v_fmac_f32_e32 v15, v23, v17
	v_fma_f32 v21, -v21, v18, v9
	v_lshlrev_b64 v[9:10], 3, v[10:11]
	v_fmac_f32_e32 v14, v20, v18
	v_add_co_ci_u32_e64 v20, null, s13, v68, vcc_lo
	v_fma_f32 v7, -v23, v18, v7
	v_fmac_f32_e32 v15, v22, v18
	v_add_co_u32 v9, vcc_lo, s14, v9
	v_add_co_ci_u32_e64 v10, null, s15, v10, vcc_lo
	global_load_dwordx2 v[19:20], v[19:20], off
	global_load_dwordx2 v[9:10], v[9:10], off
	s_waitcnt vmcnt(19)
	v_fmac_f32_e32 v21, v27, v29
	v_fmac_f32_e32 v14, v28, v29
	s_waitcnt vmcnt(18)
	v_fmac_f32_e32 v7, v31, v29
	v_fmac_f32_e32 v15, v32, v29
	v_cmp_ge_i32_e32 vcc_lo, v6, v16
	v_fma_f32 v17, -v28, v30, v21
	v_fmac_f32_e32 v14, v27, v30
	v_fma_f32 v7, -v32, v30, v7
	v_fmac_f32_e32 v15, v31, v30
	s_or_b32 s0, vcc_lo, s0
	s_waitcnt vmcnt(16)
	v_fmac_f32_e32 v17, v33, v35
	v_fmac_f32_e32 v14, v34, v35
	s_waitcnt vmcnt(15)
	v_fmac_f32_e32 v7, v37, v35
	v_fmac_f32_e32 v15, v38, v35
	v_fma_f32 v17, -v34, v36, v17
	v_fmac_f32_e32 v14, v33, v36
	v_fma_f32 v7, -v38, v36, v7
	v_fmac_f32_e32 v15, v37, v36
	s_waitcnt vmcnt(13)
	v_fmac_f32_e32 v17, v39, v41
	v_fmac_f32_e32 v14, v40, v41
	s_waitcnt vmcnt(12)
	v_fmac_f32_e32 v7, v43, v41
	v_fmac_f32_e32 v15, v44, v41
	v_fma_f32 v17, -v40, v42, v17
	v_fmac_f32_e32 v14, v39, v42
	v_fma_f32 v7, -v44, v42, v7
	v_fmac_f32_e32 v15, v43, v42
	;; [unrolled: 10-line block ×5, first 2 shown]
	s_waitcnt vmcnt(0)
	v_fmac_f32_e32 v17, v19, v9
	v_fmac_f32_e32 v14, v20, v9
	;; [unrolled: 1-line block ×4, first 2 shown]
	v_fma_f32 v17, -v20, v10, v17
	v_fmac_f32_e32 v14, v19, v10
	v_fma_f32 v18, -v25, v10, v7
	v_fmac_f32_e32 v15, v24, v10
	s_andn2_b32 exec_lo, exec_lo, s0
	s_cbranch_execnz .LBB189_13
; %bb.14:
	s_or_b32 exec_lo, exec_lo, s0
.LBB189_15:
	s_or_b32 exec_lo, exec_lo, s1
.LBB189_16:
	v_mbcnt_lo_u32_b32 v6, -1, 0
	v_xor_b32_e32 v7, 8, v6
	v_xor_b32_e32 v11, 4, v6
	v_cmp_gt_i32_e32 vcc_lo, 32, v7
	v_cndmask_b32_e32 v7, v6, v7, vcc_lo
	v_cmp_gt_i32_e32 vcc_lo, 32, v11
	v_lshlrev_b32_e32 v7, 2, v7
	v_cndmask_b32_e32 v11, v6, v11, vcc_lo
	ds_bpermute_b32 v8, v7, v17
	ds_bpermute_b32 v9, v7, v14
	;; [unrolled: 1-line block ×4, first 2 shown]
	v_lshlrev_b32_e32 v11, 2, v11
	s_waitcnt lgkmcnt(3)
	v_add_f32_e32 v8, v17, v8
	s_waitcnt lgkmcnt(2)
	v_add_f32_e32 v9, v14, v9
	;; [unrolled: 2-line block ×4, first 2 shown]
	v_xor_b32_e32 v15, 2, v6
	ds_bpermute_b32 v12, v11, v8
	ds_bpermute_b32 v13, v11, v9
	;; [unrolled: 1-line block ×4, first 2 shown]
	v_cmp_gt_i32_e32 vcc_lo, 32, v15
	v_cndmask_b32_e32 v15, v6, v15, vcc_lo
	v_lshlrev_b32_e32 v15, 2, v15
	s_waitcnt lgkmcnt(3)
	v_add_f32_e32 v8, v8, v12
	s_waitcnt lgkmcnt(2)
	v_add_f32_e32 v9, v9, v13
	;; [unrolled: 2-line block ×4, first 2 shown]
	ds_bpermute_b32 v11, v15, v8
	ds_bpermute_b32 v12, v15, v9
	;; [unrolled: 1-line block ×4, first 2 shown]
	v_xor_b32_e32 v15, 1, v6
	v_cmp_gt_i32_e32 vcc_lo, 32, v15
	v_cndmask_b32_e32 v6, v6, v15, vcc_lo
	v_cmp_eq_u32_e32 vcc_lo, 15, v0
	v_lshlrev_b32_e32 v15, 2, v6
	s_waitcnt lgkmcnt(3)
	v_add_f32_e32 v8, v8, v11
	s_waitcnt lgkmcnt(2)
	v_add_f32_e32 v9, v9, v12
	;; [unrolled: 2-line block ×4, first 2 shown]
	ds_bpermute_b32 v12, v15, v8
	ds_bpermute_b32 v13, v15, v9
	;; [unrolled: 1-line block ×4, first 2 shown]
	s_and_b32 exec_lo, exec_lo, vcc_lo
	s_cbranch_execz .LBB189_21
; %bb.17:
	s_load_dwordx2 s[2:3], s[4:5], 0x38
	v_cmp_eq_f32_e32 vcc_lo, 0, v3
	v_cmp_eq_f32_e64 s0, 0, v4
	s_waitcnt lgkmcnt(0)
	v_add_f32_e32 v0, v8, v12
	v_add_f32_e32 v8, v9, v13
	;; [unrolled: 1-line block ×4, first 2 shown]
	s_and_b32 s0, vcc_lo, s0
	s_and_saveexec_b32 s1, s0
	s_xor_b32 s0, exec_lo, s1
	s_cbranch_execz .LBB189_19
; %bb.18:
	v_lshlrev_b32_e32 v3, 1, v5
	v_mul_f32_e64 v9, v8, -v2
	v_mul_f32_e32 v10, v1, v8
	v_mul_f32_e64 v11, v7, -v2
	v_mul_f32_e32 v12, v1, v7
	v_ashrrev_i32_e32 v4, 31, v3
	v_fmac_f32_e32 v9, v1, v0
	v_fmac_f32_e32 v10, v2, v0
	;; [unrolled: 1-line block ×4, first 2 shown]
	v_lshlrev_b64 v[3:4], 3, v[3:4]
                                        ; implicit-def: $vgpr5
                                        ; implicit-def: $vgpr8
                                        ; implicit-def: $vgpr7
                                        ; implicit-def: $vgpr6
	v_add_co_u32 v0, vcc_lo, s2, v3
	v_add_co_ci_u32_e64 v1, null, s3, v4, vcc_lo
                                        ; implicit-def: $vgpr3_vgpr4
	global_store_dwordx4 v[0:1], v[9:12], off
                                        ; implicit-def: $vgpr1_vgpr2
                                        ; implicit-def: $vgpr0
.LBB189_19:
	s_andn2_saveexec_b32 s0, s0
	s_cbranch_execz .LBB189_21
; %bb.20:
	v_lshlrev_b32_e32 v9, 1, v5
	v_mul_f32_e64 v5, v8, -v2
	v_mul_f32_e32 v14, v1, v8
	v_mul_f32_e64 v8, v7, -v2
	v_mul_f32_e32 v16, v1, v7
	v_ashrrev_i32_e32 v10, 31, v9
	v_fmac_f32_e32 v5, v1, v0
	v_fmac_f32_e32 v14, v2, v0
	v_fmac_f32_e32 v8, v1, v6
	v_fmac_f32_e32 v16, v2, v6
	v_lshlrev_b64 v[9:10], 3, v[9:10]
	v_add_co_u32 v17, vcc_lo, s2, v9
	v_add_co_ci_u32_e64 v18, null, s3, v10, vcc_lo
	global_load_dwordx4 v[9:12], v[17:18], off
	s_waitcnt vmcnt(0)
	v_fmac_f32_e32 v5, v3, v9
	v_fmac_f32_e32 v14, v4, v9
	;; [unrolled: 1-line block ×4, first 2 shown]
	v_fma_f32 v13, -v4, v10, v5
	v_fmac_f32_e32 v14, v3, v10
	v_fma_f32 v15, -v4, v12, v8
	v_fmac_f32_e32 v16, v3, v12
	global_store_dwordx4 v[17:18], v[13:16], off
.LBB189_21:
	s_endpgm
	.section	.rodata,"a",@progbits
	.p2align	6, 0x0
	.amdhsa_kernel _ZN9rocsparseL19gebsrmvn_2xn_kernelILj128ELj9ELj16E21rocsparse_complex_numIfEEEvi20rocsparse_direction_NS_24const_host_device_scalarIT2_EEPKiS8_PKS5_SA_S6_PS5_21rocsparse_index_base_b
		.amdhsa_group_segment_fixed_size 0
		.amdhsa_private_segment_fixed_size 0
		.amdhsa_kernarg_size 72
		.amdhsa_user_sgpr_count 6
		.amdhsa_user_sgpr_private_segment_buffer 1
		.amdhsa_user_sgpr_dispatch_ptr 0
		.amdhsa_user_sgpr_queue_ptr 0
		.amdhsa_user_sgpr_kernarg_segment_ptr 1
		.amdhsa_user_sgpr_dispatch_id 0
		.amdhsa_user_sgpr_flat_scratch_init 0
		.amdhsa_user_sgpr_private_segment_size 0
		.amdhsa_wavefront_size32 1
		.amdhsa_uses_dynamic_stack 0
		.amdhsa_system_sgpr_private_segment_wavefront_offset 0
		.amdhsa_system_sgpr_workgroup_id_x 1
		.amdhsa_system_sgpr_workgroup_id_y 0
		.amdhsa_system_sgpr_workgroup_id_z 0
		.amdhsa_system_sgpr_workgroup_info 0
		.amdhsa_system_vgpr_workitem_id 0
		.amdhsa_next_free_vgpr 69
		.amdhsa_next_free_sgpr 16
		.amdhsa_reserve_vcc 1
		.amdhsa_reserve_flat_scratch 0
		.amdhsa_float_round_mode_32 0
		.amdhsa_float_round_mode_16_64 0
		.amdhsa_float_denorm_mode_32 3
		.amdhsa_float_denorm_mode_16_64 3
		.amdhsa_dx10_clamp 1
		.amdhsa_ieee_mode 1
		.amdhsa_fp16_overflow 0
		.amdhsa_workgroup_processor_mode 1
		.amdhsa_memory_ordered 1
		.amdhsa_forward_progress 1
		.amdhsa_shared_vgpr_count 0
		.amdhsa_exception_fp_ieee_invalid_op 0
		.amdhsa_exception_fp_denorm_src 0
		.amdhsa_exception_fp_ieee_div_zero 0
		.amdhsa_exception_fp_ieee_overflow 0
		.amdhsa_exception_fp_ieee_underflow 0
		.amdhsa_exception_fp_ieee_inexact 0
		.amdhsa_exception_int_div_zero 0
	.end_amdhsa_kernel
	.section	.text._ZN9rocsparseL19gebsrmvn_2xn_kernelILj128ELj9ELj16E21rocsparse_complex_numIfEEEvi20rocsparse_direction_NS_24const_host_device_scalarIT2_EEPKiS8_PKS5_SA_S6_PS5_21rocsparse_index_base_b,"axG",@progbits,_ZN9rocsparseL19gebsrmvn_2xn_kernelILj128ELj9ELj16E21rocsparse_complex_numIfEEEvi20rocsparse_direction_NS_24const_host_device_scalarIT2_EEPKiS8_PKS5_SA_S6_PS5_21rocsparse_index_base_b,comdat
.Lfunc_end189:
	.size	_ZN9rocsparseL19gebsrmvn_2xn_kernelILj128ELj9ELj16E21rocsparse_complex_numIfEEEvi20rocsparse_direction_NS_24const_host_device_scalarIT2_EEPKiS8_PKS5_SA_S6_PS5_21rocsparse_index_base_b, .Lfunc_end189-_ZN9rocsparseL19gebsrmvn_2xn_kernelILj128ELj9ELj16E21rocsparse_complex_numIfEEEvi20rocsparse_direction_NS_24const_host_device_scalarIT2_EEPKiS8_PKS5_SA_S6_PS5_21rocsparse_index_base_b
                                        ; -- End function
	.set _ZN9rocsparseL19gebsrmvn_2xn_kernelILj128ELj9ELj16E21rocsparse_complex_numIfEEEvi20rocsparse_direction_NS_24const_host_device_scalarIT2_EEPKiS8_PKS5_SA_S6_PS5_21rocsparse_index_base_b.num_vgpr, 69
	.set _ZN9rocsparseL19gebsrmvn_2xn_kernelILj128ELj9ELj16E21rocsparse_complex_numIfEEEvi20rocsparse_direction_NS_24const_host_device_scalarIT2_EEPKiS8_PKS5_SA_S6_PS5_21rocsparse_index_base_b.num_agpr, 0
	.set _ZN9rocsparseL19gebsrmvn_2xn_kernelILj128ELj9ELj16E21rocsparse_complex_numIfEEEvi20rocsparse_direction_NS_24const_host_device_scalarIT2_EEPKiS8_PKS5_SA_S6_PS5_21rocsparse_index_base_b.numbered_sgpr, 16
	.set _ZN9rocsparseL19gebsrmvn_2xn_kernelILj128ELj9ELj16E21rocsparse_complex_numIfEEEvi20rocsparse_direction_NS_24const_host_device_scalarIT2_EEPKiS8_PKS5_SA_S6_PS5_21rocsparse_index_base_b.num_named_barrier, 0
	.set _ZN9rocsparseL19gebsrmvn_2xn_kernelILj128ELj9ELj16E21rocsparse_complex_numIfEEEvi20rocsparse_direction_NS_24const_host_device_scalarIT2_EEPKiS8_PKS5_SA_S6_PS5_21rocsparse_index_base_b.private_seg_size, 0
	.set _ZN9rocsparseL19gebsrmvn_2xn_kernelILj128ELj9ELj16E21rocsparse_complex_numIfEEEvi20rocsparse_direction_NS_24const_host_device_scalarIT2_EEPKiS8_PKS5_SA_S6_PS5_21rocsparse_index_base_b.uses_vcc, 1
	.set _ZN9rocsparseL19gebsrmvn_2xn_kernelILj128ELj9ELj16E21rocsparse_complex_numIfEEEvi20rocsparse_direction_NS_24const_host_device_scalarIT2_EEPKiS8_PKS5_SA_S6_PS5_21rocsparse_index_base_b.uses_flat_scratch, 0
	.set _ZN9rocsparseL19gebsrmvn_2xn_kernelILj128ELj9ELj16E21rocsparse_complex_numIfEEEvi20rocsparse_direction_NS_24const_host_device_scalarIT2_EEPKiS8_PKS5_SA_S6_PS5_21rocsparse_index_base_b.has_dyn_sized_stack, 0
	.set _ZN9rocsparseL19gebsrmvn_2xn_kernelILj128ELj9ELj16E21rocsparse_complex_numIfEEEvi20rocsparse_direction_NS_24const_host_device_scalarIT2_EEPKiS8_PKS5_SA_S6_PS5_21rocsparse_index_base_b.has_recursion, 0
	.set _ZN9rocsparseL19gebsrmvn_2xn_kernelILj128ELj9ELj16E21rocsparse_complex_numIfEEEvi20rocsparse_direction_NS_24const_host_device_scalarIT2_EEPKiS8_PKS5_SA_S6_PS5_21rocsparse_index_base_b.has_indirect_call, 0
	.section	.AMDGPU.csdata,"",@progbits
; Kernel info:
; codeLenInByte = 3616
; TotalNumSgprs: 18
; NumVgprs: 69
; ScratchSize: 0
; MemoryBound: 0
; FloatMode: 240
; IeeeMode: 1
; LDSByteSize: 0 bytes/workgroup (compile time only)
; SGPRBlocks: 0
; VGPRBlocks: 8
; NumSGPRsForWavesPerEU: 18
; NumVGPRsForWavesPerEU: 69
; Occupancy: 12
; WaveLimiterHint : 1
; COMPUTE_PGM_RSRC2:SCRATCH_EN: 0
; COMPUTE_PGM_RSRC2:USER_SGPR: 6
; COMPUTE_PGM_RSRC2:TRAP_HANDLER: 0
; COMPUTE_PGM_RSRC2:TGID_X_EN: 1
; COMPUTE_PGM_RSRC2:TGID_Y_EN: 0
; COMPUTE_PGM_RSRC2:TGID_Z_EN: 0
; COMPUTE_PGM_RSRC2:TIDIG_COMP_CNT: 0
	.section	.text._ZN9rocsparseL19gebsrmvn_2xn_kernelILj128ELj9ELj32E21rocsparse_complex_numIfEEEvi20rocsparse_direction_NS_24const_host_device_scalarIT2_EEPKiS8_PKS5_SA_S6_PS5_21rocsparse_index_base_b,"axG",@progbits,_ZN9rocsparseL19gebsrmvn_2xn_kernelILj128ELj9ELj32E21rocsparse_complex_numIfEEEvi20rocsparse_direction_NS_24const_host_device_scalarIT2_EEPKiS8_PKS5_SA_S6_PS5_21rocsparse_index_base_b,comdat
	.globl	_ZN9rocsparseL19gebsrmvn_2xn_kernelILj128ELj9ELj32E21rocsparse_complex_numIfEEEvi20rocsparse_direction_NS_24const_host_device_scalarIT2_EEPKiS8_PKS5_SA_S6_PS5_21rocsparse_index_base_b ; -- Begin function _ZN9rocsparseL19gebsrmvn_2xn_kernelILj128ELj9ELj32E21rocsparse_complex_numIfEEEvi20rocsparse_direction_NS_24const_host_device_scalarIT2_EEPKiS8_PKS5_SA_S6_PS5_21rocsparse_index_base_b
	.p2align	8
	.type	_ZN9rocsparseL19gebsrmvn_2xn_kernelILj128ELj9ELj32E21rocsparse_complex_numIfEEEvi20rocsparse_direction_NS_24const_host_device_scalarIT2_EEPKiS8_PKS5_SA_S6_PS5_21rocsparse_index_base_b,@function
_ZN9rocsparseL19gebsrmvn_2xn_kernelILj128ELj9ELj32E21rocsparse_complex_numIfEEEvi20rocsparse_direction_NS_24const_host_device_scalarIT2_EEPKiS8_PKS5_SA_S6_PS5_21rocsparse_index_base_b: ; @_ZN9rocsparseL19gebsrmvn_2xn_kernelILj128ELj9ELj32E21rocsparse_complex_numIfEEEvi20rocsparse_direction_NS_24const_host_device_scalarIT2_EEPKiS8_PKS5_SA_S6_PS5_21rocsparse_index_base_b
; %bb.0:
	s_clause 0x2
	s_load_dwordx2 s[2:3], s[4:5], 0x40
	s_load_dwordx2 s[0:1], s[4:5], 0x8
	;; [unrolled: 1-line block ×3, first 2 shown]
	s_add_u32 s7, s4, 8
	s_addc_u32 s10, s5, 0
	s_add_u32 s11, s4, 48
	s_addc_u32 s12, s5, 0
	s_waitcnt lgkmcnt(0)
	s_bitcmp1_b32 s3, 0
	s_cselect_b32 s0, s7, s0
	s_cselect_b32 s1, s10, s1
	v_mov_b32_e32 v1, s0
	v_mov_b32_e32 v2, s1
	s_cselect_b32 s0, s11, s8
	s_cselect_b32 s1, s12, s9
	v_mov_b32_e32 v3, s0
	v_mov_b32_e32 v4, s1
	flat_load_dwordx2 v[1:2], v[1:2]
	flat_load_dwordx2 v[3:4], v[3:4]
	s_waitcnt vmcnt(1) lgkmcnt(1)
	v_cmp_eq_f32_e32 vcc_lo, 0, v1
	v_cmp_eq_f32_e64 s0, 0, v2
	s_and_b32 s3, vcc_lo, s0
	s_mov_b32 s0, -1
	s_and_saveexec_b32 s1, s3
	s_cbranch_execz .LBB190_2
; %bb.1:
	s_waitcnt vmcnt(0) lgkmcnt(0)
	v_cmp_neq_f32_e32 vcc_lo, 1.0, v3
	v_cmp_neq_f32_e64 s0, 0, v4
	s_or_b32 s0, vcc_lo, s0
	s_orn2_b32 s0, s0, exec_lo
.LBB190_2:
	s_or_b32 exec_lo, exec_lo, s1
	s_and_saveexec_b32 s1, s0
	s_cbranch_execz .LBB190_21
; %bb.3:
	s_load_dwordx2 s[0:1], s[4:5], 0x0
	v_lshrrev_b32_e32 v5, 5, v0
	v_lshl_or_b32 v5, s6, 2, v5
	s_waitcnt lgkmcnt(0)
	v_cmp_gt_i32_e32 vcc_lo, s0, v5
	s_and_b32 exec_lo, exec_lo, vcc_lo
	s_cbranch_execz .LBB190_21
; %bb.4:
	s_load_dwordx8 s[8:15], s[4:5], 0x10
	v_ashrrev_i32_e32 v6, 31, v5
	v_and_b32_e32 v0, 31, v0
	s_cmp_lg_u32 s1, 0
	v_lshlrev_b64 v[6:7], 2, v[5:6]
	s_waitcnt lgkmcnt(0)
	v_add_co_u32 v6, vcc_lo, s8, v6
	v_add_co_ci_u32_e64 v7, null, s9, v7, vcc_lo
	global_load_dwordx2 v[6:7], v[6:7], off
	s_waitcnt vmcnt(0)
	v_subrev_nc_u32_e32 v6, s2, v6
	v_subrev_nc_u32_e32 v16, s2, v7
	v_add_nc_u32_e32 v6, v6, v0
	v_cmp_lt_i32_e64 s0, v6, v16
	s_cbranch_scc0 .LBB190_10
; %bb.5:
	v_mov_b32_e32 v14, 0
	v_mov_b32_e32 v17, 0
	;; [unrolled: 1-line block ×4, first 2 shown]
	s_and_saveexec_b32 s1, s0
	s_cbranch_execz .LBB190_9
; %bb.6:
	v_mad_u64_u32 v[7:8], null, v6, 18, 16
	v_mov_b32_e32 v10, 0
	v_mov_b32_e32 v11, v6
	;; [unrolled: 1-line block ×6, first 2 shown]
	s_mov_b32 s3, 0
.LBB190_7:                              ; =>This Inner Loop Header: Depth=1
	v_ashrrev_i32_e32 v12, 31, v11
	v_mov_b32_e32 v13, v10
	v_lshlrev_b64 v[8:9], 2, v[11:12]
	v_add_nc_u32_e32 v11, 32, v11
	v_add_co_u32 v8, vcc_lo, s10, v8
	v_add_co_ci_u32_e64 v9, null, s11, v9, vcc_lo
	global_load_dword v12, v[8:9], off
	v_add_nc_u32_e32 v9, -16, v7
	v_mov_b32_e32 v8, v10
	v_lshlrev_b64 v[19:20], 3, v[9:10]
	v_add_nc_u32_e32 v9, -14, v7
	v_lshlrev_b64 v[21:22], 3, v[7:8]
	v_lshlrev_b64 v[8:9], 3, v[9:10]
	v_add_co_u32 v19, vcc_lo, s12, v19
	v_add_co_ci_u32_e64 v20, null, s13, v20, vcc_lo
	v_add_co_u32 v51, vcc_lo, s12, v21
	v_add_co_ci_u32_e64 v52, null, s13, v22, vcc_lo
	;; [unrolled: 2-line block ×3, first 2 shown]
	s_clause 0x1
	global_load_dwordx4 v[19:22], v[19:20], off
	global_load_dwordx4 v[23:26], v[8:9], off
	s_waitcnt vmcnt(2)
	v_subrev_nc_u32_e32 v8, s2, v12
	v_lshl_add_u32 v12, v8, 3, v8
	v_lshlrev_b64 v[27:28], 3, v[12:13]
	v_add_nc_u32_e32 v9, 1, v12
	v_lshlrev_b64 v[29:30], 3, v[9:10]
	v_add_co_u32 v27, vcc_lo, s14, v27
	v_add_co_ci_u32_e64 v28, null, s15, v28, vcc_lo
	v_add_nc_u32_e32 v9, -12, v7
	v_add_co_u32 v29, vcc_lo, s14, v29
	global_load_dwordx2 v[55:56], v[27:28], off
	v_add_co_ci_u32_e64 v30, null, s15, v30, vcc_lo
	v_lshlrev_b64 v[31:32], 3, v[9:10]
	v_add_nc_u32_e32 v9, 2, v12
	global_load_dwordx2 v[57:58], v[29:30], off
	v_lshlrev_b64 v[27:28], 3, v[9:10]
	v_add_nc_u32_e32 v9, -10, v7
	v_add_co_u32 v29, vcc_lo, s12, v31
	v_add_co_ci_u32_e64 v30, null, s13, v32, vcc_lo
	v_lshlrev_b64 v[31:32], 3, v[9:10]
	v_add_nc_u32_e32 v9, 3, v12
	v_add_co_u32 v33, vcc_lo, s14, v27
	v_add_co_ci_u32_e64 v34, null, s15, v28, vcc_lo
	v_lshlrev_b64 v[35:36], 3, v[9:10]
	v_add_nc_u32_e32 v9, -8, v7
	global_load_dwordx4 v[27:30], v[29:30], off
	global_load_dwordx2 v[59:60], v[33:34], off
	v_add_co_u32 v31, vcc_lo, s12, v31
	v_lshlrev_b64 v[37:38], 3, v[9:10]
	v_add_nc_u32_e32 v9, 4, v12
	v_add_co_ci_u32_e64 v32, null, s13, v32, vcc_lo
	v_add_co_u32 v35, vcc_lo, s14, v35
	v_add_co_ci_u32_e64 v36, null, s15, v36, vcc_lo
	v_lshlrev_b64 v[39:40], 3, v[9:10]
	v_add_nc_u32_e32 v9, -6, v7
	global_load_dwordx2 v[61:62], v[35:36], off
	global_load_dwordx4 v[31:34], v[31:32], off
	v_add_co_u32 v35, vcc_lo, s12, v37
	v_lshlrev_b64 v[41:42], 3, v[9:10]
	v_add_nc_u32_e32 v9, 5, v12
	v_add_co_ci_u32_e64 v36, null, s13, v38, vcc_lo
	v_add_co_u32 v39, vcc_lo, s14, v39
	v_add_co_ci_u32_e64 v40, null, s15, v40, vcc_lo
	v_lshlrev_b64 v[43:44], 3, v[9:10]
	v_add_nc_u32_e32 v9, -4, v7
	global_load_dwordx4 v[35:38], v[35:36], off
	global_load_dwordx2 v[63:64], v[39:40], off
	v_add_co_u32 v39, vcc_lo, s12, v41
	v_lshlrev_b64 v[45:46], 3, v[9:10]
	v_add_nc_u32_e32 v9, 6, v12
	v_add_co_ci_u32_e64 v40, null, s13, v42, vcc_lo
	v_add_co_u32 v43, vcc_lo, s14, v43
	v_add_co_ci_u32_e64 v44, null, s15, v44, vcc_lo
	v_lshlrev_b64 v[47:48], 3, v[9:10]
	v_add_nc_u32_e32 v9, -2, v7
	global_load_dwordx4 v[39:42], v[39:40], off
	global_load_dwordx2 v[65:66], v[43:44], off
	v_add_co_u32 v43, vcc_lo, s12, v45
	v_add_co_ci_u32_e64 v44, null, s13, v46, vcc_lo
	v_lshlrev_b64 v[49:50], 3, v[9:10]
	v_add_nc_u32_e32 v9, 7, v12
	v_add_co_u32 v47, vcc_lo, s14, v47
	v_add_co_ci_u32_e64 v48, null, s15, v48, vcc_lo
	v_lshlrev_b64 v[53:54], 3, v[9:10]
	global_load_dwordx4 v[43:46], v[43:44], off
	v_add_nc_u32_e32 v9, 8, v12
	global_load_dwordx2 v[67:68], v[47:48], off
	v_add_co_u32 v12, vcc_lo, s12, v49
	v_add_co_ci_u32_e64 v13, null, s13, v50, vcc_lo
	v_add_co_u32 v53, vcc_lo, s14, v53
	v_add_co_ci_u32_e64 v54, null, s15, v54, vcc_lo
	v_lshlrev_b64 v[8:9], 3, v[9:10]
	global_load_dwordx4 v[47:50], v[12:13], off
	global_load_dwordx2 v[12:13], v[53:54], off
	v_add_nc_u32_e32 v7, 0x240, v7
	v_add_co_u32 v8, vcc_lo, s14, v8
	v_add_co_ci_u32_e64 v9, null, s15, v9, vcc_lo
	global_load_dwordx4 v[51:54], v[51:52], off
	global_load_dwordx2 v[8:9], v[8:9], off
	v_cmp_ge_i32_e32 vcc_lo, v11, v16
	s_or_b32 s3, vcc_lo, s3
	s_waitcnt vmcnt(15)
	v_fmac_f32_e32 v17, v19, v55
	v_fmac_f32_e32 v14, v20, v55
	v_fmac_f32_e32 v18, v21, v55
	v_fmac_f32_e32 v15, v22, v55
	v_fma_f32 v17, -v20, v56, v17
	v_fmac_f32_e32 v14, v19, v56
	v_fma_f32 v18, -v22, v56, v18
	v_fmac_f32_e32 v15, v21, v56
	s_waitcnt vmcnt(14)
	v_fmac_f32_e32 v17, v23, v57
	v_fmac_f32_e32 v14, v24, v57
	v_fmac_f32_e32 v18, v25, v57
	v_fmac_f32_e32 v15, v26, v57
	v_fma_f32 v17, -v24, v58, v17
	v_fmac_f32_e32 v14, v23, v58
	v_fma_f32 v18, -v26, v58, v18
	v_fmac_f32_e32 v15, v25, v58
	;; [unrolled: 9-line block ×9, first 2 shown]
	s_andn2_b32 exec_lo, exec_lo, s3
	s_cbranch_execnz .LBB190_7
; %bb.8:
	s_or_b32 exec_lo, exec_lo, s3
.LBB190_9:
	s_or_b32 exec_lo, exec_lo, s1
	s_cbranch_execz .LBB190_11
	s_branch .LBB190_16
.LBB190_10:
                                        ; implicit-def: $vgpr14
                                        ; implicit-def: $vgpr17
                                        ; implicit-def: $vgpr18
                                        ; implicit-def: $vgpr15
.LBB190_11:
	v_mov_b32_e32 v14, 0
	v_mov_b32_e32 v17, 0
	;; [unrolled: 1-line block ×4, first 2 shown]
	s_and_saveexec_b32 s1, s0
	s_cbranch_execz .LBB190_15
; %bb.12:
	v_mad_u64_u32 v[8:9], null, v6, 18, 17
	v_mov_b32_e32 v11, 0
	v_mov_b32_e32 v14, 0
	;; [unrolled: 1-line block ×5, first 2 shown]
	s_mov_b32 s0, 0
.LBB190_13:                             ; =>This Inner Loop Header: Depth=1
	v_ashrrev_i32_e32 v7, 31, v6
	v_subrev_nc_u32_e32 v10, 17, v8
	v_add_nc_u32_e32 v19, -8, v8
	v_mov_b32_e32 v20, v11
	v_mov_b32_e32 v9, v11
	v_lshlrev_b64 v[21:22], 2, v[6:7]
	v_lshlrev_b64 v[23:24], 3, v[10:11]
	v_mov_b32_e32 v13, v11
	v_lshlrev_b64 v[19:20], 3, v[19:20]
	v_lshlrev_b64 v[9:10], 3, v[8:9]
	v_add_nc_u32_e32 v6, 32, v6
	v_add_co_u32 v21, vcc_lo, s10, v21
	v_add_co_ci_u32_e64 v22, null, s11, v22, vcc_lo
	v_add_co_u32 v23, vcc_lo, s12, v23
	v_add_co_ci_u32_e64 v24, null, s13, v24, vcc_lo
	global_load_dword v7, v[21:22], off
	v_add_co_u32 v19, vcc_lo, s12, v19
	v_add_co_ci_u32_e64 v20, null, s13, v20, vcc_lo
	v_add_co_u32 v25, vcc_lo, s12, v9
	v_add_co_ci_u32_e64 v26, null, s13, v10, vcc_lo
	s_waitcnt vmcnt(0)
	v_subrev_nc_u32_e32 v7, s2, v7
	v_lshl_add_u32 v12, v7, 3, v7
	v_add_nc_u32_e32 v10, 1, v12
	v_lshlrev_b64 v[21:22], 3, v[12:13]
	v_lshlrev_b64 v[27:28], 3, v[10:11]
	v_add_nc_u32_e32 v10, -7, v8
	v_add_co_u32 v21, vcc_lo, s14, v21
	v_add_co_ci_u32_e64 v22, null, s15, v22, vcc_lo
	v_lshlrev_b64 v[29:30], 3, v[10:11]
	v_add_nc_u32_e32 v10, -15, v8
	v_add_co_u32 v27, vcc_lo, s14, v27
	v_add_co_ci_u32_e64 v28, null, s15, v28, vcc_lo
	v_lshlrev_b64 v[31:32], 3, v[10:11]
	v_add_nc_u32_e32 v10, 2, v12
	v_add_co_u32 v29, vcc_lo, s12, v29
	v_add_co_ci_u32_e64 v30, null, s13, v30, vcc_lo
	v_lshlrev_b64 v[33:34], 3, v[10:11]
	v_add_nc_u32_e32 v10, -6, v8
	v_add_co_u32 v31, vcc_lo, s12, v31
	v_add_co_ci_u32_e64 v32, null, s13, v32, vcc_lo
	v_lshlrev_b64 v[35:36], 3, v[10:11]
	v_add_nc_u32_e32 v10, -14, v8
	v_add_co_u32 v33, vcc_lo, s14, v33
	v_add_co_ci_u32_e64 v34, null, s15, v34, vcc_lo
	v_lshlrev_b64 v[37:38], 3, v[10:11]
	v_add_nc_u32_e32 v10, 3, v12
	v_add_co_u32 v35, vcc_lo, s12, v35
	v_add_co_ci_u32_e64 v36, null, s13, v36, vcc_lo
	;; [unrolled: 12-line block ×6, first 2 shown]
	v_lshlrev_b64 v[9:10], 3, v[10:11]
	v_add_co_u32 v61, vcc_lo, s12, v61
	v_add_co_ci_u32_e64 v62, null, s13, v62, vcc_lo
	v_add_co_u32 v63, vcc_lo, s14, v9
	v_add_co_ci_u32_e64 v64, null, s15, v10, vcc_lo
	v_add_nc_u32_e32 v10, -1, v8
	v_lshlrev_b64 v[65:66], 3, v[10:11]
	v_add_nc_u32_e32 v10, -9, v8
	v_add_nc_u32_e32 v8, 0x240, v8
	v_lshlrev_b64 v[67:68], 3, v[10:11]
	v_add_nc_u32_e32 v10, 8, v12
	v_add_co_u32 v12, vcc_lo, s12, v65
	v_add_co_ci_u32_e64 v13, null, s13, v66, vcc_lo
	global_load_dwordx2 v[19:20], v[19:20], off
	global_load_dwordx2 v[65:66], v[21:22], off
	s_waitcnt vmcnt(0)
	v_fmac_f32_e32 v18, v19, v65
	v_fmac_f32_e32 v15, v20, v65
	v_fma_f32 v7, -v20, v66, v18
	v_fmac_f32_e32 v15, v19, v66
	global_load_dwordx4 v[18:21], v[23:24], off
	s_waitcnt vmcnt(0)
	v_fmac_f32_e32 v17, v18, v65
	v_fmac_f32_e32 v14, v19, v65
	v_fma_f32 v9, -v19, v66, v17
	v_fmac_f32_e32 v14, v18, v66
	global_load_dwordx2 v[17:18], v[27:28], off
	s_clause 0x1
	global_load_dwordx2 v[22:23], v[29:30], off
	global_load_dwordx2 v[27:28], v[31:32], off
	global_load_dwordx2 v[29:30], v[33:34], off
	s_clause 0x1
	global_load_dwordx2 v[31:32], v[35:36], off
	global_load_dwordx2 v[33:34], v[37:38], off
	;; [unrolled: 4-line block ×4, first 2 shown]
	global_load_dwordx2 v[45:46], v[49:50], off
	global_load_dwordx2 v[47:48], v[51:52], off
	s_clause 0x1
	global_load_dwordx2 v[49:50], v[53:54], off
	global_load_dwordx2 v[51:52], v[55:56], off
	;; [unrolled: 1-line block ×3, first 2 shown]
	s_clause 0x1
	global_load_dwordx2 v[55:56], v[59:60], off
	global_load_dwordx2 v[57:58], v[61:62], off
	;; [unrolled: 1-line block ×4, first 2 shown]
	v_add_co_u32 v19, vcc_lo, s12, v67
	s_waitcnt vmcnt(20)
	v_fmac_f32_e32 v9, v20, v17
	v_fmac_f32_e32 v14, v21, v17
	s_waitcnt vmcnt(19)
	v_fmac_f32_e32 v7, v22, v17
	v_fmac_f32_e32 v15, v23, v17
	v_fma_f32 v21, -v21, v18, v9
	v_lshlrev_b64 v[9:10], 3, v[10:11]
	v_fmac_f32_e32 v14, v20, v18
	v_add_co_ci_u32_e64 v20, null, s13, v68, vcc_lo
	v_fma_f32 v7, -v23, v18, v7
	v_fmac_f32_e32 v15, v22, v18
	v_add_co_u32 v9, vcc_lo, s14, v9
	v_add_co_ci_u32_e64 v10, null, s15, v10, vcc_lo
	global_load_dwordx2 v[19:20], v[19:20], off
	global_load_dwordx2 v[9:10], v[9:10], off
	s_waitcnt vmcnt(19)
	v_fmac_f32_e32 v21, v27, v29
	v_fmac_f32_e32 v14, v28, v29
	s_waitcnt vmcnt(18)
	v_fmac_f32_e32 v7, v31, v29
	v_fmac_f32_e32 v15, v32, v29
	v_cmp_ge_i32_e32 vcc_lo, v6, v16
	v_fma_f32 v17, -v28, v30, v21
	v_fmac_f32_e32 v14, v27, v30
	v_fma_f32 v7, -v32, v30, v7
	v_fmac_f32_e32 v15, v31, v30
	s_or_b32 s0, vcc_lo, s0
	s_waitcnt vmcnt(16)
	v_fmac_f32_e32 v17, v33, v35
	v_fmac_f32_e32 v14, v34, v35
	s_waitcnt vmcnt(15)
	v_fmac_f32_e32 v7, v37, v35
	v_fmac_f32_e32 v15, v38, v35
	v_fma_f32 v17, -v34, v36, v17
	v_fmac_f32_e32 v14, v33, v36
	v_fma_f32 v7, -v38, v36, v7
	v_fmac_f32_e32 v15, v37, v36
	s_waitcnt vmcnt(13)
	v_fmac_f32_e32 v17, v39, v41
	v_fmac_f32_e32 v14, v40, v41
	s_waitcnt vmcnt(12)
	v_fmac_f32_e32 v7, v43, v41
	v_fmac_f32_e32 v15, v44, v41
	v_fma_f32 v17, -v40, v42, v17
	v_fmac_f32_e32 v14, v39, v42
	v_fma_f32 v7, -v44, v42, v7
	v_fmac_f32_e32 v15, v43, v42
	;; [unrolled: 10-line block ×5, first 2 shown]
	s_waitcnt vmcnt(0)
	v_fmac_f32_e32 v17, v19, v9
	v_fmac_f32_e32 v14, v20, v9
	;; [unrolled: 1-line block ×4, first 2 shown]
	v_fma_f32 v17, -v20, v10, v17
	v_fmac_f32_e32 v14, v19, v10
	v_fma_f32 v18, -v25, v10, v7
	v_fmac_f32_e32 v15, v24, v10
	s_andn2_b32 exec_lo, exec_lo, s0
	s_cbranch_execnz .LBB190_13
; %bb.14:
	s_or_b32 exec_lo, exec_lo, s0
.LBB190_15:
	s_or_b32 exec_lo, exec_lo, s1
.LBB190_16:
	v_mbcnt_lo_u32_b32 v6, -1, 0
	v_xor_b32_e32 v7, 16, v6
	v_xor_b32_e32 v11, 8, v6
	v_cmp_gt_i32_e32 vcc_lo, 32, v7
	v_cndmask_b32_e32 v7, v6, v7, vcc_lo
	v_cmp_gt_i32_e32 vcc_lo, 32, v11
	v_lshlrev_b32_e32 v7, 2, v7
	v_cndmask_b32_e32 v11, v6, v11, vcc_lo
	ds_bpermute_b32 v8, v7, v17
	ds_bpermute_b32 v9, v7, v14
	;; [unrolled: 1-line block ×4, first 2 shown]
	v_lshlrev_b32_e32 v11, 2, v11
	s_waitcnt lgkmcnt(3)
	v_add_f32_e32 v8, v17, v8
	s_waitcnt lgkmcnt(2)
	v_add_f32_e32 v9, v14, v9
	;; [unrolled: 2-line block ×4, first 2 shown]
	v_xor_b32_e32 v15, 4, v6
	ds_bpermute_b32 v12, v11, v8
	ds_bpermute_b32 v13, v11, v9
	;; [unrolled: 1-line block ×4, first 2 shown]
	v_cmp_gt_i32_e32 vcc_lo, 32, v15
	v_cndmask_b32_e32 v15, v6, v15, vcc_lo
	v_lshlrev_b32_e32 v15, 2, v15
	s_waitcnt lgkmcnt(3)
	v_add_f32_e32 v8, v8, v12
	s_waitcnt lgkmcnt(2)
	v_add_f32_e32 v9, v9, v13
	s_waitcnt lgkmcnt(1)
	v_add_f32_e32 v10, v10, v14
	s_waitcnt lgkmcnt(0)
	v_add_f32_e32 v7, v7, v11
	ds_bpermute_b32 v11, v15, v8
	ds_bpermute_b32 v12, v15, v9
	;; [unrolled: 1-line block ×4, first 2 shown]
	v_xor_b32_e32 v15, 2, v6
	v_cmp_gt_i32_e32 vcc_lo, 32, v15
	v_cndmask_b32_e32 v15, v6, v15, vcc_lo
	v_lshlrev_b32_e32 v15, 2, v15
	s_waitcnt lgkmcnt(3)
	v_add_f32_e32 v8, v8, v11
	s_waitcnt lgkmcnt(2)
	v_add_f32_e32 v9, v9, v12
	;; [unrolled: 2-line block ×4, first 2 shown]
	ds_bpermute_b32 v11, v15, v8
	ds_bpermute_b32 v12, v15, v9
	ds_bpermute_b32 v13, v15, v10
	ds_bpermute_b32 v14, v15, v7
	v_xor_b32_e32 v15, 1, v6
	v_cmp_gt_i32_e32 vcc_lo, 32, v15
	v_cndmask_b32_e32 v6, v6, v15, vcc_lo
	v_cmp_eq_u32_e32 vcc_lo, 31, v0
	v_lshlrev_b32_e32 v15, 2, v6
	s_waitcnt lgkmcnt(3)
	v_add_f32_e32 v8, v8, v11
	s_waitcnt lgkmcnt(2)
	v_add_f32_e32 v9, v9, v12
	;; [unrolled: 2-line block ×4, first 2 shown]
	ds_bpermute_b32 v12, v15, v8
	ds_bpermute_b32 v13, v15, v9
	;; [unrolled: 1-line block ×4, first 2 shown]
	s_and_b32 exec_lo, exec_lo, vcc_lo
	s_cbranch_execz .LBB190_21
; %bb.17:
	s_load_dwordx2 s[2:3], s[4:5], 0x38
	v_cmp_eq_f32_e32 vcc_lo, 0, v3
	v_cmp_eq_f32_e64 s0, 0, v4
	s_waitcnt lgkmcnt(0)
	v_add_f32_e32 v0, v8, v12
	v_add_f32_e32 v8, v9, v13
	;; [unrolled: 1-line block ×4, first 2 shown]
	s_and_b32 s0, vcc_lo, s0
	s_and_saveexec_b32 s1, s0
	s_xor_b32 s0, exec_lo, s1
	s_cbranch_execz .LBB190_19
; %bb.18:
	v_lshlrev_b32_e32 v3, 1, v5
	v_mul_f32_e64 v9, v8, -v2
	v_mul_f32_e32 v10, v1, v8
	v_mul_f32_e64 v11, v7, -v2
	v_mul_f32_e32 v12, v1, v7
	v_ashrrev_i32_e32 v4, 31, v3
	v_fmac_f32_e32 v9, v1, v0
	v_fmac_f32_e32 v10, v2, v0
	;; [unrolled: 1-line block ×4, first 2 shown]
	v_lshlrev_b64 v[3:4], 3, v[3:4]
                                        ; implicit-def: $vgpr5
                                        ; implicit-def: $vgpr8
                                        ; implicit-def: $vgpr7
                                        ; implicit-def: $vgpr6
	v_add_co_u32 v0, vcc_lo, s2, v3
	v_add_co_ci_u32_e64 v1, null, s3, v4, vcc_lo
                                        ; implicit-def: $vgpr3_vgpr4
	global_store_dwordx4 v[0:1], v[9:12], off
                                        ; implicit-def: $vgpr1_vgpr2
                                        ; implicit-def: $vgpr0
.LBB190_19:
	s_andn2_saveexec_b32 s0, s0
	s_cbranch_execz .LBB190_21
; %bb.20:
	v_lshlrev_b32_e32 v9, 1, v5
	v_mul_f32_e64 v5, v8, -v2
	v_mul_f32_e32 v14, v1, v8
	v_mul_f32_e64 v8, v7, -v2
	v_mul_f32_e32 v16, v1, v7
	v_ashrrev_i32_e32 v10, 31, v9
	v_fmac_f32_e32 v5, v1, v0
	v_fmac_f32_e32 v14, v2, v0
	;; [unrolled: 1-line block ×4, first 2 shown]
	v_lshlrev_b64 v[9:10], 3, v[9:10]
	v_add_co_u32 v17, vcc_lo, s2, v9
	v_add_co_ci_u32_e64 v18, null, s3, v10, vcc_lo
	global_load_dwordx4 v[9:12], v[17:18], off
	s_waitcnt vmcnt(0)
	v_fmac_f32_e32 v5, v3, v9
	v_fmac_f32_e32 v14, v4, v9
	v_fmac_f32_e32 v8, v3, v11
	v_fmac_f32_e32 v16, v4, v11
	v_fma_f32 v13, -v4, v10, v5
	v_fmac_f32_e32 v14, v3, v10
	v_fma_f32 v15, -v4, v12, v8
	v_fmac_f32_e32 v16, v3, v12
	global_store_dwordx4 v[17:18], v[13:16], off
.LBB190_21:
	s_endpgm
	.section	.rodata,"a",@progbits
	.p2align	6, 0x0
	.amdhsa_kernel _ZN9rocsparseL19gebsrmvn_2xn_kernelILj128ELj9ELj32E21rocsparse_complex_numIfEEEvi20rocsparse_direction_NS_24const_host_device_scalarIT2_EEPKiS8_PKS5_SA_S6_PS5_21rocsparse_index_base_b
		.amdhsa_group_segment_fixed_size 0
		.amdhsa_private_segment_fixed_size 0
		.amdhsa_kernarg_size 72
		.amdhsa_user_sgpr_count 6
		.amdhsa_user_sgpr_private_segment_buffer 1
		.amdhsa_user_sgpr_dispatch_ptr 0
		.amdhsa_user_sgpr_queue_ptr 0
		.amdhsa_user_sgpr_kernarg_segment_ptr 1
		.amdhsa_user_sgpr_dispatch_id 0
		.amdhsa_user_sgpr_flat_scratch_init 0
		.amdhsa_user_sgpr_private_segment_size 0
		.amdhsa_wavefront_size32 1
		.amdhsa_uses_dynamic_stack 0
		.amdhsa_system_sgpr_private_segment_wavefront_offset 0
		.amdhsa_system_sgpr_workgroup_id_x 1
		.amdhsa_system_sgpr_workgroup_id_y 0
		.amdhsa_system_sgpr_workgroup_id_z 0
		.amdhsa_system_sgpr_workgroup_info 0
		.amdhsa_system_vgpr_workitem_id 0
		.amdhsa_next_free_vgpr 69
		.amdhsa_next_free_sgpr 16
		.amdhsa_reserve_vcc 1
		.amdhsa_reserve_flat_scratch 0
		.amdhsa_float_round_mode_32 0
		.amdhsa_float_round_mode_16_64 0
		.amdhsa_float_denorm_mode_32 3
		.amdhsa_float_denorm_mode_16_64 3
		.amdhsa_dx10_clamp 1
		.amdhsa_ieee_mode 1
		.amdhsa_fp16_overflow 0
		.amdhsa_workgroup_processor_mode 1
		.amdhsa_memory_ordered 1
		.amdhsa_forward_progress 1
		.amdhsa_shared_vgpr_count 0
		.amdhsa_exception_fp_ieee_invalid_op 0
		.amdhsa_exception_fp_denorm_src 0
		.amdhsa_exception_fp_ieee_div_zero 0
		.amdhsa_exception_fp_ieee_overflow 0
		.amdhsa_exception_fp_ieee_underflow 0
		.amdhsa_exception_fp_ieee_inexact 0
		.amdhsa_exception_int_div_zero 0
	.end_amdhsa_kernel
	.section	.text._ZN9rocsparseL19gebsrmvn_2xn_kernelILj128ELj9ELj32E21rocsparse_complex_numIfEEEvi20rocsparse_direction_NS_24const_host_device_scalarIT2_EEPKiS8_PKS5_SA_S6_PS5_21rocsparse_index_base_b,"axG",@progbits,_ZN9rocsparseL19gebsrmvn_2xn_kernelILj128ELj9ELj32E21rocsparse_complex_numIfEEEvi20rocsparse_direction_NS_24const_host_device_scalarIT2_EEPKiS8_PKS5_SA_S6_PS5_21rocsparse_index_base_b,comdat
.Lfunc_end190:
	.size	_ZN9rocsparseL19gebsrmvn_2xn_kernelILj128ELj9ELj32E21rocsparse_complex_numIfEEEvi20rocsparse_direction_NS_24const_host_device_scalarIT2_EEPKiS8_PKS5_SA_S6_PS5_21rocsparse_index_base_b, .Lfunc_end190-_ZN9rocsparseL19gebsrmvn_2xn_kernelILj128ELj9ELj32E21rocsparse_complex_numIfEEEvi20rocsparse_direction_NS_24const_host_device_scalarIT2_EEPKiS8_PKS5_SA_S6_PS5_21rocsparse_index_base_b
                                        ; -- End function
	.set _ZN9rocsparseL19gebsrmvn_2xn_kernelILj128ELj9ELj32E21rocsparse_complex_numIfEEEvi20rocsparse_direction_NS_24const_host_device_scalarIT2_EEPKiS8_PKS5_SA_S6_PS5_21rocsparse_index_base_b.num_vgpr, 69
	.set _ZN9rocsparseL19gebsrmvn_2xn_kernelILj128ELj9ELj32E21rocsparse_complex_numIfEEEvi20rocsparse_direction_NS_24const_host_device_scalarIT2_EEPKiS8_PKS5_SA_S6_PS5_21rocsparse_index_base_b.num_agpr, 0
	.set _ZN9rocsparseL19gebsrmvn_2xn_kernelILj128ELj9ELj32E21rocsparse_complex_numIfEEEvi20rocsparse_direction_NS_24const_host_device_scalarIT2_EEPKiS8_PKS5_SA_S6_PS5_21rocsparse_index_base_b.numbered_sgpr, 16
	.set _ZN9rocsparseL19gebsrmvn_2xn_kernelILj128ELj9ELj32E21rocsparse_complex_numIfEEEvi20rocsparse_direction_NS_24const_host_device_scalarIT2_EEPKiS8_PKS5_SA_S6_PS5_21rocsparse_index_base_b.num_named_barrier, 0
	.set _ZN9rocsparseL19gebsrmvn_2xn_kernelILj128ELj9ELj32E21rocsparse_complex_numIfEEEvi20rocsparse_direction_NS_24const_host_device_scalarIT2_EEPKiS8_PKS5_SA_S6_PS5_21rocsparse_index_base_b.private_seg_size, 0
	.set _ZN9rocsparseL19gebsrmvn_2xn_kernelILj128ELj9ELj32E21rocsparse_complex_numIfEEEvi20rocsparse_direction_NS_24const_host_device_scalarIT2_EEPKiS8_PKS5_SA_S6_PS5_21rocsparse_index_base_b.uses_vcc, 1
	.set _ZN9rocsparseL19gebsrmvn_2xn_kernelILj128ELj9ELj32E21rocsparse_complex_numIfEEEvi20rocsparse_direction_NS_24const_host_device_scalarIT2_EEPKiS8_PKS5_SA_S6_PS5_21rocsparse_index_base_b.uses_flat_scratch, 0
	.set _ZN9rocsparseL19gebsrmvn_2xn_kernelILj128ELj9ELj32E21rocsparse_complex_numIfEEEvi20rocsparse_direction_NS_24const_host_device_scalarIT2_EEPKiS8_PKS5_SA_S6_PS5_21rocsparse_index_base_b.has_dyn_sized_stack, 0
	.set _ZN9rocsparseL19gebsrmvn_2xn_kernelILj128ELj9ELj32E21rocsparse_complex_numIfEEEvi20rocsparse_direction_NS_24const_host_device_scalarIT2_EEPKiS8_PKS5_SA_S6_PS5_21rocsparse_index_base_b.has_recursion, 0
	.set _ZN9rocsparseL19gebsrmvn_2xn_kernelILj128ELj9ELj32E21rocsparse_complex_numIfEEEvi20rocsparse_direction_NS_24const_host_device_scalarIT2_EEPKiS8_PKS5_SA_S6_PS5_21rocsparse_index_base_b.has_indirect_call, 0
	.section	.AMDGPU.csdata,"",@progbits
; Kernel info:
; codeLenInByte = 3696
; TotalNumSgprs: 18
; NumVgprs: 69
; ScratchSize: 0
; MemoryBound: 0
; FloatMode: 240
; IeeeMode: 1
; LDSByteSize: 0 bytes/workgroup (compile time only)
; SGPRBlocks: 0
; VGPRBlocks: 8
; NumSGPRsForWavesPerEU: 18
; NumVGPRsForWavesPerEU: 69
; Occupancy: 12
; WaveLimiterHint : 1
; COMPUTE_PGM_RSRC2:SCRATCH_EN: 0
; COMPUTE_PGM_RSRC2:USER_SGPR: 6
; COMPUTE_PGM_RSRC2:TRAP_HANDLER: 0
; COMPUTE_PGM_RSRC2:TGID_X_EN: 1
; COMPUTE_PGM_RSRC2:TGID_Y_EN: 0
; COMPUTE_PGM_RSRC2:TGID_Z_EN: 0
; COMPUTE_PGM_RSRC2:TIDIG_COMP_CNT: 0
	.section	.text._ZN9rocsparseL19gebsrmvn_2xn_kernelILj128ELj9ELj64E21rocsparse_complex_numIfEEEvi20rocsparse_direction_NS_24const_host_device_scalarIT2_EEPKiS8_PKS5_SA_S6_PS5_21rocsparse_index_base_b,"axG",@progbits,_ZN9rocsparseL19gebsrmvn_2xn_kernelILj128ELj9ELj64E21rocsparse_complex_numIfEEEvi20rocsparse_direction_NS_24const_host_device_scalarIT2_EEPKiS8_PKS5_SA_S6_PS5_21rocsparse_index_base_b,comdat
	.globl	_ZN9rocsparseL19gebsrmvn_2xn_kernelILj128ELj9ELj64E21rocsparse_complex_numIfEEEvi20rocsparse_direction_NS_24const_host_device_scalarIT2_EEPKiS8_PKS5_SA_S6_PS5_21rocsparse_index_base_b ; -- Begin function _ZN9rocsparseL19gebsrmvn_2xn_kernelILj128ELj9ELj64E21rocsparse_complex_numIfEEEvi20rocsparse_direction_NS_24const_host_device_scalarIT2_EEPKiS8_PKS5_SA_S6_PS5_21rocsparse_index_base_b
	.p2align	8
	.type	_ZN9rocsparseL19gebsrmvn_2xn_kernelILj128ELj9ELj64E21rocsparse_complex_numIfEEEvi20rocsparse_direction_NS_24const_host_device_scalarIT2_EEPKiS8_PKS5_SA_S6_PS5_21rocsparse_index_base_b,@function
_ZN9rocsparseL19gebsrmvn_2xn_kernelILj128ELj9ELj64E21rocsparse_complex_numIfEEEvi20rocsparse_direction_NS_24const_host_device_scalarIT2_EEPKiS8_PKS5_SA_S6_PS5_21rocsparse_index_base_b: ; @_ZN9rocsparseL19gebsrmvn_2xn_kernelILj128ELj9ELj64E21rocsparse_complex_numIfEEEvi20rocsparse_direction_NS_24const_host_device_scalarIT2_EEPKiS8_PKS5_SA_S6_PS5_21rocsparse_index_base_b
; %bb.0:
	s_clause 0x2
	s_load_dwordx2 s[2:3], s[4:5], 0x40
	s_load_dwordx2 s[0:1], s[4:5], 0x8
	s_load_dwordx2 s[8:9], s[4:5], 0x30
	s_add_u32 s7, s4, 8
	s_addc_u32 s10, s5, 0
	s_add_u32 s11, s4, 48
	s_addc_u32 s12, s5, 0
	s_waitcnt lgkmcnt(0)
	s_bitcmp1_b32 s3, 0
	s_cselect_b32 s0, s7, s0
	s_cselect_b32 s1, s10, s1
	v_mov_b32_e32 v1, s0
	v_mov_b32_e32 v2, s1
	s_cselect_b32 s0, s11, s8
	s_cselect_b32 s1, s12, s9
	v_mov_b32_e32 v3, s0
	v_mov_b32_e32 v4, s1
	flat_load_dwordx2 v[1:2], v[1:2]
	flat_load_dwordx2 v[3:4], v[3:4]
	s_waitcnt vmcnt(1) lgkmcnt(1)
	v_cmp_eq_f32_e32 vcc_lo, 0, v1
	v_cmp_eq_f32_e64 s0, 0, v2
	s_and_b32 s3, vcc_lo, s0
	s_mov_b32 s0, -1
	s_and_saveexec_b32 s1, s3
	s_cbranch_execz .LBB191_2
; %bb.1:
	s_waitcnt vmcnt(0) lgkmcnt(0)
	v_cmp_neq_f32_e32 vcc_lo, 1.0, v3
	v_cmp_neq_f32_e64 s0, 0, v4
	s_or_b32 s0, vcc_lo, s0
	s_orn2_b32 s0, s0, exec_lo
.LBB191_2:
	s_or_b32 exec_lo, exec_lo, s1
	s_and_saveexec_b32 s1, s0
	s_cbranch_execz .LBB191_21
; %bb.3:
	s_load_dwordx2 s[0:1], s[4:5], 0x0
	v_lshrrev_b32_e32 v5, 6, v0
	v_lshl_or_b32 v5, s6, 1, v5
	s_waitcnt lgkmcnt(0)
	v_cmp_gt_i32_e32 vcc_lo, s0, v5
	s_and_b32 exec_lo, exec_lo, vcc_lo
	s_cbranch_execz .LBB191_21
; %bb.4:
	s_load_dwordx8 s[8:15], s[4:5], 0x10
	v_ashrrev_i32_e32 v6, 31, v5
	v_and_b32_e32 v0, 63, v0
	s_cmp_lg_u32 s1, 0
	v_lshlrev_b64 v[6:7], 2, v[5:6]
	s_waitcnt lgkmcnt(0)
	v_add_co_u32 v6, vcc_lo, s8, v6
	v_add_co_ci_u32_e64 v7, null, s9, v7, vcc_lo
	global_load_dwordx2 v[6:7], v[6:7], off
	s_waitcnt vmcnt(0)
	v_subrev_nc_u32_e32 v6, s2, v6
	v_subrev_nc_u32_e32 v16, s2, v7
	v_add_nc_u32_e32 v6, v6, v0
	v_cmp_lt_i32_e64 s0, v6, v16
	s_cbranch_scc0 .LBB191_10
; %bb.5:
	v_mov_b32_e32 v14, 0
	v_mov_b32_e32 v17, 0
	;; [unrolled: 1-line block ×4, first 2 shown]
	s_and_saveexec_b32 s1, s0
	s_cbranch_execz .LBB191_9
; %bb.6:
	v_mad_u64_u32 v[7:8], null, v6, 18, 16
	v_mov_b32_e32 v10, 0
	v_mov_b32_e32 v11, v6
	;; [unrolled: 1-line block ×6, first 2 shown]
	s_mov_b32 s3, 0
.LBB191_7:                              ; =>This Inner Loop Header: Depth=1
	v_ashrrev_i32_e32 v12, 31, v11
	v_mov_b32_e32 v13, v10
	v_lshlrev_b64 v[8:9], 2, v[11:12]
	v_add_nc_u32_e32 v11, 64, v11
	v_add_co_u32 v8, vcc_lo, s10, v8
	v_add_co_ci_u32_e64 v9, null, s11, v9, vcc_lo
	global_load_dword v12, v[8:9], off
	v_add_nc_u32_e32 v9, -16, v7
	v_mov_b32_e32 v8, v10
	v_lshlrev_b64 v[19:20], 3, v[9:10]
	v_add_nc_u32_e32 v9, -14, v7
	v_lshlrev_b64 v[21:22], 3, v[7:8]
	v_lshlrev_b64 v[8:9], 3, v[9:10]
	v_add_co_u32 v19, vcc_lo, s12, v19
	v_add_co_ci_u32_e64 v20, null, s13, v20, vcc_lo
	v_add_co_u32 v51, vcc_lo, s12, v21
	v_add_co_ci_u32_e64 v52, null, s13, v22, vcc_lo
	;; [unrolled: 2-line block ×3, first 2 shown]
	s_clause 0x1
	global_load_dwordx4 v[19:22], v[19:20], off
	global_load_dwordx4 v[23:26], v[8:9], off
	s_waitcnt vmcnt(2)
	v_subrev_nc_u32_e32 v8, s2, v12
	v_lshl_add_u32 v12, v8, 3, v8
	v_lshlrev_b64 v[27:28], 3, v[12:13]
	v_add_nc_u32_e32 v9, 1, v12
	v_lshlrev_b64 v[29:30], 3, v[9:10]
	v_add_co_u32 v27, vcc_lo, s14, v27
	v_add_co_ci_u32_e64 v28, null, s15, v28, vcc_lo
	v_add_nc_u32_e32 v9, -12, v7
	v_add_co_u32 v29, vcc_lo, s14, v29
	global_load_dwordx2 v[55:56], v[27:28], off
	v_add_co_ci_u32_e64 v30, null, s15, v30, vcc_lo
	v_lshlrev_b64 v[31:32], 3, v[9:10]
	v_add_nc_u32_e32 v9, 2, v12
	global_load_dwordx2 v[57:58], v[29:30], off
	v_lshlrev_b64 v[27:28], 3, v[9:10]
	v_add_nc_u32_e32 v9, -10, v7
	v_add_co_u32 v29, vcc_lo, s12, v31
	v_add_co_ci_u32_e64 v30, null, s13, v32, vcc_lo
	v_lshlrev_b64 v[31:32], 3, v[9:10]
	v_add_nc_u32_e32 v9, 3, v12
	v_add_co_u32 v33, vcc_lo, s14, v27
	v_add_co_ci_u32_e64 v34, null, s15, v28, vcc_lo
	v_lshlrev_b64 v[35:36], 3, v[9:10]
	v_add_nc_u32_e32 v9, -8, v7
	global_load_dwordx4 v[27:30], v[29:30], off
	global_load_dwordx2 v[59:60], v[33:34], off
	v_add_co_u32 v31, vcc_lo, s12, v31
	v_lshlrev_b64 v[37:38], 3, v[9:10]
	v_add_nc_u32_e32 v9, 4, v12
	v_add_co_ci_u32_e64 v32, null, s13, v32, vcc_lo
	v_add_co_u32 v35, vcc_lo, s14, v35
	v_add_co_ci_u32_e64 v36, null, s15, v36, vcc_lo
	v_lshlrev_b64 v[39:40], 3, v[9:10]
	v_add_nc_u32_e32 v9, -6, v7
	global_load_dwordx2 v[61:62], v[35:36], off
	global_load_dwordx4 v[31:34], v[31:32], off
	v_add_co_u32 v35, vcc_lo, s12, v37
	v_lshlrev_b64 v[41:42], 3, v[9:10]
	v_add_nc_u32_e32 v9, 5, v12
	v_add_co_ci_u32_e64 v36, null, s13, v38, vcc_lo
	v_add_co_u32 v39, vcc_lo, s14, v39
	v_add_co_ci_u32_e64 v40, null, s15, v40, vcc_lo
	v_lshlrev_b64 v[43:44], 3, v[9:10]
	v_add_nc_u32_e32 v9, -4, v7
	global_load_dwordx4 v[35:38], v[35:36], off
	global_load_dwordx2 v[63:64], v[39:40], off
	v_add_co_u32 v39, vcc_lo, s12, v41
	v_lshlrev_b64 v[45:46], 3, v[9:10]
	v_add_nc_u32_e32 v9, 6, v12
	v_add_co_ci_u32_e64 v40, null, s13, v42, vcc_lo
	v_add_co_u32 v43, vcc_lo, s14, v43
	v_add_co_ci_u32_e64 v44, null, s15, v44, vcc_lo
	v_lshlrev_b64 v[47:48], 3, v[9:10]
	v_add_nc_u32_e32 v9, -2, v7
	global_load_dwordx4 v[39:42], v[39:40], off
	global_load_dwordx2 v[65:66], v[43:44], off
	v_add_co_u32 v43, vcc_lo, s12, v45
	v_add_co_ci_u32_e64 v44, null, s13, v46, vcc_lo
	v_lshlrev_b64 v[49:50], 3, v[9:10]
	v_add_nc_u32_e32 v9, 7, v12
	v_add_co_u32 v47, vcc_lo, s14, v47
	v_add_co_ci_u32_e64 v48, null, s15, v48, vcc_lo
	v_lshlrev_b64 v[53:54], 3, v[9:10]
	global_load_dwordx4 v[43:46], v[43:44], off
	v_add_nc_u32_e32 v9, 8, v12
	global_load_dwordx2 v[67:68], v[47:48], off
	v_add_co_u32 v12, vcc_lo, s12, v49
	v_add_co_ci_u32_e64 v13, null, s13, v50, vcc_lo
	v_add_co_u32 v53, vcc_lo, s14, v53
	v_add_co_ci_u32_e64 v54, null, s15, v54, vcc_lo
	v_lshlrev_b64 v[8:9], 3, v[9:10]
	global_load_dwordx4 v[47:50], v[12:13], off
	global_load_dwordx2 v[12:13], v[53:54], off
	v_add_nc_u32_e32 v7, 0x480, v7
	v_add_co_u32 v8, vcc_lo, s14, v8
	v_add_co_ci_u32_e64 v9, null, s15, v9, vcc_lo
	global_load_dwordx4 v[51:54], v[51:52], off
	global_load_dwordx2 v[8:9], v[8:9], off
	v_cmp_ge_i32_e32 vcc_lo, v11, v16
	s_or_b32 s3, vcc_lo, s3
	s_waitcnt vmcnt(15)
	v_fmac_f32_e32 v17, v19, v55
	v_fmac_f32_e32 v14, v20, v55
	v_fmac_f32_e32 v18, v21, v55
	v_fmac_f32_e32 v15, v22, v55
	v_fma_f32 v17, -v20, v56, v17
	v_fmac_f32_e32 v14, v19, v56
	v_fma_f32 v18, -v22, v56, v18
	v_fmac_f32_e32 v15, v21, v56
	s_waitcnt vmcnt(14)
	v_fmac_f32_e32 v17, v23, v57
	v_fmac_f32_e32 v14, v24, v57
	v_fmac_f32_e32 v18, v25, v57
	v_fmac_f32_e32 v15, v26, v57
	v_fma_f32 v17, -v24, v58, v17
	v_fmac_f32_e32 v14, v23, v58
	v_fma_f32 v18, -v26, v58, v18
	v_fmac_f32_e32 v15, v25, v58
	;; [unrolled: 9-line block ×9, first 2 shown]
	s_andn2_b32 exec_lo, exec_lo, s3
	s_cbranch_execnz .LBB191_7
; %bb.8:
	s_or_b32 exec_lo, exec_lo, s3
.LBB191_9:
	s_or_b32 exec_lo, exec_lo, s1
	s_cbranch_execz .LBB191_11
	s_branch .LBB191_16
.LBB191_10:
                                        ; implicit-def: $vgpr14
                                        ; implicit-def: $vgpr17
                                        ; implicit-def: $vgpr18
                                        ; implicit-def: $vgpr15
.LBB191_11:
	v_mov_b32_e32 v14, 0
	v_mov_b32_e32 v17, 0
	;; [unrolled: 1-line block ×4, first 2 shown]
	s_and_saveexec_b32 s1, s0
	s_cbranch_execz .LBB191_15
; %bb.12:
	v_mad_u64_u32 v[8:9], null, v6, 18, 17
	v_mov_b32_e32 v11, 0
	v_mov_b32_e32 v14, 0
	;; [unrolled: 1-line block ×5, first 2 shown]
	s_mov_b32 s0, 0
.LBB191_13:                             ; =>This Inner Loop Header: Depth=1
	v_ashrrev_i32_e32 v7, 31, v6
	v_subrev_nc_u32_e32 v10, 17, v8
	v_add_nc_u32_e32 v19, -8, v8
	v_mov_b32_e32 v20, v11
	v_mov_b32_e32 v9, v11
	v_lshlrev_b64 v[21:22], 2, v[6:7]
	v_lshlrev_b64 v[23:24], 3, v[10:11]
	v_mov_b32_e32 v13, v11
	v_lshlrev_b64 v[19:20], 3, v[19:20]
	v_lshlrev_b64 v[9:10], 3, v[8:9]
	v_add_nc_u32_e32 v6, 64, v6
	v_add_co_u32 v21, vcc_lo, s10, v21
	v_add_co_ci_u32_e64 v22, null, s11, v22, vcc_lo
	v_add_co_u32 v23, vcc_lo, s12, v23
	v_add_co_ci_u32_e64 v24, null, s13, v24, vcc_lo
	global_load_dword v7, v[21:22], off
	v_add_co_u32 v19, vcc_lo, s12, v19
	v_add_co_ci_u32_e64 v20, null, s13, v20, vcc_lo
	v_add_co_u32 v25, vcc_lo, s12, v9
	v_add_co_ci_u32_e64 v26, null, s13, v10, vcc_lo
	s_waitcnt vmcnt(0)
	v_subrev_nc_u32_e32 v7, s2, v7
	v_lshl_add_u32 v12, v7, 3, v7
	v_add_nc_u32_e32 v10, 1, v12
	v_lshlrev_b64 v[21:22], 3, v[12:13]
	v_lshlrev_b64 v[27:28], 3, v[10:11]
	v_add_nc_u32_e32 v10, -7, v8
	v_add_co_u32 v21, vcc_lo, s14, v21
	v_add_co_ci_u32_e64 v22, null, s15, v22, vcc_lo
	v_lshlrev_b64 v[29:30], 3, v[10:11]
	v_add_nc_u32_e32 v10, -15, v8
	v_add_co_u32 v27, vcc_lo, s14, v27
	v_add_co_ci_u32_e64 v28, null, s15, v28, vcc_lo
	v_lshlrev_b64 v[31:32], 3, v[10:11]
	v_add_nc_u32_e32 v10, 2, v12
	v_add_co_u32 v29, vcc_lo, s12, v29
	v_add_co_ci_u32_e64 v30, null, s13, v30, vcc_lo
	v_lshlrev_b64 v[33:34], 3, v[10:11]
	v_add_nc_u32_e32 v10, -6, v8
	v_add_co_u32 v31, vcc_lo, s12, v31
	v_add_co_ci_u32_e64 v32, null, s13, v32, vcc_lo
	v_lshlrev_b64 v[35:36], 3, v[10:11]
	v_add_nc_u32_e32 v10, -14, v8
	v_add_co_u32 v33, vcc_lo, s14, v33
	v_add_co_ci_u32_e64 v34, null, s15, v34, vcc_lo
	v_lshlrev_b64 v[37:38], 3, v[10:11]
	v_add_nc_u32_e32 v10, 3, v12
	v_add_co_u32 v35, vcc_lo, s12, v35
	v_add_co_ci_u32_e64 v36, null, s13, v36, vcc_lo
	;; [unrolled: 12-line block ×6, first 2 shown]
	v_lshlrev_b64 v[9:10], 3, v[10:11]
	v_add_co_u32 v61, vcc_lo, s12, v61
	v_add_co_ci_u32_e64 v62, null, s13, v62, vcc_lo
	v_add_co_u32 v63, vcc_lo, s14, v9
	v_add_co_ci_u32_e64 v64, null, s15, v10, vcc_lo
	v_add_nc_u32_e32 v10, -1, v8
	v_lshlrev_b64 v[65:66], 3, v[10:11]
	v_add_nc_u32_e32 v10, -9, v8
	v_add_nc_u32_e32 v8, 0x480, v8
	v_lshlrev_b64 v[67:68], 3, v[10:11]
	v_add_nc_u32_e32 v10, 8, v12
	v_add_co_u32 v12, vcc_lo, s12, v65
	v_add_co_ci_u32_e64 v13, null, s13, v66, vcc_lo
	global_load_dwordx2 v[19:20], v[19:20], off
	global_load_dwordx2 v[65:66], v[21:22], off
	s_waitcnt vmcnt(0)
	v_fmac_f32_e32 v18, v19, v65
	v_fmac_f32_e32 v15, v20, v65
	v_fma_f32 v7, -v20, v66, v18
	v_fmac_f32_e32 v15, v19, v66
	global_load_dwordx4 v[18:21], v[23:24], off
	s_waitcnt vmcnt(0)
	v_fmac_f32_e32 v17, v18, v65
	v_fmac_f32_e32 v14, v19, v65
	v_fma_f32 v9, -v19, v66, v17
	v_fmac_f32_e32 v14, v18, v66
	global_load_dwordx2 v[17:18], v[27:28], off
	s_clause 0x1
	global_load_dwordx2 v[22:23], v[29:30], off
	global_load_dwordx2 v[27:28], v[31:32], off
	global_load_dwordx2 v[29:30], v[33:34], off
	s_clause 0x1
	global_load_dwordx2 v[31:32], v[35:36], off
	global_load_dwordx2 v[33:34], v[37:38], off
	global_load_dwordx2 v[35:36], v[39:40], off
	s_clause 0x1
	global_load_dwordx2 v[37:38], v[41:42], off
	global_load_dwordx2 v[39:40], v[43:44], off
	global_load_dwordx2 v[41:42], v[45:46], off
	s_clause 0x2
	global_load_dwordx2 v[43:44], v[47:48], off
	global_load_dwordx2 v[24:25], v[25:26], off
	global_load_dwordx2 v[45:46], v[49:50], off
	global_load_dwordx2 v[47:48], v[51:52], off
	s_clause 0x1
	global_load_dwordx2 v[49:50], v[53:54], off
	global_load_dwordx2 v[51:52], v[55:56], off
	;; [unrolled: 1-line block ×3, first 2 shown]
	s_clause 0x1
	global_load_dwordx2 v[55:56], v[59:60], off
	global_load_dwordx2 v[57:58], v[61:62], off
	;; [unrolled: 1-line block ×4, first 2 shown]
	v_add_co_u32 v19, vcc_lo, s12, v67
	s_waitcnt vmcnt(20)
	v_fmac_f32_e32 v9, v20, v17
	v_fmac_f32_e32 v14, v21, v17
	s_waitcnt vmcnt(19)
	v_fmac_f32_e32 v7, v22, v17
	v_fmac_f32_e32 v15, v23, v17
	v_fma_f32 v21, -v21, v18, v9
	v_lshlrev_b64 v[9:10], 3, v[10:11]
	v_fmac_f32_e32 v14, v20, v18
	v_add_co_ci_u32_e64 v20, null, s13, v68, vcc_lo
	v_fma_f32 v7, -v23, v18, v7
	v_fmac_f32_e32 v15, v22, v18
	v_add_co_u32 v9, vcc_lo, s14, v9
	v_add_co_ci_u32_e64 v10, null, s15, v10, vcc_lo
	global_load_dwordx2 v[19:20], v[19:20], off
	global_load_dwordx2 v[9:10], v[9:10], off
	s_waitcnt vmcnt(19)
	v_fmac_f32_e32 v21, v27, v29
	v_fmac_f32_e32 v14, v28, v29
	s_waitcnt vmcnt(18)
	v_fmac_f32_e32 v7, v31, v29
	v_fmac_f32_e32 v15, v32, v29
	v_cmp_ge_i32_e32 vcc_lo, v6, v16
	v_fma_f32 v17, -v28, v30, v21
	v_fmac_f32_e32 v14, v27, v30
	v_fma_f32 v7, -v32, v30, v7
	v_fmac_f32_e32 v15, v31, v30
	s_or_b32 s0, vcc_lo, s0
	s_waitcnt vmcnt(16)
	v_fmac_f32_e32 v17, v33, v35
	v_fmac_f32_e32 v14, v34, v35
	s_waitcnt vmcnt(15)
	v_fmac_f32_e32 v7, v37, v35
	v_fmac_f32_e32 v15, v38, v35
	v_fma_f32 v17, -v34, v36, v17
	v_fmac_f32_e32 v14, v33, v36
	v_fma_f32 v7, -v38, v36, v7
	v_fmac_f32_e32 v15, v37, v36
	s_waitcnt vmcnt(13)
	v_fmac_f32_e32 v17, v39, v41
	v_fmac_f32_e32 v14, v40, v41
	s_waitcnt vmcnt(12)
	v_fmac_f32_e32 v7, v43, v41
	v_fmac_f32_e32 v15, v44, v41
	v_fma_f32 v17, -v40, v42, v17
	v_fmac_f32_e32 v14, v39, v42
	v_fma_f32 v7, -v44, v42, v7
	v_fmac_f32_e32 v15, v43, v42
	;; [unrolled: 10-line block ×5, first 2 shown]
	s_waitcnt vmcnt(0)
	v_fmac_f32_e32 v17, v19, v9
	v_fmac_f32_e32 v14, v20, v9
	;; [unrolled: 1-line block ×4, first 2 shown]
	v_fma_f32 v17, -v20, v10, v17
	v_fmac_f32_e32 v14, v19, v10
	v_fma_f32 v18, -v25, v10, v7
	v_fmac_f32_e32 v15, v24, v10
	s_andn2_b32 exec_lo, exec_lo, s0
	s_cbranch_execnz .LBB191_13
; %bb.14:
	s_or_b32 exec_lo, exec_lo, s0
.LBB191_15:
	s_or_b32 exec_lo, exec_lo, s1
.LBB191_16:
	v_mbcnt_lo_u32_b32 v6, -1, 0
	v_or_b32_e32 v7, 32, v6
	v_xor_b32_e32 v11, 16, v6
	v_cmp_gt_i32_e32 vcc_lo, 32, v7
	v_cndmask_b32_e32 v7, v6, v7, vcc_lo
	v_cmp_gt_i32_e32 vcc_lo, 32, v11
	v_lshlrev_b32_e32 v7, 2, v7
	v_cndmask_b32_e32 v11, v6, v11, vcc_lo
	ds_bpermute_b32 v8, v7, v17
	ds_bpermute_b32 v9, v7, v14
	;; [unrolled: 1-line block ×4, first 2 shown]
	v_lshlrev_b32_e32 v11, 2, v11
	s_waitcnt lgkmcnt(3)
	v_add_f32_e32 v8, v17, v8
	s_waitcnt lgkmcnt(2)
	v_add_f32_e32 v9, v14, v9
	;; [unrolled: 2-line block ×4, first 2 shown]
	v_xor_b32_e32 v15, 8, v6
	ds_bpermute_b32 v12, v11, v8
	ds_bpermute_b32 v13, v11, v9
	;; [unrolled: 1-line block ×4, first 2 shown]
	v_cmp_gt_i32_e32 vcc_lo, 32, v15
	v_cndmask_b32_e32 v15, v6, v15, vcc_lo
	v_lshlrev_b32_e32 v15, 2, v15
	s_waitcnt lgkmcnt(3)
	v_add_f32_e32 v8, v8, v12
	s_waitcnt lgkmcnt(2)
	v_add_f32_e32 v9, v9, v13
	s_waitcnt lgkmcnt(1)
	v_add_f32_e32 v10, v10, v14
	s_waitcnt lgkmcnt(0)
	v_add_f32_e32 v7, v7, v11
	ds_bpermute_b32 v11, v15, v8
	ds_bpermute_b32 v12, v15, v9
	ds_bpermute_b32 v13, v15, v10
	ds_bpermute_b32 v14, v15, v7
	v_xor_b32_e32 v15, 4, v6
	v_cmp_gt_i32_e32 vcc_lo, 32, v15
	v_cndmask_b32_e32 v15, v6, v15, vcc_lo
	v_lshlrev_b32_e32 v15, 2, v15
	s_waitcnt lgkmcnt(3)
	v_add_f32_e32 v8, v8, v11
	s_waitcnt lgkmcnt(2)
	v_add_f32_e32 v9, v9, v12
	s_waitcnt lgkmcnt(1)
	v_add_f32_e32 v10, v10, v13
	s_waitcnt lgkmcnt(0)
	v_add_f32_e32 v7, v7, v14
	ds_bpermute_b32 v11, v15, v8
	ds_bpermute_b32 v12, v15, v9
	ds_bpermute_b32 v13, v15, v10
	ds_bpermute_b32 v14, v15, v7
	v_xor_b32_e32 v15, 2, v6
	;; [unrolled: 16-line block ×3, first 2 shown]
	v_cmp_gt_i32_e32 vcc_lo, 32, v15
	v_cndmask_b32_e32 v6, v6, v15, vcc_lo
	v_cmp_eq_u32_e32 vcc_lo, 63, v0
	v_lshlrev_b32_e32 v15, 2, v6
	s_waitcnt lgkmcnt(3)
	v_add_f32_e32 v8, v8, v11
	s_waitcnt lgkmcnt(2)
	v_add_f32_e32 v9, v9, v12
	;; [unrolled: 2-line block ×4, first 2 shown]
	ds_bpermute_b32 v12, v15, v8
	ds_bpermute_b32 v13, v15, v9
	;; [unrolled: 1-line block ×4, first 2 shown]
	s_and_b32 exec_lo, exec_lo, vcc_lo
	s_cbranch_execz .LBB191_21
; %bb.17:
	s_load_dwordx2 s[2:3], s[4:5], 0x38
	v_cmp_eq_f32_e32 vcc_lo, 0, v3
	v_cmp_eq_f32_e64 s0, 0, v4
	s_waitcnt lgkmcnt(0)
	v_add_f32_e32 v0, v8, v12
	v_add_f32_e32 v8, v9, v13
	;; [unrolled: 1-line block ×4, first 2 shown]
	s_and_b32 s0, vcc_lo, s0
	s_and_saveexec_b32 s1, s0
	s_xor_b32 s0, exec_lo, s1
	s_cbranch_execz .LBB191_19
; %bb.18:
	v_lshlrev_b32_e32 v3, 1, v5
	v_mul_f32_e64 v9, v8, -v2
	v_mul_f32_e32 v10, v1, v8
	v_mul_f32_e64 v11, v7, -v2
	v_mul_f32_e32 v12, v1, v7
	v_ashrrev_i32_e32 v4, 31, v3
	v_fmac_f32_e32 v9, v1, v0
	v_fmac_f32_e32 v10, v2, v0
	;; [unrolled: 1-line block ×4, first 2 shown]
	v_lshlrev_b64 v[3:4], 3, v[3:4]
                                        ; implicit-def: $vgpr5
                                        ; implicit-def: $vgpr8
                                        ; implicit-def: $vgpr7
                                        ; implicit-def: $vgpr6
	v_add_co_u32 v0, vcc_lo, s2, v3
	v_add_co_ci_u32_e64 v1, null, s3, v4, vcc_lo
                                        ; implicit-def: $vgpr3_vgpr4
	global_store_dwordx4 v[0:1], v[9:12], off
                                        ; implicit-def: $vgpr1_vgpr2
                                        ; implicit-def: $vgpr0
.LBB191_19:
	s_andn2_saveexec_b32 s0, s0
	s_cbranch_execz .LBB191_21
; %bb.20:
	v_lshlrev_b32_e32 v9, 1, v5
	v_mul_f32_e64 v5, v8, -v2
	v_mul_f32_e32 v14, v1, v8
	v_mul_f32_e64 v8, v7, -v2
	v_mul_f32_e32 v16, v1, v7
	v_ashrrev_i32_e32 v10, 31, v9
	v_fmac_f32_e32 v5, v1, v0
	v_fmac_f32_e32 v14, v2, v0
	;; [unrolled: 1-line block ×4, first 2 shown]
	v_lshlrev_b64 v[9:10], 3, v[9:10]
	v_add_co_u32 v17, vcc_lo, s2, v9
	v_add_co_ci_u32_e64 v18, null, s3, v10, vcc_lo
	global_load_dwordx4 v[9:12], v[17:18], off
	s_waitcnt vmcnt(0)
	v_fmac_f32_e32 v5, v3, v9
	v_fmac_f32_e32 v14, v4, v9
	;; [unrolled: 1-line block ×4, first 2 shown]
	v_fma_f32 v13, -v4, v10, v5
	v_fmac_f32_e32 v14, v3, v10
	v_fma_f32 v15, -v4, v12, v8
	v_fmac_f32_e32 v16, v3, v12
	global_store_dwordx4 v[17:18], v[13:16], off
.LBB191_21:
	s_endpgm
	.section	.rodata,"a",@progbits
	.p2align	6, 0x0
	.amdhsa_kernel _ZN9rocsparseL19gebsrmvn_2xn_kernelILj128ELj9ELj64E21rocsparse_complex_numIfEEEvi20rocsparse_direction_NS_24const_host_device_scalarIT2_EEPKiS8_PKS5_SA_S6_PS5_21rocsparse_index_base_b
		.amdhsa_group_segment_fixed_size 0
		.amdhsa_private_segment_fixed_size 0
		.amdhsa_kernarg_size 72
		.amdhsa_user_sgpr_count 6
		.amdhsa_user_sgpr_private_segment_buffer 1
		.amdhsa_user_sgpr_dispatch_ptr 0
		.amdhsa_user_sgpr_queue_ptr 0
		.amdhsa_user_sgpr_kernarg_segment_ptr 1
		.amdhsa_user_sgpr_dispatch_id 0
		.amdhsa_user_sgpr_flat_scratch_init 0
		.amdhsa_user_sgpr_private_segment_size 0
		.amdhsa_wavefront_size32 1
		.amdhsa_uses_dynamic_stack 0
		.amdhsa_system_sgpr_private_segment_wavefront_offset 0
		.amdhsa_system_sgpr_workgroup_id_x 1
		.amdhsa_system_sgpr_workgroup_id_y 0
		.amdhsa_system_sgpr_workgroup_id_z 0
		.amdhsa_system_sgpr_workgroup_info 0
		.amdhsa_system_vgpr_workitem_id 0
		.amdhsa_next_free_vgpr 69
		.amdhsa_next_free_sgpr 16
		.amdhsa_reserve_vcc 1
		.amdhsa_reserve_flat_scratch 0
		.amdhsa_float_round_mode_32 0
		.amdhsa_float_round_mode_16_64 0
		.amdhsa_float_denorm_mode_32 3
		.amdhsa_float_denorm_mode_16_64 3
		.amdhsa_dx10_clamp 1
		.amdhsa_ieee_mode 1
		.amdhsa_fp16_overflow 0
		.amdhsa_workgroup_processor_mode 1
		.amdhsa_memory_ordered 1
		.amdhsa_forward_progress 1
		.amdhsa_shared_vgpr_count 0
		.amdhsa_exception_fp_ieee_invalid_op 0
		.amdhsa_exception_fp_denorm_src 0
		.amdhsa_exception_fp_ieee_div_zero 0
		.amdhsa_exception_fp_ieee_overflow 0
		.amdhsa_exception_fp_ieee_underflow 0
		.amdhsa_exception_fp_ieee_inexact 0
		.amdhsa_exception_int_div_zero 0
	.end_amdhsa_kernel
	.section	.text._ZN9rocsparseL19gebsrmvn_2xn_kernelILj128ELj9ELj64E21rocsparse_complex_numIfEEEvi20rocsparse_direction_NS_24const_host_device_scalarIT2_EEPKiS8_PKS5_SA_S6_PS5_21rocsparse_index_base_b,"axG",@progbits,_ZN9rocsparseL19gebsrmvn_2xn_kernelILj128ELj9ELj64E21rocsparse_complex_numIfEEEvi20rocsparse_direction_NS_24const_host_device_scalarIT2_EEPKiS8_PKS5_SA_S6_PS5_21rocsparse_index_base_b,comdat
.Lfunc_end191:
	.size	_ZN9rocsparseL19gebsrmvn_2xn_kernelILj128ELj9ELj64E21rocsparse_complex_numIfEEEvi20rocsparse_direction_NS_24const_host_device_scalarIT2_EEPKiS8_PKS5_SA_S6_PS5_21rocsparse_index_base_b, .Lfunc_end191-_ZN9rocsparseL19gebsrmvn_2xn_kernelILj128ELj9ELj64E21rocsparse_complex_numIfEEEvi20rocsparse_direction_NS_24const_host_device_scalarIT2_EEPKiS8_PKS5_SA_S6_PS5_21rocsparse_index_base_b
                                        ; -- End function
	.set _ZN9rocsparseL19gebsrmvn_2xn_kernelILj128ELj9ELj64E21rocsparse_complex_numIfEEEvi20rocsparse_direction_NS_24const_host_device_scalarIT2_EEPKiS8_PKS5_SA_S6_PS5_21rocsparse_index_base_b.num_vgpr, 69
	.set _ZN9rocsparseL19gebsrmvn_2xn_kernelILj128ELj9ELj64E21rocsparse_complex_numIfEEEvi20rocsparse_direction_NS_24const_host_device_scalarIT2_EEPKiS8_PKS5_SA_S6_PS5_21rocsparse_index_base_b.num_agpr, 0
	.set _ZN9rocsparseL19gebsrmvn_2xn_kernelILj128ELj9ELj64E21rocsparse_complex_numIfEEEvi20rocsparse_direction_NS_24const_host_device_scalarIT2_EEPKiS8_PKS5_SA_S6_PS5_21rocsparse_index_base_b.numbered_sgpr, 16
	.set _ZN9rocsparseL19gebsrmvn_2xn_kernelILj128ELj9ELj64E21rocsparse_complex_numIfEEEvi20rocsparse_direction_NS_24const_host_device_scalarIT2_EEPKiS8_PKS5_SA_S6_PS5_21rocsparse_index_base_b.num_named_barrier, 0
	.set _ZN9rocsparseL19gebsrmvn_2xn_kernelILj128ELj9ELj64E21rocsparse_complex_numIfEEEvi20rocsparse_direction_NS_24const_host_device_scalarIT2_EEPKiS8_PKS5_SA_S6_PS5_21rocsparse_index_base_b.private_seg_size, 0
	.set _ZN9rocsparseL19gebsrmvn_2xn_kernelILj128ELj9ELj64E21rocsparse_complex_numIfEEEvi20rocsparse_direction_NS_24const_host_device_scalarIT2_EEPKiS8_PKS5_SA_S6_PS5_21rocsparse_index_base_b.uses_vcc, 1
	.set _ZN9rocsparseL19gebsrmvn_2xn_kernelILj128ELj9ELj64E21rocsparse_complex_numIfEEEvi20rocsparse_direction_NS_24const_host_device_scalarIT2_EEPKiS8_PKS5_SA_S6_PS5_21rocsparse_index_base_b.uses_flat_scratch, 0
	.set _ZN9rocsparseL19gebsrmvn_2xn_kernelILj128ELj9ELj64E21rocsparse_complex_numIfEEEvi20rocsparse_direction_NS_24const_host_device_scalarIT2_EEPKiS8_PKS5_SA_S6_PS5_21rocsparse_index_base_b.has_dyn_sized_stack, 0
	.set _ZN9rocsparseL19gebsrmvn_2xn_kernelILj128ELj9ELj64E21rocsparse_complex_numIfEEEvi20rocsparse_direction_NS_24const_host_device_scalarIT2_EEPKiS8_PKS5_SA_S6_PS5_21rocsparse_index_base_b.has_recursion, 0
	.set _ZN9rocsparseL19gebsrmvn_2xn_kernelILj128ELj9ELj64E21rocsparse_complex_numIfEEEvi20rocsparse_direction_NS_24const_host_device_scalarIT2_EEPKiS8_PKS5_SA_S6_PS5_21rocsparse_index_base_b.has_indirect_call, 0
	.section	.AMDGPU.csdata,"",@progbits
; Kernel info:
; codeLenInByte = 3776
; TotalNumSgprs: 18
; NumVgprs: 69
; ScratchSize: 0
; MemoryBound: 0
; FloatMode: 240
; IeeeMode: 1
; LDSByteSize: 0 bytes/workgroup (compile time only)
; SGPRBlocks: 0
; VGPRBlocks: 8
; NumSGPRsForWavesPerEU: 18
; NumVGPRsForWavesPerEU: 69
; Occupancy: 12
; WaveLimiterHint : 1
; COMPUTE_PGM_RSRC2:SCRATCH_EN: 0
; COMPUTE_PGM_RSRC2:USER_SGPR: 6
; COMPUTE_PGM_RSRC2:TRAP_HANDLER: 0
; COMPUTE_PGM_RSRC2:TGID_X_EN: 1
; COMPUTE_PGM_RSRC2:TGID_Y_EN: 0
; COMPUTE_PGM_RSRC2:TGID_Z_EN: 0
; COMPUTE_PGM_RSRC2:TIDIG_COMP_CNT: 0
	.section	.text._ZN9rocsparseL19gebsrmvn_2xn_kernelILj128ELj10ELj4E21rocsparse_complex_numIfEEEvi20rocsparse_direction_NS_24const_host_device_scalarIT2_EEPKiS8_PKS5_SA_S6_PS5_21rocsparse_index_base_b,"axG",@progbits,_ZN9rocsparseL19gebsrmvn_2xn_kernelILj128ELj10ELj4E21rocsparse_complex_numIfEEEvi20rocsparse_direction_NS_24const_host_device_scalarIT2_EEPKiS8_PKS5_SA_S6_PS5_21rocsparse_index_base_b,comdat
	.globl	_ZN9rocsparseL19gebsrmvn_2xn_kernelILj128ELj10ELj4E21rocsparse_complex_numIfEEEvi20rocsparse_direction_NS_24const_host_device_scalarIT2_EEPKiS8_PKS5_SA_S6_PS5_21rocsparse_index_base_b ; -- Begin function _ZN9rocsparseL19gebsrmvn_2xn_kernelILj128ELj10ELj4E21rocsparse_complex_numIfEEEvi20rocsparse_direction_NS_24const_host_device_scalarIT2_EEPKiS8_PKS5_SA_S6_PS5_21rocsparse_index_base_b
	.p2align	8
	.type	_ZN9rocsparseL19gebsrmvn_2xn_kernelILj128ELj10ELj4E21rocsparse_complex_numIfEEEvi20rocsparse_direction_NS_24const_host_device_scalarIT2_EEPKiS8_PKS5_SA_S6_PS5_21rocsparse_index_base_b,@function
_ZN9rocsparseL19gebsrmvn_2xn_kernelILj128ELj10ELj4E21rocsparse_complex_numIfEEEvi20rocsparse_direction_NS_24const_host_device_scalarIT2_EEPKiS8_PKS5_SA_S6_PS5_21rocsparse_index_base_b: ; @_ZN9rocsparseL19gebsrmvn_2xn_kernelILj128ELj10ELj4E21rocsparse_complex_numIfEEEvi20rocsparse_direction_NS_24const_host_device_scalarIT2_EEPKiS8_PKS5_SA_S6_PS5_21rocsparse_index_base_b
; %bb.0:
	s_clause 0x2
	s_load_dwordx2 s[2:3], s[4:5], 0x40
	s_load_dwordx2 s[0:1], s[4:5], 0x8
	;; [unrolled: 1-line block ×3, first 2 shown]
	s_add_u32 s7, s4, 8
	s_addc_u32 s10, s5, 0
	s_add_u32 s11, s4, 48
	s_addc_u32 s12, s5, 0
	s_waitcnt lgkmcnt(0)
	s_bitcmp1_b32 s3, 0
	s_cselect_b32 s0, s7, s0
	s_cselect_b32 s1, s10, s1
	v_mov_b32_e32 v1, s0
	v_mov_b32_e32 v2, s1
	s_cselect_b32 s0, s11, s8
	s_cselect_b32 s1, s12, s9
	v_mov_b32_e32 v3, s0
	v_mov_b32_e32 v4, s1
	flat_load_dwordx2 v[1:2], v[1:2]
	flat_load_dwordx2 v[3:4], v[3:4]
	s_waitcnt vmcnt(1) lgkmcnt(1)
	v_cmp_eq_f32_e32 vcc_lo, 0, v1
	v_cmp_eq_f32_e64 s0, 0, v2
	s_and_b32 s3, vcc_lo, s0
	s_mov_b32 s0, -1
	s_and_saveexec_b32 s1, s3
	s_cbranch_execz .LBB192_2
; %bb.1:
	s_waitcnt vmcnt(0) lgkmcnt(0)
	v_cmp_neq_f32_e32 vcc_lo, 1.0, v3
	v_cmp_neq_f32_e64 s0, 0, v4
	s_or_b32 s0, vcc_lo, s0
	s_orn2_b32 s0, s0, exec_lo
.LBB192_2:
	s_or_b32 exec_lo, exec_lo, s1
	s_and_saveexec_b32 s1, s0
	s_cbranch_execz .LBB192_21
; %bb.3:
	s_load_dwordx2 s[0:1], s[4:5], 0x0
	v_lshrrev_b32_e32 v5, 2, v0
	v_lshl_or_b32 v5, s6, 5, v5
	s_waitcnt lgkmcnt(0)
	v_cmp_gt_i32_e32 vcc_lo, s0, v5
	s_and_b32 exec_lo, exec_lo, vcc_lo
	s_cbranch_execz .LBB192_21
; %bb.4:
	s_load_dwordx8 s[8:15], s[4:5], 0x10
	v_ashrrev_i32_e32 v6, 31, v5
	v_and_b32_e32 v0, 3, v0
	s_cmp_lg_u32 s1, 0
	v_lshlrev_b64 v[6:7], 2, v[5:6]
	s_waitcnt lgkmcnt(0)
	v_add_co_u32 v6, vcc_lo, s8, v6
	v_add_co_ci_u32_e64 v7, null, s9, v7, vcc_lo
	global_load_dwordx2 v[6:7], v[6:7], off
	s_waitcnt vmcnt(0)
	v_subrev_nc_u32_e32 v6, s2, v6
	v_subrev_nc_u32_e32 v15, s2, v7
	v_add_nc_u32_e32 v6, v6, v0
	v_cmp_lt_i32_e64 s0, v6, v15
	s_cbranch_scc0 .LBB192_10
; %bb.5:
	v_mov_b32_e32 v13, 0
	v_mov_b32_e32 v17, 0
	v_mov_b32_e32 v16, 0
	v_mov_b32_e32 v14, 0
	s_and_saveexec_b32 s3, s0
	s_cbranch_execz .LBB192_9
; %bb.6:
	v_mad_u64_u32 v[7:8], null, v6, 20, 18
	v_mov_b32_e32 v10, 0
	v_mov_b32_e32 v11, v6
	;; [unrolled: 1-line block ×6, first 2 shown]
	s_mov_b32 s6, 0
.LBB192_7:                              ; =>This Inner Loop Header: Depth=1
	v_ashrrev_i32_e32 v12, 31, v11
	v_mov_b32_e32 v59, v10
	v_lshlrev_b64 v[8:9], 2, v[11:12]
	v_add_nc_u32_e32 v11, 4, v11
	v_add_co_u32 v8, vcc_lo, s10, v8
	v_add_co_ci_u32_e64 v9, null, s11, v9, vcc_lo
	global_load_dword v12, v[8:9], off
	v_subrev_nc_u32_e32 v9, 18, v7
	v_mov_b32_e32 v8, v10
	v_lshlrev_b64 v[18:19], 3, v[9:10]
	v_add_nc_u32_e32 v9, -14, v7
	v_lshlrev_b64 v[73:74], 3, v[7:8]
	v_lshlrev_b64 v[8:9], 3, v[9:10]
	v_add_co_u32 v22, s1, s12, v18
	v_add_co_ci_u32_e64 v23, null, s13, v19, s1
	v_add_co_u32 v75, vcc_lo, s12, v73
	v_add_co_u32 v8, s1, s12, v8
	v_add_co_ci_u32_e64 v9, null, s13, v9, s1
	s_clause 0x2
	global_load_dwordx4 v[18:21], v[22:23], off offset:16
	global_load_dwordx4 v[22:25], v[22:23], off
	global_load_dwordx4 v[26:29], v[8:9], off
	v_add_co_ci_u32_e64 v76, null, s13, v74, vcc_lo
	v_cmp_ge_i32_e32 vcc_lo, v11, v15
	s_or_b32 s6, vcc_lo, s6
	s_waitcnt vmcnt(3)
	v_subrev_nc_u32_e32 v8, s2, v12
	v_mul_lo_u32 v58, v8, 10
	v_lshlrev_b64 v[30:31], 3, v[58:59]
	v_add_nc_u32_e32 v9, 2, v58
	v_lshlrev_b64 v[34:35], 3, v[9:10]
	v_add_co_u32 v30, s1, s14, v30
	v_add_co_ci_u32_e64 v31, null, s15, v31, s1
	v_add_nc_u32_e32 v9, -12, v7
	v_add_co_u32 v34, s1, s14, v34
	global_load_dwordx4 v[30:33], v[30:31], off
	v_add_co_ci_u32_e64 v35, null, s15, v35, s1
	v_lshlrev_b64 v[38:39], 3, v[9:10]
	v_add_nc_u32_e32 v9, -10, v7
	global_load_dwordx4 v[34:37], v[34:35], off
	v_lshlrev_b64 v[40:41], 3, v[9:10]
	v_add_nc_u32_e32 v9, 4, v58
	v_add_co_u32 v38, s1, s12, v38
	v_add_co_ci_u32_e64 v39, null, s13, v39, s1
	v_lshlrev_b64 v[46:47], 3, v[9:10]
	v_add_nc_u32_e32 v9, -8, v7
	v_add_co_u32 v42, s1, s12, v40
	v_add_co_ci_u32_e64 v43, null, s13, v41, s1
	global_load_dwordx4 v[38:41], v[38:39], off
	v_lshlrev_b64 v[48:49], 3, v[9:10]
	v_add_co_u32 v46, s1, s14, v46
	v_add_co_ci_u32_e64 v47, null, s15, v47, s1
	v_add_nc_u32_e32 v9, -6, v7
	v_add_co_u32 v50, s1, s12, v48
	global_load_dwordx4 v[42:45], v[42:43], off
	v_add_co_ci_u32_e64 v51, null, s13, v49, s1
	global_load_dwordx4 v[46:49], v[46:47], off
	v_lshlrev_b64 v[54:55], 3, v[9:10]
	v_add_nc_u32_e32 v9, 6, v58
	global_load_dwordx4 v[50:53], v[50:51], off
	v_lshlrev_b64 v[56:57], 3, v[9:10]
	v_add_nc_u32_e32 v9, -4, v7
	v_add_co_u32 v54, s1, s12, v54
	v_add_co_ci_u32_e64 v55, null, s13, v55, s1
	v_add_co_u32 v59, s1, s14, v56
	v_lshlrev_b64 v[62:63], 3, v[9:10]
	v_add_nc_u32_e32 v9, -2, v7
	v_add_co_ci_u32_e64 v60, null, s15, v57, s1
	global_load_dwordx4 v[54:57], v[54:55], off
	v_add_nc_u32_e32 v7, 0x50, v7
	v_lshlrev_b64 v[66:67], 3, v[9:10]
	v_add_nc_u32_e32 v9, 8, v58
	global_load_dwordx4 v[58:61], v[59:60], off
	v_add_co_u32 v62, s1, s12, v62
	v_add_co_ci_u32_e64 v63, null, s13, v63, s1
	v_lshlrev_b64 v[8:9], 3, v[9:10]
	v_add_co_u32 v66, s1, s12, v66
	global_load_dwordx4 v[62:65], v[62:63], off
	v_add_co_ci_u32_e64 v67, null, s13, v67, s1
	v_add_co_u32 v8, s1, s14, v8
	v_add_co_ci_u32_e64 v9, null, s15, v9, s1
	global_load_dwordx4 v[66:69], v[66:67], off
	global_load_dwordx4 v[70:73], v[8:9], off
	;; [unrolled: 1-line block ×3, first 2 shown]
	s_waitcnt vmcnt(11)
	v_fmac_f32_e32 v17, v22, v30
	v_fmac_f32_e32 v13, v23, v30
	;; [unrolled: 1-line block ×4, first 2 shown]
	v_fma_f32 v8, -v23, v31, v17
	v_fmac_f32_e32 v13, v22, v31
	v_fma_f32 v9, -v25, v31, v16
	v_fmac_f32_e32 v14, v24, v31
	v_fmac_f32_e32 v8, v18, v32
	;; [unrolled: 1-line block ×5, first 2 shown]
	v_fma_f32 v8, -v19, v33, v8
	v_fmac_f32_e32 v13, v18, v33
	v_fma_f32 v9, -v21, v33, v9
	v_fmac_f32_e32 v14, v20, v33
	s_waitcnt vmcnt(10)
	v_fmac_f32_e32 v8, v26, v34
	v_fmac_f32_e32 v13, v27, v34
	v_fmac_f32_e32 v9, v28, v34
	v_fmac_f32_e32 v14, v29, v34
	v_fma_f32 v8, -v27, v35, v8
	v_fmac_f32_e32 v13, v26, v35
	v_fma_f32 v9, -v29, v35, v9
	v_fmac_f32_e32 v14, v28, v35
	s_waitcnt vmcnt(9)
	v_fmac_f32_e32 v8, v38, v36
	v_fmac_f32_e32 v13, v39, v36
	v_fmac_f32_e32 v9, v40, v36
	v_fmac_f32_e32 v14, v41, v36
	;; [unrolled: 9-line block ×8, first 2 shown]
	v_fma_f32 v17, -v75, v73, v8
	v_fmac_f32_e32 v13, v74, v73
	v_fma_f32 v16, -v77, v73, v9
	v_fmac_f32_e32 v14, v76, v73
	s_andn2_b32 exec_lo, exec_lo, s6
	s_cbranch_execnz .LBB192_7
; %bb.8:
	s_or_b32 exec_lo, exec_lo, s6
.LBB192_9:
	s_or_b32 exec_lo, exec_lo, s3
	s_cbranch_execz .LBB192_11
	s_branch .LBB192_16
.LBB192_10:
                                        ; implicit-def: $vgpr13
                                        ; implicit-def: $vgpr17
                                        ; implicit-def: $vgpr16
                                        ; implicit-def: $vgpr14
.LBB192_11:
	v_mov_b32_e32 v13, 0
	v_mov_b32_e32 v17, 0
	v_mov_b32_e32 v16, 0
	v_mov_b32_e32 v14, 0
	s_and_saveexec_b32 s1, s0
	s_cbranch_execz .LBB192_15
; %bb.12:
	v_mad_u64_u32 v[8:9], null, v6, 20, 19
	v_mov_b32_e32 v11, 0
	v_mov_b32_e32 v13, 0
	;; [unrolled: 1-line block ×5, first 2 shown]
	s_mov_b32 s0, 0
.LBB192_13:                             ; =>This Inner Loop Header: Depth=1
	v_ashrrev_i32_e32 v7, 31, v6
	v_subrev_nc_u32_e32 v10, 19, v8
	v_add_nc_u32_e32 v18, -9, v8
	v_mov_b32_e32 v19, v11
	v_mov_b32_e32 v9, v11
	v_lshlrev_b64 v[22:23], 2, v[6:7]
	v_lshlrev_b64 v[20:21], 3, v[10:11]
	v_add_nc_u32_e32 v10, -8, v8
	v_lshlrev_b64 v[18:19], 3, v[18:19]
	v_lshlrev_b64 v[24:25], 3, v[8:9]
	v_mov_b32_e32 v39, v11
	v_add_co_u32 v22, vcc_lo, s10, v22
	v_add_co_ci_u32_e64 v23, null, s11, v23, vcc_lo
	v_lshlrev_b64 v[9:10], 3, v[10:11]
	v_add_co_u32 v26, vcc_lo, s12, v20
	global_load_dword v7, v[22:23], off
	v_add_co_ci_u32_e64 v27, null, s13, v21, vcc_lo
	v_add_co_u32 v28, vcc_lo, s12, v18
	v_add_co_ci_u32_e64 v29, null, s13, v19, vcc_lo
	v_add_co_u32 v40, vcc_lo, s12, v24
	;; [unrolled: 2-line block ×3, first 2 shown]
	v_add_co_ci_u32_e64 v10, null, s13, v10, vcc_lo
	s_clause 0x3
	global_load_dwordx4 v[18:21], v[26:27], off offset:16
	global_load_dwordx4 v[22:25], v[26:27], off
	global_load_dwordx2 v[42:43], v[28:29], off
	global_load_dwordx2 v[44:45], v[9:10], off
	v_add_nc_u32_e32 v6, 4, v6
	s_waitcnt vmcnt(4)
	v_subrev_nc_u32_e32 v7, s2, v7
	v_mul_lo_u32 v38, v7, 10
	v_lshlrev_b64 v[26:27], 3, v[38:39]
	v_add_nc_u32_e32 v10, 2, v38
	v_lshlrev_b64 v[30:31], 3, v[10:11]
	v_add_co_u32 v26, vcc_lo, s14, v26
	v_add_co_ci_u32_e64 v27, null, s15, v27, vcc_lo
	v_add_nc_u32_e32 v10, -7, v8
	v_add_co_u32 v30, vcc_lo, s14, v30
	global_load_dwordx4 v[26:29], v[26:27], off
	v_add_co_ci_u32_e64 v31, null, s15, v31, vcc_lo
	v_lshlrev_b64 v[34:35], 3, v[10:11]
	v_add_nc_u32_e32 v10, -6, v8
	global_load_dwordx4 v[30:33], v[30:31], off
	v_lshlrev_b64 v[36:37], 3, v[10:11]
	v_add_nc_u32_e32 v10, -15, v8
	v_add_co_u32 v34, vcc_lo, s12, v34
	v_add_co_ci_u32_e64 v35, null, s13, v35, vcc_lo
	v_add_co_u32 v36, vcc_lo, s12, v36
	v_lshlrev_b64 v[46:47], 3, v[10:11]
	v_add_nc_u32_e32 v10, 4, v38
	v_add_co_ci_u32_e64 v37, null, s13, v37, vcc_lo
	s_clause 0x1
	global_load_dwordx2 v[48:49], v[34:35], off
	global_load_dwordx2 v[50:51], v[36:37], off
	v_lshlrev_b64 v[34:35], 3, v[10:11]
	v_add_nc_u32_e32 v10, -5, v8
	v_add_co_u32 v36, vcc_lo, s12, v46
	v_add_co_ci_u32_e64 v37, null, s13, v47, vcc_lo
	v_lshlrev_b64 v[46:47], 3, v[10:11]
	v_add_nc_u32_e32 v10, -14, v8
	v_add_co_u32 v34, vcc_lo, s14, v34
	v_add_co_ci_u32_e64 v35, null, s15, v35, vcc_lo
	;; [unrolled: 4-line block ×4, first 2 shown]
	v_lshlrev_b64 v[58:59], 3, v[10:11]
	v_add_nc_u32_e32 v10, 6, v38
	v_add_co_u32 v56, vcc_lo, s12, v56
	v_add_co_ci_u32_e64 v57, null, s13, v57, vcc_lo
	v_lshlrev_b64 v[60:61], 3, v[10:11]
	v_add_nc_u32_e32 v10, -3, v8
	s_clause 0x3
	global_load_dwordx2 v[52:53], v[36:37], off
	global_load_dwordx2 v[46:47], v[46:47], off
	;; [unrolled: 1-line block ×4, first 2 shown]
	v_lshlrev_b64 v[62:63], 3, v[10:11]
	v_add_nc_u32_e32 v10, -12, v8
	global_load_dwordx4 v[34:37], v[34:35], off
	v_add_co_u32 v58, vcc_lo, s12, v58
	v_add_co_ci_u32_e64 v59, null, s13, v59, vcc_lo
	v_lshlrev_b64 v[64:65], 3, v[10:11]
	v_add_nc_u32_e32 v10, -2, v8
	v_add_co_u32 v60, vcc_lo, s14, v60
	v_add_co_ci_u32_e64 v61, null, s15, v61, vcc_lo
	v_add_co_u32 v62, vcc_lo, s12, v62
	v_add_co_ci_u32_e64 v63, null, s13, v63, vcc_lo
	;; [unrolled: 2-line block ×3, first 2 shown]
	global_load_dwordx2 v[58:59], v[58:59], off
	s_waitcnt vmcnt(9)
	v_fmac_f32_e32 v17, v22, v26
	v_fmac_f32_e32 v13, v23, v26
	;; [unrolled: 1-line block ×4, first 2 shown]
	v_fma_f32 v7, -v23, v27, v17
	v_fmac_f32_e32 v13, v22, v27
	v_lshlrev_b64 v[22:23], 3, v[10:11]
	v_add_nc_u32_e32 v10, -11, v8
	v_fma_f32 v9, -v43, v27, v16
	v_fmac_f32_e32 v7, v24, v28
	v_fmac_f32_e32 v13, v25, v28
	;; [unrolled: 1-line block ×4, first 2 shown]
	v_fma_f32 v7, -v25, v29, v7
	v_fmac_f32_e32 v13, v24, v29
	v_lshlrev_b64 v[24:25], 3, v[10:11]
	v_add_nc_u32_e32 v10, 8, v38
	v_add_co_u32 v38, vcc_lo, s12, v22
	v_add_co_ci_u32_e64 v39, null, s13, v23, vcc_lo
	v_add_co_u32 v66, vcc_lo, s12, v24
	v_add_co_ci_u32_e64 v67, null, s13, v25, vcc_lo
	global_load_dwordx4 v[22:25], v[60:61], off
	s_clause 0x1
	global_load_dwordx2 v[60:61], v[62:63], off
	global_load_dwordx2 v[62:63], v[64:65], off
	v_lshlrev_b64 v[16:17], 3, v[10:11]
	v_add_nc_u32_e32 v10, -1, v8
	s_clause 0x1
	global_load_dwordx2 v[38:39], v[38:39], off
	global_load_dwordx2 v[42:43], v[66:67], off
	v_fmac_f32_e32 v14, v45, v28
	v_fma_f32 v12, -v45, v29, v9
	v_lshlrev_b64 v[26:27], 3, v[10:11]
	v_add_nc_u32_e32 v10, -10, v8
	v_add_co_u32 v16, vcc_lo, s14, v16
	v_fmac_f32_e32 v14, v44, v29
	v_add_co_ci_u32_e64 v17, null, s15, v17, vcc_lo
	v_lshlrev_b64 v[9:10], 3, v[10:11]
	v_add_co_u32 v44, vcc_lo, s12, v26
	v_add_co_ci_u32_e64 v45, null, s13, v27, vcc_lo
	s_waitcnt vmcnt(13)
	v_fmac_f32_e32 v7, v18, v30
	v_add_co_u32 v9, vcc_lo, s12, v9
	v_add_co_ci_u32_e64 v10, null, s13, v10, vcc_lo
	global_load_dwordx4 v[26:29], v[16:17], off
	s_clause 0x2
	global_load_dwordx2 v[16:17], v[44:45], off
	global_load_dwordx2 v[40:41], v[40:41], off
	;; [unrolled: 1-line block ×3, first 2 shown]
	v_fmac_f32_e32 v13, v19, v30
	s_waitcnt vmcnt(16)
	v_fmac_f32_e32 v12, v48, v30
	v_fmac_f32_e32 v14, v49, v30
	v_fma_f32 v7, -v19, v31, v7
	v_cmp_ge_i32_e32 vcc_lo, v6, v15
	v_fmac_f32_e32 v13, v18, v31
	v_fma_f32 v12, -v49, v31, v12
	v_fmac_f32_e32 v14, v48, v31
	v_fmac_f32_e32 v7, v20, v32
	v_add_nc_u32_e32 v8, 0x50, v8
	v_fmac_f32_e32 v13, v21, v32
	s_waitcnt vmcnt(15)
	v_fmac_f32_e32 v12, v50, v32
	v_fmac_f32_e32 v14, v51, v32
	v_fma_f32 v7, -v21, v33, v7
	s_or_b32 s0, vcc_lo, s0
	v_fmac_f32_e32 v13, v20, v33
	v_fma_f32 v12, -v51, v33, v12
	v_fmac_f32_e32 v14, v50, v33
	s_waitcnt vmcnt(10)
	v_fmac_f32_e32 v7, v52, v34
	v_fmac_f32_e32 v13, v53, v34
	;; [unrolled: 1-line block ×4, first 2 shown]
	v_fma_f32 v7, -v53, v35, v7
	v_fmac_f32_e32 v13, v52, v35
	v_fma_f32 v12, -v47, v35, v12
	v_fmac_f32_e32 v14, v46, v35
	v_fmac_f32_e32 v7, v54, v36
	;; [unrolled: 1-line block ×5, first 2 shown]
	v_fma_f32 v7, -v55, v37, v7
	v_fmac_f32_e32 v13, v54, v37
	v_fma_f32 v12, -v57, v37, v12
	v_fmac_f32_e32 v14, v56, v37
	s_waitcnt vmcnt(8)
	v_fmac_f32_e32 v7, v58, v22
	v_fmac_f32_e32 v13, v59, v22
	s_waitcnt vmcnt(7)
	v_fmac_f32_e32 v12, v60, v22
	v_fmac_f32_e32 v14, v61, v22
	v_fma_f32 v7, -v59, v23, v7
	v_fmac_f32_e32 v13, v58, v23
	v_fma_f32 v12, -v61, v23, v12
	v_fmac_f32_e32 v14, v60, v23
	s_waitcnt vmcnt(6)
	v_fmac_f32_e32 v7, v62, v24
	v_fmac_f32_e32 v13, v63, v24
	s_waitcnt vmcnt(5)
	v_fmac_f32_e32 v12, v38, v24
	v_fmac_f32_e32 v14, v39, v24
	;; [unrolled: 10-line block ×3, first 2 shown]
	v_fma_f32 v7, -v43, v27, v7
	v_fmac_f32_e32 v13, v42, v27
	v_fma_f32 v12, -v17, v27, v12
	v_fmac_f32_e32 v14, v16, v27
	s_waitcnt vmcnt(0)
	v_fmac_f32_e32 v7, v9, v28
	v_fmac_f32_e32 v13, v10, v28
	;; [unrolled: 1-line block ×4, first 2 shown]
	v_fma_f32 v17, -v10, v29, v7
	v_fmac_f32_e32 v13, v9, v29
	v_fma_f32 v16, -v41, v29, v12
	v_fmac_f32_e32 v14, v40, v29
	s_andn2_b32 exec_lo, exec_lo, s0
	s_cbranch_execnz .LBB192_13
; %bb.14:
	s_or_b32 exec_lo, exec_lo, s0
.LBB192_15:
	s_or_b32 exec_lo, exec_lo, s1
.LBB192_16:
	v_mbcnt_lo_u32_b32 v6, -1, 0
	v_xor_b32_e32 v7, 2, v6
	v_xor_b32_e32 v11, 1, v6
	v_cmp_gt_i32_e32 vcc_lo, 32, v7
	v_cndmask_b32_e32 v7, v6, v7, vcc_lo
	v_cmp_gt_i32_e32 vcc_lo, 32, v11
	v_lshlrev_b32_e32 v7, 2, v7
	v_cndmask_b32_e32 v6, v6, v11, vcc_lo
	v_cmp_eq_u32_e32 vcc_lo, 3, v0
	ds_bpermute_b32 v8, v7, v17
	ds_bpermute_b32 v9, v7, v13
	;; [unrolled: 1-line block ×4, first 2 shown]
	v_lshlrev_b32_e32 v11, 2, v6
	s_waitcnt lgkmcnt(3)
	v_add_f32_e32 v8, v17, v8
	s_waitcnt lgkmcnt(2)
	v_add_f32_e32 v9, v13, v9
	s_waitcnt lgkmcnt(1)
	v_add_f32_e32 v6, v16, v10
	s_waitcnt lgkmcnt(0)
	v_add_f32_e32 v7, v14, v7
	ds_bpermute_b32 v12, v11, v8
	ds_bpermute_b32 v13, v11, v9
	;; [unrolled: 1-line block ×4, first 2 shown]
	s_and_b32 exec_lo, exec_lo, vcc_lo
	s_cbranch_execz .LBB192_21
; %bb.17:
	s_load_dwordx2 s[2:3], s[4:5], 0x38
	v_cmp_eq_f32_e32 vcc_lo, 0, v3
	v_cmp_eq_f32_e64 s0, 0, v4
	s_waitcnt lgkmcnt(0)
	v_add_f32_e32 v0, v8, v12
	v_add_f32_e32 v8, v9, v13
	;; [unrolled: 1-line block ×4, first 2 shown]
	s_and_b32 s0, vcc_lo, s0
	s_and_saveexec_b32 s1, s0
	s_xor_b32 s0, exec_lo, s1
	s_cbranch_execz .LBB192_19
; %bb.18:
	v_lshlrev_b32_e32 v3, 1, v5
	v_mul_f32_e64 v9, v8, -v2
	v_mul_f32_e32 v10, v1, v8
	v_mul_f32_e64 v11, v7, -v2
	v_mul_f32_e32 v12, v1, v7
	v_ashrrev_i32_e32 v4, 31, v3
	v_fmac_f32_e32 v9, v1, v0
	v_fmac_f32_e32 v10, v2, v0
	;; [unrolled: 1-line block ×4, first 2 shown]
	v_lshlrev_b64 v[3:4], 3, v[3:4]
                                        ; implicit-def: $vgpr5
                                        ; implicit-def: $vgpr8
                                        ; implicit-def: $vgpr7
                                        ; implicit-def: $vgpr6
	v_add_co_u32 v0, vcc_lo, s2, v3
	v_add_co_ci_u32_e64 v1, null, s3, v4, vcc_lo
                                        ; implicit-def: $vgpr3_vgpr4
	global_store_dwordx4 v[0:1], v[9:12], off
                                        ; implicit-def: $vgpr1_vgpr2
                                        ; implicit-def: $vgpr0
.LBB192_19:
	s_andn2_saveexec_b32 s0, s0
	s_cbranch_execz .LBB192_21
; %bb.20:
	v_lshlrev_b32_e32 v9, 1, v5
	v_mul_f32_e64 v5, v8, -v2
	v_mul_f32_e32 v14, v1, v8
	v_mul_f32_e64 v8, v7, -v2
	v_mul_f32_e32 v16, v1, v7
	v_ashrrev_i32_e32 v10, 31, v9
	v_fmac_f32_e32 v5, v1, v0
	v_fmac_f32_e32 v14, v2, v0
	;; [unrolled: 1-line block ×4, first 2 shown]
	v_lshlrev_b64 v[9:10], 3, v[9:10]
	v_add_co_u32 v17, vcc_lo, s2, v9
	v_add_co_ci_u32_e64 v18, null, s3, v10, vcc_lo
	global_load_dwordx4 v[9:12], v[17:18], off
	s_waitcnt vmcnt(0)
	v_fmac_f32_e32 v5, v3, v9
	v_fmac_f32_e32 v14, v4, v9
	;; [unrolled: 1-line block ×4, first 2 shown]
	v_fma_f32 v13, -v4, v10, v5
	v_fmac_f32_e32 v14, v3, v10
	v_fma_f32 v15, -v4, v12, v8
	v_fmac_f32_e32 v16, v3, v12
	global_store_dwordx4 v[17:18], v[13:16], off
.LBB192_21:
	s_endpgm
	.section	.rodata,"a",@progbits
	.p2align	6, 0x0
	.amdhsa_kernel _ZN9rocsparseL19gebsrmvn_2xn_kernelILj128ELj10ELj4E21rocsparse_complex_numIfEEEvi20rocsparse_direction_NS_24const_host_device_scalarIT2_EEPKiS8_PKS5_SA_S6_PS5_21rocsparse_index_base_b
		.amdhsa_group_segment_fixed_size 0
		.amdhsa_private_segment_fixed_size 0
		.amdhsa_kernarg_size 72
		.amdhsa_user_sgpr_count 6
		.amdhsa_user_sgpr_private_segment_buffer 1
		.amdhsa_user_sgpr_dispatch_ptr 0
		.amdhsa_user_sgpr_queue_ptr 0
		.amdhsa_user_sgpr_kernarg_segment_ptr 1
		.amdhsa_user_sgpr_dispatch_id 0
		.amdhsa_user_sgpr_flat_scratch_init 0
		.amdhsa_user_sgpr_private_segment_size 0
		.amdhsa_wavefront_size32 1
		.amdhsa_uses_dynamic_stack 0
		.amdhsa_system_sgpr_private_segment_wavefront_offset 0
		.amdhsa_system_sgpr_workgroup_id_x 1
		.amdhsa_system_sgpr_workgroup_id_y 0
		.amdhsa_system_sgpr_workgroup_id_z 0
		.amdhsa_system_sgpr_workgroup_info 0
		.amdhsa_system_vgpr_workitem_id 0
		.amdhsa_next_free_vgpr 78
		.amdhsa_next_free_sgpr 16
		.amdhsa_reserve_vcc 1
		.amdhsa_reserve_flat_scratch 0
		.amdhsa_float_round_mode_32 0
		.amdhsa_float_round_mode_16_64 0
		.amdhsa_float_denorm_mode_32 3
		.amdhsa_float_denorm_mode_16_64 3
		.amdhsa_dx10_clamp 1
		.amdhsa_ieee_mode 1
		.amdhsa_fp16_overflow 0
		.amdhsa_workgroup_processor_mode 1
		.amdhsa_memory_ordered 1
		.amdhsa_forward_progress 1
		.amdhsa_shared_vgpr_count 0
		.amdhsa_exception_fp_ieee_invalid_op 0
		.amdhsa_exception_fp_denorm_src 0
		.amdhsa_exception_fp_ieee_div_zero 0
		.amdhsa_exception_fp_ieee_overflow 0
		.amdhsa_exception_fp_ieee_underflow 0
		.amdhsa_exception_fp_ieee_inexact 0
		.amdhsa_exception_int_div_zero 0
	.end_amdhsa_kernel
	.section	.text._ZN9rocsparseL19gebsrmvn_2xn_kernelILj128ELj10ELj4E21rocsparse_complex_numIfEEEvi20rocsparse_direction_NS_24const_host_device_scalarIT2_EEPKiS8_PKS5_SA_S6_PS5_21rocsparse_index_base_b,"axG",@progbits,_ZN9rocsparseL19gebsrmvn_2xn_kernelILj128ELj10ELj4E21rocsparse_complex_numIfEEEvi20rocsparse_direction_NS_24const_host_device_scalarIT2_EEPKiS8_PKS5_SA_S6_PS5_21rocsparse_index_base_b,comdat
.Lfunc_end192:
	.size	_ZN9rocsparseL19gebsrmvn_2xn_kernelILj128ELj10ELj4E21rocsparse_complex_numIfEEEvi20rocsparse_direction_NS_24const_host_device_scalarIT2_EEPKiS8_PKS5_SA_S6_PS5_21rocsparse_index_base_b, .Lfunc_end192-_ZN9rocsparseL19gebsrmvn_2xn_kernelILj128ELj10ELj4E21rocsparse_complex_numIfEEEvi20rocsparse_direction_NS_24const_host_device_scalarIT2_EEPKiS8_PKS5_SA_S6_PS5_21rocsparse_index_base_b
                                        ; -- End function
	.set _ZN9rocsparseL19gebsrmvn_2xn_kernelILj128ELj10ELj4E21rocsparse_complex_numIfEEEvi20rocsparse_direction_NS_24const_host_device_scalarIT2_EEPKiS8_PKS5_SA_S6_PS5_21rocsparse_index_base_b.num_vgpr, 78
	.set _ZN9rocsparseL19gebsrmvn_2xn_kernelILj128ELj10ELj4E21rocsparse_complex_numIfEEEvi20rocsparse_direction_NS_24const_host_device_scalarIT2_EEPKiS8_PKS5_SA_S6_PS5_21rocsparse_index_base_b.num_agpr, 0
	.set _ZN9rocsparseL19gebsrmvn_2xn_kernelILj128ELj10ELj4E21rocsparse_complex_numIfEEEvi20rocsparse_direction_NS_24const_host_device_scalarIT2_EEPKiS8_PKS5_SA_S6_PS5_21rocsparse_index_base_b.numbered_sgpr, 16
	.set _ZN9rocsparseL19gebsrmvn_2xn_kernelILj128ELj10ELj4E21rocsparse_complex_numIfEEEvi20rocsparse_direction_NS_24const_host_device_scalarIT2_EEPKiS8_PKS5_SA_S6_PS5_21rocsparse_index_base_b.num_named_barrier, 0
	.set _ZN9rocsparseL19gebsrmvn_2xn_kernelILj128ELj10ELj4E21rocsparse_complex_numIfEEEvi20rocsparse_direction_NS_24const_host_device_scalarIT2_EEPKiS8_PKS5_SA_S6_PS5_21rocsparse_index_base_b.private_seg_size, 0
	.set _ZN9rocsparseL19gebsrmvn_2xn_kernelILj128ELj10ELj4E21rocsparse_complex_numIfEEEvi20rocsparse_direction_NS_24const_host_device_scalarIT2_EEPKiS8_PKS5_SA_S6_PS5_21rocsparse_index_base_b.uses_vcc, 1
	.set _ZN9rocsparseL19gebsrmvn_2xn_kernelILj128ELj10ELj4E21rocsparse_complex_numIfEEEvi20rocsparse_direction_NS_24const_host_device_scalarIT2_EEPKiS8_PKS5_SA_S6_PS5_21rocsparse_index_base_b.uses_flat_scratch, 0
	.set _ZN9rocsparseL19gebsrmvn_2xn_kernelILj128ELj10ELj4E21rocsparse_complex_numIfEEEvi20rocsparse_direction_NS_24const_host_device_scalarIT2_EEPKiS8_PKS5_SA_S6_PS5_21rocsparse_index_base_b.has_dyn_sized_stack, 0
	.set _ZN9rocsparseL19gebsrmvn_2xn_kernelILj128ELj10ELj4E21rocsparse_complex_numIfEEEvi20rocsparse_direction_NS_24const_host_device_scalarIT2_EEPKiS8_PKS5_SA_S6_PS5_21rocsparse_index_base_b.has_recursion, 0
	.set _ZN9rocsparseL19gebsrmvn_2xn_kernelILj128ELj10ELj4E21rocsparse_complex_numIfEEEvi20rocsparse_direction_NS_24const_host_device_scalarIT2_EEPKiS8_PKS5_SA_S6_PS5_21rocsparse_index_base_b.has_indirect_call, 0
	.section	.AMDGPU.csdata,"",@progbits
; Kernel info:
; codeLenInByte = 3244
; TotalNumSgprs: 18
; NumVgprs: 78
; ScratchSize: 0
; MemoryBound: 0
; FloatMode: 240
; IeeeMode: 1
; LDSByteSize: 0 bytes/workgroup (compile time only)
; SGPRBlocks: 0
; VGPRBlocks: 9
; NumSGPRsForWavesPerEU: 18
; NumVGPRsForWavesPerEU: 78
; Occupancy: 12
; WaveLimiterHint : 1
; COMPUTE_PGM_RSRC2:SCRATCH_EN: 0
; COMPUTE_PGM_RSRC2:USER_SGPR: 6
; COMPUTE_PGM_RSRC2:TRAP_HANDLER: 0
; COMPUTE_PGM_RSRC2:TGID_X_EN: 1
; COMPUTE_PGM_RSRC2:TGID_Y_EN: 0
; COMPUTE_PGM_RSRC2:TGID_Z_EN: 0
; COMPUTE_PGM_RSRC2:TIDIG_COMP_CNT: 0
	.section	.text._ZN9rocsparseL19gebsrmvn_2xn_kernelILj128ELj10ELj8E21rocsparse_complex_numIfEEEvi20rocsparse_direction_NS_24const_host_device_scalarIT2_EEPKiS8_PKS5_SA_S6_PS5_21rocsparse_index_base_b,"axG",@progbits,_ZN9rocsparseL19gebsrmvn_2xn_kernelILj128ELj10ELj8E21rocsparse_complex_numIfEEEvi20rocsparse_direction_NS_24const_host_device_scalarIT2_EEPKiS8_PKS5_SA_S6_PS5_21rocsparse_index_base_b,comdat
	.globl	_ZN9rocsparseL19gebsrmvn_2xn_kernelILj128ELj10ELj8E21rocsparse_complex_numIfEEEvi20rocsparse_direction_NS_24const_host_device_scalarIT2_EEPKiS8_PKS5_SA_S6_PS5_21rocsparse_index_base_b ; -- Begin function _ZN9rocsparseL19gebsrmvn_2xn_kernelILj128ELj10ELj8E21rocsparse_complex_numIfEEEvi20rocsparse_direction_NS_24const_host_device_scalarIT2_EEPKiS8_PKS5_SA_S6_PS5_21rocsparse_index_base_b
	.p2align	8
	.type	_ZN9rocsparseL19gebsrmvn_2xn_kernelILj128ELj10ELj8E21rocsparse_complex_numIfEEEvi20rocsparse_direction_NS_24const_host_device_scalarIT2_EEPKiS8_PKS5_SA_S6_PS5_21rocsparse_index_base_b,@function
_ZN9rocsparseL19gebsrmvn_2xn_kernelILj128ELj10ELj8E21rocsparse_complex_numIfEEEvi20rocsparse_direction_NS_24const_host_device_scalarIT2_EEPKiS8_PKS5_SA_S6_PS5_21rocsparse_index_base_b: ; @_ZN9rocsparseL19gebsrmvn_2xn_kernelILj128ELj10ELj8E21rocsparse_complex_numIfEEEvi20rocsparse_direction_NS_24const_host_device_scalarIT2_EEPKiS8_PKS5_SA_S6_PS5_21rocsparse_index_base_b
; %bb.0:
	s_clause 0x2
	s_load_dwordx2 s[2:3], s[4:5], 0x40
	s_load_dwordx2 s[0:1], s[4:5], 0x8
	;; [unrolled: 1-line block ×3, first 2 shown]
	s_add_u32 s7, s4, 8
	s_addc_u32 s10, s5, 0
	s_add_u32 s11, s4, 48
	s_addc_u32 s12, s5, 0
	s_waitcnt lgkmcnt(0)
	s_bitcmp1_b32 s3, 0
	s_cselect_b32 s0, s7, s0
	s_cselect_b32 s1, s10, s1
	v_mov_b32_e32 v1, s0
	v_mov_b32_e32 v2, s1
	s_cselect_b32 s0, s11, s8
	s_cselect_b32 s1, s12, s9
	v_mov_b32_e32 v3, s0
	v_mov_b32_e32 v4, s1
	flat_load_dwordx2 v[1:2], v[1:2]
	flat_load_dwordx2 v[3:4], v[3:4]
	s_waitcnt vmcnt(1) lgkmcnt(1)
	v_cmp_eq_f32_e32 vcc_lo, 0, v1
	v_cmp_eq_f32_e64 s0, 0, v2
	s_and_b32 s3, vcc_lo, s0
	s_mov_b32 s0, -1
	s_and_saveexec_b32 s1, s3
	s_cbranch_execz .LBB193_2
; %bb.1:
	s_waitcnt vmcnt(0) lgkmcnt(0)
	v_cmp_neq_f32_e32 vcc_lo, 1.0, v3
	v_cmp_neq_f32_e64 s0, 0, v4
	s_or_b32 s0, vcc_lo, s0
	s_orn2_b32 s0, s0, exec_lo
.LBB193_2:
	s_or_b32 exec_lo, exec_lo, s1
	s_and_saveexec_b32 s1, s0
	s_cbranch_execz .LBB193_21
; %bb.3:
	s_load_dwordx2 s[0:1], s[4:5], 0x0
	v_lshrrev_b32_e32 v5, 3, v0
	v_lshl_or_b32 v5, s6, 4, v5
	s_waitcnt lgkmcnt(0)
	v_cmp_gt_i32_e32 vcc_lo, s0, v5
	s_and_b32 exec_lo, exec_lo, vcc_lo
	s_cbranch_execz .LBB193_21
; %bb.4:
	s_load_dwordx8 s[8:15], s[4:5], 0x10
	v_ashrrev_i32_e32 v6, 31, v5
	v_and_b32_e32 v0, 7, v0
	s_cmp_lg_u32 s1, 0
	v_lshlrev_b64 v[6:7], 2, v[5:6]
	s_waitcnt lgkmcnt(0)
	v_add_co_u32 v6, vcc_lo, s8, v6
	v_add_co_ci_u32_e64 v7, null, s9, v7, vcc_lo
	global_load_dwordx2 v[6:7], v[6:7], off
	s_waitcnt vmcnt(0)
	v_subrev_nc_u32_e32 v6, s2, v6
	v_subrev_nc_u32_e32 v15, s2, v7
	v_add_nc_u32_e32 v6, v6, v0
	v_cmp_lt_i32_e64 s0, v6, v15
	s_cbranch_scc0 .LBB193_10
; %bb.5:
	v_mov_b32_e32 v13, 0
	v_mov_b32_e32 v17, 0
	;; [unrolled: 1-line block ×4, first 2 shown]
	s_and_saveexec_b32 s3, s0
	s_cbranch_execz .LBB193_9
; %bb.6:
	v_mad_u64_u32 v[7:8], null, v6, 20, 18
	v_mov_b32_e32 v10, 0
	v_mov_b32_e32 v11, v6
	v_mov_b32_e32 v13, 0
	v_mov_b32_e32 v17, 0
	v_mov_b32_e32 v16, 0
	v_mov_b32_e32 v14, 0
	s_mov_b32 s6, 0
.LBB193_7:                              ; =>This Inner Loop Header: Depth=1
	v_ashrrev_i32_e32 v12, 31, v11
	v_mov_b32_e32 v59, v10
	v_lshlrev_b64 v[8:9], 2, v[11:12]
	v_add_nc_u32_e32 v11, 8, v11
	v_add_co_u32 v8, vcc_lo, s10, v8
	v_add_co_ci_u32_e64 v9, null, s11, v9, vcc_lo
	global_load_dword v12, v[8:9], off
	v_subrev_nc_u32_e32 v9, 18, v7
	v_mov_b32_e32 v8, v10
	v_lshlrev_b64 v[18:19], 3, v[9:10]
	v_add_nc_u32_e32 v9, -14, v7
	v_lshlrev_b64 v[73:74], 3, v[7:8]
	v_lshlrev_b64 v[8:9], 3, v[9:10]
	v_add_co_u32 v22, s1, s12, v18
	v_add_co_ci_u32_e64 v23, null, s13, v19, s1
	v_add_co_u32 v75, vcc_lo, s12, v73
	v_add_co_u32 v8, s1, s12, v8
	v_add_co_ci_u32_e64 v9, null, s13, v9, s1
	s_clause 0x2
	global_load_dwordx4 v[18:21], v[22:23], off offset:16
	global_load_dwordx4 v[22:25], v[22:23], off
	global_load_dwordx4 v[26:29], v[8:9], off
	v_add_co_ci_u32_e64 v76, null, s13, v74, vcc_lo
	v_cmp_ge_i32_e32 vcc_lo, v11, v15
	s_or_b32 s6, vcc_lo, s6
	s_waitcnt vmcnt(3)
	v_subrev_nc_u32_e32 v8, s2, v12
	v_mul_lo_u32 v58, v8, 10
	v_lshlrev_b64 v[30:31], 3, v[58:59]
	v_add_nc_u32_e32 v9, 2, v58
	v_lshlrev_b64 v[34:35], 3, v[9:10]
	v_add_co_u32 v30, s1, s14, v30
	v_add_co_ci_u32_e64 v31, null, s15, v31, s1
	v_add_nc_u32_e32 v9, -12, v7
	v_add_co_u32 v34, s1, s14, v34
	global_load_dwordx4 v[30:33], v[30:31], off
	v_add_co_ci_u32_e64 v35, null, s15, v35, s1
	v_lshlrev_b64 v[38:39], 3, v[9:10]
	v_add_nc_u32_e32 v9, -10, v7
	global_load_dwordx4 v[34:37], v[34:35], off
	v_lshlrev_b64 v[40:41], 3, v[9:10]
	v_add_nc_u32_e32 v9, 4, v58
	v_add_co_u32 v38, s1, s12, v38
	v_add_co_ci_u32_e64 v39, null, s13, v39, s1
	v_lshlrev_b64 v[46:47], 3, v[9:10]
	v_add_nc_u32_e32 v9, -8, v7
	v_add_co_u32 v42, s1, s12, v40
	v_add_co_ci_u32_e64 v43, null, s13, v41, s1
	global_load_dwordx4 v[38:41], v[38:39], off
	v_lshlrev_b64 v[48:49], 3, v[9:10]
	v_add_co_u32 v46, s1, s14, v46
	v_add_co_ci_u32_e64 v47, null, s15, v47, s1
	v_add_nc_u32_e32 v9, -6, v7
	v_add_co_u32 v50, s1, s12, v48
	global_load_dwordx4 v[42:45], v[42:43], off
	v_add_co_ci_u32_e64 v51, null, s13, v49, s1
	global_load_dwordx4 v[46:49], v[46:47], off
	v_lshlrev_b64 v[54:55], 3, v[9:10]
	v_add_nc_u32_e32 v9, 6, v58
	global_load_dwordx4 v[50:53], v[50:51], off
	v_lshlrev_b64 v[56:57], 3, v[9:10]
	v_add_nc_u32_e32 v9, -4, v7
	v_add_co_u32 v54, s1, s12, v54
	v_add_co_ci_u32_e64 v55, null, s13, v55, s1
	v_add_co_u32 v59, s1, s14, v56
	v_lshlrev_b64 v[62:63], 3, v[9:10]
	v_add_nc_u32_e32 v9, -2, v7
	v_add_co_ci_u32_e64 v60, null, s15, v57, s1
	global_load_dwordx4 v[54:57], v[54:55], off
	v_add_nc_u32_e32 v7, 0xa0, v7
	v_lshlrev_b64 v[66:67], 3, v[9:10]
	v_add_nc_u32_e32 v9, 8, v58
	global_load_dwordx4 v[58:61], v[59:60], off
	v_add_co_u32 v62, s1, s12, v62
	v_add_co_ci_u32_e64 v63, null, s13, v63, s1
	v_lshlrev_b64 v[8:9], 3, v[9:10]
	v_add_co_u32 v66, s1, s12, v66
	global_load_dwordx4 v[62:65], v[62:63], off
	v_add_co_ci_u32_e64 v67, null, s13, v67, s1
	v_add_co_u32 v8, s1, s14, v8
	v_add_co_ci_u32_e64 v9, null, s15, v9, s1
	global_load_dwordx4 v[66:69], v[66:67], off
	global_load_dwordx4 v[70:73], v[8:9], off
	;; [unrolled: 1-line block ×3, first 2 shown]
	s_waitcnt vmcnt(11)
	v_fmac_f32_e32 v17, v22, v30
	v_fmac_f32_e32 v13, v23, v30
	;; [unrolled: 1-line block ×4, first 2 shown]
	v_fma_f32 v8, -v23, v31, v17
	v_fmac_f32_e32 v13, v22, v31
	v_fma_f32 v9, -v25, v31, v16
	v_fmac_f32_e32 v14, v24, v31
	v_fmac_f32_e32 v8, v18, v32
	;; [unrolled: 1-line block ×5, first 2 shown]
	v_fma_f32 v8, -v19, v33, v8
	v_fmac_f32_e32 v13, v18, v33
	v_fma_f32 v9, -v21, v33, v9
	v_fmac_f32_e32 v14, v20, v33
	s_waitcnt vmcnt(10)
	v_fmac_f32_e32 v8, v26, v34
	v_fmac_f32_e32 v13, v27, v34
	v_fmac_f32_e32 v9, v28, v34
	v_fmac_f32_e32 v14, v29, v34
	v_fma_f32 v8, -v27, v35, v8
	v_fmac_f32_e32 v13, v26, v35
	v_fma_f32 v9, -v29, v35, v9
	v_fmac_f32_e32 v14, v28, v35
	s_waitcnt vmcnt(9)
	v_fmac_f32_e32 v8, v38, v36
	v_fmac_f32_e32 v13, v39, v36
	v_fmac_f32_e32 v9, v40, v36
	v_fmac_f32_e32 v14, v41, v36
	;; [unrolled: 9-line block ×8, first 2 shown]
	v_fma_f32 v17, -v75, v73, v8
	v_fmac_f32_e32 v13, v74, v73
	v_fma_f32 v16, -v77, v73, v9
	v_fmac_f32_e32 v14, v76, v73
	s_andn2_b32 exec_lo, exec_lo, s6
	s_cbranch_execnz .LBB193_7
; %bb.8:
	s_or_b32 exec_lo, exec_lo, s6
.LBB193_9:
	s_or_b32 exec_lo, exec_lo, s3
	s_cbranch_execz .LBB193_11
	s_branch .LBB193_16
.LBB193_10:
                                        ; implicit-def: $vgpr13
                                        ; implicit-def: $vgpr17
                                        ; implicit-def: $vgpr16
                                        ; implicit-def: $vgpr14
.LBB193_11:
	v_mov_b32_e32 v13, 0
	v_mov_b32_e32 v17, 0
	;; [unrolled: 1-line block ×4, first 2 shown]
	s_and_saveexec_b32 s1, s0
	s_cbranch_execz .LBB193_15
; %bb.12:
	v_mad_u64_u32 v[8:9], null, v6, 20, 19
	v_mov_b32_e32 v11, 0
	v_mov_b32_e32 v13, 0
	;; [unrolled: 1-line block ×5, first 2 shown]
	s_mov_b32 s0, 0
.LBB193_13:                             ; =>This Inner Loop Header: Depth=1
	v_ashrrev_i32_e32 v7, 31, v6
	v_subrev_nc_u32_e32 v10, 19, v8
	v_add_nc_u32_e32 v18, -9, v8
	v_mov_b32_e32 v19, v11
	v_mov_b32_e32 v9, v11
	v_lshlrev_b64 v[22:23], 2, v[6:7]
	v_lshlrev_b64 v[20:21], 3, v[10:11]
	v_add_nc_u32_e32 v10, -8, v8
	v_lshlrev_b64 v[18:19], 3, v[18:19]
	v_lshlrev_b64 v[24:25], 3, v[8:9]
	v_mov_b32_e32 v39, v11
	v_add_co_u32 v22, vcc_lo, s10, v22
	v_add_co_ci_u32_e64 v23, null, s11, v23, vcc_lo
	v_lshlrev_b64 v[9:10], 3, v[10:11]
	v_add_co_u32 v26, vcc_lo, s12, v20
	global_load_dword v7, v[22:23], off
	v_add_co_ci_u32_e64 v27, null, s13, v21, vcc_lo
	v_add_co_u32 v28, vcc_lo, s12, v18
	v_add_co_ci_u32_e64 v29, null, s13, v19, vcc_lo
	v_add_co_u32 v40, vcc_lo, s12, v24
	;; [unrolled: 2-line block ×3, first 2 shown]
	v_add_co_ci_u32_e64 v10, null, s13, v10, vcc_lo
	s_clause 0x3
	global_load_dwordx4 v[18:21], v[26:27], off offset:16
	global_load_dwordx4 v[22:25], v[26:27], off
	global_load_dwordx2 v[42:43], v[28:29], off
	global_load_dwordx2 v[44:45], v[9:10], off
	v_add_nc_u32_e32 v6, 8, v6
	s_waitcnt vmcnt(4)
	v_subrev_nc_u32_e32 v7, s2, v7
	v_mul_lo_u32 v38, v7, 10
	v_lshlrev_b64 v[26:27], 3, v[38:39]
	v_add_nc_u32_e32 v10, 2, v38
	v_lshlrev_b64 v[30:31], 3, v[10:11]
	v_add_co_u32 v26, vcc_lo, s14, v26
	v_add_co_ci_u32_e64 v27, null, s15, v27, vcc_lo
	v_add_nc_u32_e32 v10, -7, v8
	v_add_co_u32 v30, vcc_lo, s14, v30
	global_load_dwordx4 v[26:29], v[26:27], off
	v_add_co_ci_u32_e64 v31, null, s15, v31, vcc_lo
	v_lshlrev_b64 v[34:35], 3, v[10:11]
	v_add_nc_u32_e32 v10, -6, v8
	global_load_dwordx4 v[30:33], v[30:31], off
	v_lshlrev_b64 v[36:37], 3, v[10:11]
	v_add_nc_u32_e32 v10, -15, v8
	v_add_co_u32 v34, vcc_lo, s12, v34
	v_add_co_ci_u32_e64 v35, null, s13, v35, vcc_lo
	v_add_co_u32 v36, vcc_lo, s12, v36
	v_lshlrev_b64 v[46:47], 3, v[10:11]
	v_add_nc_u32_e32 v10, 4, v38
	v_add_co_ci_u32_e64 v37, null, s13, v37, vcc_lo
	s_clause 0x1
	global_load_dwordx2 v[48:49], v[34:35], off
	global_load_dwordx2 v[50:51], v[36:37], off
	v_lshlrev_b64 v[34:35], 3, v[10:11]
	v_add_nc_u32_e32 v10, -5, v8
	v_add_co_u32 v36, vcc_lo, s12, v46
	v_add_co_ci_u32_e64 v37, null, s13, v47, vcc_lo
	v_lshlrev_b64 v[46:47], 3, v[10:11]
	v_add_nc_u32_e32 v10, -14, v8
	v_add_co_u32 v34, vcc_lo, s14, v34
	v_add_co_ci_u32_e64 v35, null, s15, v35, vcc_lo
	;; [unrolled: 4-line block ×4, first 2 shown]
	v_lshlrev_b64 v[58:59], 3, v[10:11]
	v_add_nc_u32_e32 v10, 6, v38
	v_add_co_u32 v56, vcc_lo, s12, v56
	v_add_co_ci_u32_e64 v57, null, s13, v57, vcc_lo
	v_lshlrev_b64 v[60:61], 3, v[10:11]
	v_add_nc_u32_e32 v10, -3, v8
	s_clause 0x3
	global_load_dwordx2 v[52:53], v[36:37], off
	global_load_dwordx2 v[46:47], v[46:47], off
	;; [unrolled: 1-line block ×4, first 2 shown]
	v_lshlrev_b64 v[62:63], 3, v[10:11]
	v_add_nc_u32_e32 v10, -12, v8
	global_load_dwordx4 v[34:37], v[34:35], off
	v_add_co_u32 v58, vcc_lo, s12, v58
	v_add_co_ci_u32_e64 v59, null, s13, v59, vcc_lo
	v_lshlrev_b64 v[64:65], 3, v[10:11]
	v_add_nc_u32_e32 v10, -2, v8
	v_add_co_u32 v60, vcc_lo, s14, v60
	v_add_co_ci_u32_e64 v61, null, s15, v61, vcc_lo
	v_add_co_u32 v62, vcc_lo, s12, v62
	v_add_co_ci_u32_e64 v63, null, s13, v63, vcc_lo
	;; [unrolled: 2-line block ×3, first 2 shown]
	global_load_dwordx2 v[58:59], v[58:59], off
	s_waitcnt vmcnt(9)
	v_fmac_f32_e32 v17, v22, v26
	v_fmac_f32_e32 v13, v23, v26
	;; [unrolled: 1-line block ×4, first 2 shown]
	v_fma_f32 v7, -v23, v27, v17
	v_fmac_f32_e32 v13, v22, v27
	v_lshlrev_b64 v[22:23], 3, v[10:11]
	v_add_nc_u32_e32 v10, -11, v8
	v_fma_f32 v9, -v43, v27, v16
	v_fmac_f32_e32 v7, v24, v28
	v_fmac_f32_e32 v13, v25, v28
	;; [unrolled: 1-line block ×4, first 2 shown]
	v_fma_f32 v7, -v25, v29, v7
	v_fmac_f32_e32 v13, v24, v29
	v_lshlrev_b64 v[24:25], 3, v[10:11]
	v_add_nc_u32_e32 v10, 8, v38
	v_add_co_u32 v38, vcc_lo, s12, v22
	v_add_co_ci_u32_e64 v39, null, s13, v23, vcc_lo
	v_add_co_u32 v66, vcc_lo, s12, v24
	v_add_co_ci_u32_e64 v67, null, s13, v25, vcc_lo
	global_load_dwordx4 v[22:25], v[60:61], off
	s_clause 0x1
	global_load_dwordx2 v[60:61], v[62:63], off
	global_load_dwordx2 v[62:63], v[64:65], off
	v_lshlrev_b64 v[16:17], 3, v[10:11]
	v_add_nc_u32_e32 v10, -1, v8
	s_clause 0x1
	global_load_dwordx2 v[38:39], v[38:39], off
	global_load_dwordx2 v[42:43], v[66:67], off
	v_fmac_f32_e32 v14, v45, v28
	v_fma_f32 v12, -v45, v29, v9
	v_lshlrev_b64 v[26:27], 3, v[10:11]
	v_add_nc_u32_e32 v10, -10, v8
	v_add_co_u32 v16, vcc_lo, s14, v16
	v_fmac_f32_e32 v14, v44, v29
	v_add_co_ci_u32_e64 v17, null, s15, v17, vcc_lo
	v_lshlrev_b64 v[9:10], 3, v[10:11]
	v_add_co_u32 v44, vcc_lo, s12, v26
	v_add_co_ci_u32_e64 v45, null, s13, v27, vcc_lo
	s_waitcnt vmcnt(13)
	v_fmac_f32_e32 v7, v18, v30
	v_add_co_u32 v9, vcc_lo, s12, v9
	v_add_co_ci_u32_e64 v10, null, s13, v10, vcc_lo
	global_load_dwordx4 v[26:29], v[16:17], off
	s_clause 0x2
	global_load_dwordx2 v[16:17], v[44:45], off
	global_load_dwordx2 v[40:41], v[40:41], off
	;; [unrolled: 1-line block ×3, first 2 shown]
	v_fmac_f32_e32 v13, v19, v30
	s_waitcnt vmcnt(16)
	v_fmac_f32_e32 v12, v48, v30
	v_fmac_f32_e32 v14, v49, v30
	v_fma_f32 v7, -v19, v31, v7
	v_cmp_ge_i32_e32 vcc_lo, v6, v15
	v_fmac_f32_e32 v13, v18, v31
	v_fma_f32 v12, -v49, v31, v12
	v_fmac_f32_e32 v14, v48, v31
	v_fmac_f32_e32 v7, v20, v32
	v_add_nc_u32_e32 v8, 0xa0, v8
	v_fmac_f32_e32 v13, v21, v32
	s_waitcnt vmcnt(15)
	v_fmac_f32_e32 v12, v50, v32
	v_fmac_f32_e32 v14, v51, v32
	v_fma_f32 v7, -v21, v33, v7
	s_or_b32 s0, vcc_lo, s0
	v_fmac_f32_e32 v13, v20, v33
	v_fma_f32 v12, -v51, v33, v12
	v_fmac_f32_e32 v14, v50, v33
	s_waitcnt vmcnt(10)
	v_fmac_f32_e32 v7, v52, v34
	v_fmac_f32_e32 v13, v53, v34
	;; [unrolled: 1-line block ×4, first 2 shown]
	v_fma_f32 v7, -v53, v35, v7
	v_fmac_f32_e32 v13, v52, v35
	v_fma_f32 v12, -v47, v35, v12
	v_fmac_f32_e32 v14, v46, v35
	v_fmac_f32_e32 v7, v54, v36
	;; [unrolled: 1-line block ×5, first 2 shown]
	v_fma_f32 v7, -v55, v37, v7
	v_fmac_f32_e32 v13, v54, v37
	v_fma_f32 v12, -v57, v37, v12
	v_fmac_f32_e32 v14, v56, v37
	s_waitcnt vmcnt(8)
	v_fmac_f32_e32 v7, v58, v22
	v_fmac_f32_e32 v13, v59, v22
	s_waitcnt vmcnt(7)
	v_fmac_f32_e32 v12, v60, v22
	v_fmac_f32_e32 v14, v61, v22
	v_fma_f32 v7, -v59, v23, v7
	v_fmac_f32_e32 v13, v58, v23
	v_fma_f32 v12, -v61, v23, v12
	v_fmac_f32_e32 v14, v60, v23
	s_waitcnt vmcnt(6)
	v_fmac_f32_e32 v7, v62, v24
	v_fmac_f32_e32 v13, v63, v24
	s_waitcnt vmcnt(5)
	v_fmac_f32_e32 v12, v38, v24
	v_fmac_f32_e32 v14, v39, v24
	;; [unrolled: 10-line block ×3, first 2 shown]
	v_fma_f32 v7, -v43, v27, v7
	v_fmac_f32_e32 v13, v42, v27
	v_fma_f32 v12, -v17, v27, v12
	v_fmac_f32_e32 v14, v16, v27
	s_waitcnt vmcnt(0)
	v_fmac_f32_e32 v7, v9, v28
	v_fmac_f32_e32 v13, v10, v28
	v_fmac_f32_e32 v12, v40, v28
	v_fmac_f32_e32 v14, v41, v28
	v_fma_f32 v17, -v10, v29, v7
	v_fmac_f32_e32 v13, v9, v29
	v_fma_f32 v16, -v41, v29, v12
	v_fmac_f32_e32 v14, v40, v29
	s_andn2_b32 exec_lo, exec_lo, s0
	s_cbranch_execnz .LBB193_13
; %bb.14:
	s_or_b32 exec_lo, exec_lo, s0
.LBB193_15:
	s_or_b32 exec_lo, exec_lo, s1
.LBB193_16:
	v_mbcnt_lo_u32_b32 v6, -1, 0
	v_xor_b32_e32 v7, 4, v6
	v_xor_b32_e32 v11, 2, v6
	;; [unrolled: 1-line block ×3, first 2 shown]
	v_cmp_gt_i32_e32 vcc_lo, 32, v7
	v_cndmask_b32_e32 v7, v6, v7, vcc_lo
	v_cmp_gt_i32_e32 vcc_lo, 32, v11
	v_lshlrev_b32_e32 v7, 2, v7
	v_cndmask_b32_e32 v11, v6, v11, vcc_lo
	v_cmp_gt_i32_e32 vcc_lo, 32, v15
	ds_bpermute_b32 v8, v7, v17
	ds_bpermute_b32 v9, v7, v13
	;; [unrolled: 1-line block ×4, first 2 shown]
	v_lshlrev_b32_e32 v11, 2, v11
	v_cndmask_b32_e32 v6, v6, v15, vcc_lo
	v_cmp_eq_u32_e32 vcc_lo, 7, v0
	v_lshlrev_b32_e32 v15, 2, v6
	s_waitcnt lgkmcnt(3)
	v_add_f32_e32 v8, v17, v8
	s_waitcnt lgkmcnt(2)
	v_add_f32_e32 v9, v13, v9
	;; [unrolled: 2-line block ×4, first 2 shown]
	ds_bpermute_b32 v12, v11, v8
	ds_bpermute_b32 v13, v11, v9
	;; [unrolled: 1-line block ×4, first 2 shown]
	s_waitcnt lgkmcnt(3)
	v_add_f32_e32 v8, v8, v12
	s_waitcnt lgkmcnt(2)
	v_add_f32_e32 v9, v9, v13
	s_waitcnt lgkmcnt(1)
	v_add_f32_e32 v6, v10, v14
	s_waitcnt lgkmcnt(0)
	v_add_f32_e32 v7, v7, v11
	ds_bpermute_b32 v12, v15, v8
	ds_bpermute_b32 v13, v15, v9
	;; [unrolled: 1-line block ×4, first 2 shown]
	s_and_b32 exec_lo, exec_lo, vcc_lo
	s_cbranch_execz .LBB193_21
; %bb.17:
	s_load_dwordx2 s[2:3], s[4:5], 0x38
	v_cmp_eq_f32_e32 vcc_lo, 0, v3
	v_cmp_eq_f32_e64 s0, 0, v4
	s_waitcnt lgkmcnt(0)
	v_add_f32_e32 v0, v8, v12
	v_add_f32_e32 v8, v9, v13
	;; [unrolled: 1-line block ×4, first 2 shown]
	s_and_b32 s0, vcc_lo, s0
	s_and_saveexec_b32 s1, s0
	s_xor_b32 s0, exec_lo, s1
	s_cbranch_execz .LBB193_19
; %bb.18:
	v_lshlrev_b32_e32 v3, 1, v5
	v_mul_f32_e64 v9, v8, -v2
	v_mul_f32_e32 v10, v1, v8
	v_mul_f32_e64 v11, v7, -v2
	v_mul_f32_e32 v12, v1, v7
	v_ashrrev_i32_e32 v4, 31, v3
	v_fmac_f32_e32 v9, v1, v0
	v_fmac_f32_e32 v10, v2, v0
	v_fmac_f32_e32 v11, v1, v6
	v_fmac_f32_e32 v12, v2, v6
	v_lshlrev_b64 v[3:4], 3, v[3:4]
                                        ; implicit-def: $vgpr5
                                        ; implicit-def: $vgpr8
                                        ; implicit-def: $vgpr7
                                        ; implicit-def: $vgpr6
	v_add_co_u32 v0, vcc_lo, s2, v3
	v_add_co_ci_u32_e64 v1, null, s3, v4, vcc_lo
                                        ; implicit-def: $vgpr3_vgpr4
	global_store_dwordx4 v[0:1], v[9:12], off
                                        ; implicit-def: $vgpr1_vgpr2
                                        ; implicit-def: $vgpr0
.LBB193_19:
	s_andn2_saveexec_b32 s0, s0
	s_cbranch_execz .LBB193_21
; %bb.20:
	v_lshlrev_b32_e32 v9, 1, v5
	v_mul_f32_e64 v5, v8, -v2
	v_mul_f32_e32 v14, v1, v8
	v_mul_f32_e64 v8, v7, -v2
	v_mul_f32_e32 v16, v1, v7
	v_ashrrev_i32_e32 v10, 31, v9
	v_fmac_f32_e32 v5, v1, v0
	v_fmac_f32_e32 v14, v2, v0
	;; [unrolled: 1-line block ×4, first 2 shown]
	v_lshlrev_b64 v[9:10], 3, v[9:10]
	v_add_co_u32 v17, vcc_lo, s2, v9
	v_add_co_ci_u32_e64 v18, null, s3, v10, vcc_lo
	global_load_dwordx4 v[9:12], v[17:18], off
	s_waitcnt vmcnt(0)
	v_fmac_f32_e32 v5, v3, v9
	v_fmac_f32_e32 v14, v4, v9
	;; [unrolled: 1-line block ×4, first 2 shown]
	v_fma_f32 v13, -v4, v10, v5
	v_fmac_f32_e32 v14, v3, v10
	v_fma_f32 v15, -v4, v12, v8
	v_fmac_f32_e32 v16, v3, v12
	global_store_dwordx4 v[17:18], v[13:16], off
.LBB193_21:
	s_endpgm
	.section	.rodata,"a",@progbits
	.p2align	6, 0x0
	.amdhsa_kernel _ZN9rocsparseL19gebsrmvn_2xn_kernelILj128ELj10ELj8E21rocsparse_complex_numIfEEEvi20rocsparse_direction_NS_24const_host_device_scalarIT2_EEPKiS8_PKS5_SA_S6_PS5_21rocsparse_index_base_b
		.amdhsa_group_segment_fixed_size 0
		.amdhsa_private_segment_fixed_size 0
		.amdhsa_kernarg_size 72
		.amdhsa_user_sgpr_count 6
		.amdhsa_user_sgpr_private_segment_buffer 1
		.amdhsa_user_sgpr_dispatch_ptr 0
		.amdhsa_user_sgpr_queue_ptr 0
		.amdhsa_user_sgpr_kernarg_segment_ptr 1
		.amdhsa_user_sgpr_dispatch_id 0
		.amdhsa_user_sgpr_flat_scratch_init 0
		.amdhsa_user_sgpr_private_segment_size 0
		.amdhsa_wavefront_size32 1
		.amdhsa_uses_dynamic_stack 0
		.amdhsa_system_sgpr_private_segment_wavefront_offset 0
		.amdhsa_system_sgpr_workgroup_id_x 1
		.amdhsa_system_sgpr_workgroup_id_y 0
		.amdhsa_system_sgpr_workgroup_id_z 0
		.amdhsa_system_sgpr_workgroup_info 0
		.amdhsa_system_vgpr_workitem_id 0
		.amdhsa_next_free_vgpr 78
		.amdhsa_next_free_sgpr 16
		.amdhsa_reserve_vcc 1
		.amdhsa_reserve_flat_scratch 0
		.amdhsa_float_round_mode_32 0
		.amdhsa_float_round_mode_16_64 0
		.amdhsa_float_denorm_mode_32 3
		.amdhsa_float_denorm_mode_16_64 3
		.amdhsa_dx10_clamp 1
		.amdhsa_ieee_mode 1
		.amdhsa_fp16_overflow 0
		.amdhsa_workgroup_processor_mode 1
		.amdhsa_memory_ordered 1
		.amdhsa_forward_progress 1
		.amdhsa_shared_vgpr_count 0
		.amdhsa_exception_fp_ieee_invalid_op 0
		.amdhsa_exception_fp_denorm_src 0
		.amdhsa_exception_fp_ieee_div_zero 0
		.amdhsa_exception_fp_ieee_overflow 0
		.amdhsa_exception_fp_ieee_underflow 0
		.amdhsa_exception_fp_ieee_inexact 0
		.amdhsa_exception_int_div_zero 0
	.end_amdhsa_kernel
	.section	.text._ZN9rocsparseL19gebsrmvn_2xn_kernelILj128ELj10ELj8E21rocsparse_complex_numIfEEEvi20rocsparse_direction_NS_24const_host_device_scalarIT2_EEPKiS8_PKS5_SA_S6_PS5_21rocsparse_index_base_b,"axG",@progbits,_ZN9rocsparseL19gebsrmvn_2xn_kernelILj128ELj10ELj8E21rocsparse_complex_numIfEEEvi20rocsparse_direction_NS_24const_host_device_scalarIT2_EEPKiS8_PKS5_SA_S6_PS5_21rocsparse_index_base_b,comdat
.Lfunc_end193:
	.size	_ZN9rocsparseL19gebsrmvn_2xn_kernelILj128ELj10ELj8E21rocsparse_complex_numIfEEEvi20rocsparse_direction_NS_24const_host_device_scalarIT2_EEPKiS8_PKS5_SA_S6_PS5_21rocsparse_index_base_b, .Lfunc_end193-_ZN9rocsparseL19gebsrmvn_2xn_kernelILj128ELj10ELj8E21rocsparse_complex_numIfEEEvi20rocsparse_direction_NS_24const_host_device_scalarIT2_EEPKiS8_PKS5_SA_S6_PS5_21rocsparse_index_base_b
                                        ; -- End function
	.set _ZN9rocsparseL19gebsrmvn_2xn_kernelILj128ELj10ELj8E21rocsparse_complex_numIfEEEvi20rocsparse_direction_NS_24const_host_device_scalarIT2_EEPKiS8_PKS5_SA_S6_PS5_21rocsparse_index_base_b.num_vgpr, 78
	.set _ZN9rocsparseL19gebsrmvn_2xn_kernelILj128ELj10ELj8E21rocsparse_complex_numIfEEEvi20rocsparse_direction_NS_24const_host_device_scalarIT2_EEPKiS8_PKS5_SA_S6_PS5_21rocsparse_index_base_b.num_agpr, 0
	.set _ZN9rocsparseL19gebsrmvn_2xn_kernelILj128ELj10ELj8E21rocsparse_complex_numIfEEEvi20rocsparse_direction_NS_24const_host_device_scalarIT2_EEPKiS8_PKS5_SA_S6_PS5_21rocsparse_index_base_b.numbered_sgpr, 16
	.set _ZN9rocsparseL19gebsrmvn_2xn_kernelILj128ELj10ELj8E21rocsparse_complex_numIfEEEvi20rocsparse_direction_NS_24const_host_device_scalarIT2_EEPKiS8_PKS5_SA_S6_PS5_21rocsparse_index_base_b.num_named_barrier, 0
	.set _ZN9rocsparseL19gebsrmvn_2xn_kernelILj128ELj10ELj8E21rocsparse_complex_numIfEEEvi20rocsparse_direction_NS_24const_host_device_scalarIT2_EEPKiS8_PKS5_SA_S6_PS5_21rocsparse_index_base_b.private_seg_size, 0
	.set _ZN9rocsparseL19gebsrmvn_2xn_kernelILj128ELj10ELj8E21rocsparse_complex_numIfEEEvi20rocsparse_direction_NS_24const_host_device_scalarIT2_EEPKiS8_PKS5_SA_S6_PS5_21rocsparse_index_base_b.uses_vcc, 1
	.set _ZN9rocsparseL19gebsrmvn_2xn_kernelILj128ELj10ELj8E21rocsparse_complex_numIfEEEvi20rocsparse_direction_NS_24const_host_device_scalarIT2_EEPKiS8_PKS5_SA_S6_PS5_21rocsparse_index_base_b.uses_flat_scratch, 0
	.set _ZN9rocsparseL19gebsrmvn_2xn_kernelILj128ELj10ELj8E21rocsparse_complex_numIfEEEvi20rocsparse_direction_NS_24const_host_device_scalarIT2_EEPKiS8_PKS5_SA_S6_PS5_21rocsparse_index_base_b.has_dyn_sized_stack, 0
	.set _ZN9rocsparseL19gebsrmvn_2xn_kernelILj128ELj10ELj8E21rocsparse_complex_numIfEEEvi20rocsparse_direction_NS_24const_host_device_scalarIT2_EEPKiS8_PKS5_SA_S6_PS5_21rocsparse_index_base_b.has_recursion, 0
	.set _ZN9rocsparseL19gebsrmvn_2xn_kernelILj128ELj10ELj8E21rocsparse_complex_numIfEEEvi20rocsparse_direction_NS_24const_host_device_scalarIT2_EEPKiS8_PKS5_SA_S6_PS5_21rocsparse_index_base_b.has_indirect_call, 0
	.section	.AMDGPU.csdata,"",@progbits
; Kernel info:
; codeLenInByte = 3324
; TotalNumSgprs: 18
; NumVgprs: 78
; ScratchSize: 0
; MemoryBound: 0
; FloatMode: 240
; IeeeMode: 1
; LDSByteSize: 0 bytes/workgroup (compile time only)
; SGPRBlocks: 0
; VGPRBlocks: 9
; NumSGPRsForWavesPerEU: 18
; NumVGPRsForWavesPerEU: 78
; Occupancy: 12
; WaveLimiterHint : 1
; COMPUTE_PGM_RSRC2:SCRATCH_EN: 0
; COMPUTE_PGM_RSRC2:USER_SGPR: 6
; COMPUTE_PGM_RSRC2:TRAP_HANDLER: 0
; COMPUTE_PGM_RSRC2:TGID_X_EN: 1
; COMPUTE_PGM_RSRC2:TGID_Y_EN: 0
; COMPUTE_PGM_RSRC2:TGID_Z_EN: 0
; COMPUTE_PGM_RSRC2:TIDIG_COMP_CNT: 0
	.section	.text._ZN9rocsparseL19gebsrmvn_2xn_kernelILj128ELj10ELj16E21rocsparse_complex_numIfEEEvi20rocsparse_direction_NS_24const_host_device_scalarIT2_EEPKiS8_PKS5_SA_S6_PS5_21rocsparse_index_base_b,"axG",@progbits,_ZN9rocsparseL19gebsrmvn_2xn_kernelILj128ELj10ELj16E21rocsparse_complex_numIfEEEvi20rocsparse_direction_NS_24const_host_device_scalarIT2_EEPKiS8_PKS5_SA_S6_PS5_21rocsparse_index_base_b,comdat
	.globl	_ZN9rocsparseL19gebsrmvn_2xn_kernelILj128ELj10ELj16E21rocsparse_complex_numIfEEEvi20rocsparse_direction_NS_24const_host_device_scalarIT2_EEPKiS8_PKS5_SA_S6_PS5_21rocsparse_index_base_b ; -- Begin function _ZN9rocsparseL19gebsrmvn_2xn_kernelILj128ELj10ELj16E21rocsparse_complex_numIfEEEvi20rocsparse_direction_NS_24const_host_device_scalarIT2_EEPKiS8_PKS5_SA_S6_PS5_21rocsparse_index_base_b
	.p2align	8
	.type	_ZN9rocsparseL19gebsrmvn_2xn_kernelILj128ELj10ELj16E21rocsparse_complex_numIfEEEvi20rocsparse_direction_NS_24const_host_device_scalarIT2_EEPKiS8_PKS5_SA_S6_PS5_21rocsparse_index_base_b,@function
_ZN9rocsparseL19gebsrmvn_2xn_kernelILj128ELj10ELj16E21rocsparse_complex_numIfEEEvi20rocsparse_direction_NS_24const_host_device_scalarIT2_EEPKiS8_PKS5_SA_S6_PS5_21rocsparse_index_base_b: ; @_ZN9rocsparseL19gebsrmvn_2xn_kernelILj128ELj10ELj16E21rocsparse_complex_numIfEEEvi20rocsparse_direction_NS_24const_host_device_scalarIT2_EEPKiS8_PKS5_SA_S6_PS5_21rocsparse_index_base_b
; %bb.0:
	s_clause 0x2
	s_load_dwordx2 s[2:3], s[4:5], 0x40
	s_load_dwordx2 s[0:1], s[4:5], 0x8
	;; [unrolled: 1-line block ×3, first 2 shown]
	s_add_u32 s7, s4, 8
	s_addc_u32 s10, s5, 0
	s_add_u32 s11, s4, 48
	s_addc_u32 s12, s5, 0
	s_waitcnt lgkmcnt(0)
	s_bitcmp1_b32 s3, 0
	s_cselect_b32 s0, s7, s0
	s_cselect_b32 s1, s10, s1
	v_mov_b32_e32 v1, s0
	v_mov_b32_e32 v2, s1
	s_cselect_b32 s0, s11, s8
	s_cselect_b32 s1, s12, s9
	v_mov_b32_e32 v3, s0
	v_mov_b32_e32 v4, s1
	flat_load_dwordx2 v[1:2], v[1:2]
	flat_load_dwordx2 v[3:4], v[3:4]
	s_waitcnt vmcnt(1) lgkmcnt(1)
	v_cmp_eq_f32_e32 vcc_lo, 0, v1
	v_cmp_eq_f32_e64 s0, 0, v2
	s_and_b32 s3, vcc_lo, s0
	s_mov_b32 s0, -1
	s_and_saveexec_b32 s1, s3
	s_cbranch_execz .LBB194_2
; %bb.1:
	s_waitcnt vmcnt(0) lgkmcnt(0)
	v_cmp_neq_f32_e32 vcc_lo, 1.0, v3
	v_cmp_neq_f32_e64 s0, 0, v4
	s_or_b32 s0, vcc_lo, s0
	s_orn2_b32 s0, s0, exec_lo
.LBB194_2:
	s_or_b32 exec_lo, exec_lo, s1
	s_and_saveexec_b32 s1, s0
	s_cbranch_execz .LBB194_21
; %bb.3:
	s_load_dwordx2 s[0:1], s[4:5], 0x0
	v_lshrrev_b32_e32 v5, 4, v0
	v_lshl_or_b32 v5, s6, 3, v5
	s_waitcnt lgkmcnt(0)
	v_cmp_gt_i32_e32 vcc_lo, s0, v5
	s_and_b32 exec_lo, exec_lo, vcc_lo
	s_cbranch_execz .LBB194_21
; %bb.4:
	s_load_dwordx8 s[8:15], s[4:5], 0x10
	v_ashrrev_i32_e32 v6, 31, v5
	v_and_b32_e32 v0, 15, v0
	s_cmp_lg_u32 s1, 0
	v_lshlrev_b64 v[6:7], 2, v[5:6]
	s_waitcnt lgkmcnt(0)
	v_add_co_u32 v6, vcc_lo, s8, v6
	v_add_co_ci_u32_e64 v7, null, s9, v7, vcc_lo
	global_load_dwordx2 v[6:7], v[6:7], off
	s_waitcnt vmcnt(0)
	v_subrev_nc_u32_e32 v6, s2, v6
	v_subrev_nc_u32_e32 v15, s2, v7
	v_add_nc_u32_e32 v6, v6, v0
	v_cmp_lt_i32_e64 s0, v6, v15
	s_cbranch_scc0 .LBB194_10
; %bb.5:
	v_mov_b32_e32 v13, 0
	v_mov_b32_e32 v17, 0
	;; [unrolled: 1-line block ×4, first 2 shown]
	s_and_saveexec_b32 s3, s0
	s_cbranch_execz .LBB194_9
; %bb.6:
	v_mad_u64_u32 v[7:8], null, v6, 20, 18
	v_mov_b32_e32 v10, 0
	v_mov_b32_e32 v11, v6
	;; [unrolled: 1-line block ×6, first 2 shown]
	s_mov_b32 s6, 0
.LBB194_7:                              ; =>This Inner Loop Header: Depth=1
	v_ashrrev_i32_e32 v12, 31, v11
	v_mov_b32_e32 v59, v10
	v_lshlrev_b64 v[8:9], 2, v[11:12]
	v_add_nc_u32_e32 v11, 16, v11
	v_add_co_u32 v8, vcc_lo, s10, v8
	v_add_co_ci_u32_e64 v9, null, s11, v9, vcc_lo
	global_load_dword v12, v[8:9], off
	v_subrev_nc_u32_e32 v9, 18, v7
	v_mov_b32_e32 v8, v10
	v_lshlrev_b64 v[18:19], 3, v[9:10]
	v_add_nc_u32_e32 v9, -14, v7
	v_lshlrev_b64 v[73:74], 3, v[7:8]
	v_lshlrev_b64 v[8:9], 3, v[9:10]
	v_add_co_u32 v22, s1, s12, v18
	v_add_co_ci_u32_e64 v23, null, s13, v19, s1
	v_add_co_u32 v75, vcc_lo, s12, v73
	v_add_co_u32 v8, s1, s12, v8
	v_add_co_ci_u32_e64 v9, null, s13, v9, s1
	s_clause 0x2
	global_load_dwordx4 v[18:21], v[22:23], off offset:16
	global_load_dwordx4 v[22:25], v[22:23], off
	global_load_dwordx4 v[26:29], v[8:9], off
	v_add_co_ci_u32_e64 v76, null, s13, v74, vcc_lo
	v_cmp_ge_i32_e32 vcc_lo, v11, v15
	s_or_b32 s6, vcc_lo, s6
	s_waitcnt vmcnt(3)
	v_subrev_nc_u32_e32 v8, s2, v12
	v_mul_lo_u32 v58, v8, 10
	v_lshlrev_b64 v[30:31], 3, v[58:59]
	v_add_nc_u32_e32 v9, 2, v58
	v_lshlrev_b64 v[34:35], 3, v[9:10]
	v_add_co_u32 v30, s1, s14, v30
	v_add_co_ci_u32_e64 v31, null, s15, v31, s1
	v_add_nc_u32_e32 v9, -12, v7
	v_add_co_u32 v34, s1, s14, v34
	global_load_dwordx4 v[30:33], v[30:31], off
	v_add_co_ci_u32_e64 v35, null, s15, v35, s1
	v_lshlrev_b64 v[38:39], 3, v[9:10]
	v_add_nc_u32_e32 v9, -10, v7
	global_load_dwordx4 v[34:37], v[34:35], off
	v_lshlrev_b64 v[40:41], 3, v[9:10]
	v_add_nc_u32_e32 v9, 4, v58
	v_add_co_u32 v38, s1, s12, v38
	v_add_co_ci_u32_e64 v39, null, s13, v39, s1
	v_lshlrev_b64 v[46:47], 3, v[9:10]
	v_add_nc_u32_e32 v9, -8, v7
	v_add_co_u32 v42, s1, s12, v40
	v_add_co_ci_u32_e64 v43, null, s13, v41, s1
	global_load_dwordx4 v[38:41], v[38:39], off
	v_lshlrev_b64 v[48:49], 3, v[9:10]
	v_add_co_u32 v46, s1, s14, v46
	v_add_co_ci_u32_e64 v47, null, s15, v47, s1
	v_add_nc_u32_e32 v9, -6, v7
	v_add_co_u32 v50, s1, s12, v48
	global_load_dwordx4 v[42:45], v[42:43], off
	v_add_co_ci_u32_e64 v51, null, s13, v49, s1
	global_load_dwordx4 v[46:49], v[46:47], off
	v_lshlrev_b64 v[54:55], 3, v[9:10]
	v_add_nc_u32_e32 v9, 6, v58
	global_load_dwordx4 v[50:53], v[50:51], off
	v_lshlrev_b64 v[56:57], 3, v[9:10]
	v_add_nc_u32_e32 v9, -4, v7
	v_add_co_u32 v54, s1, s12, v54
	v_add_co_ci_u32_e64 v55, null, s13, v55, s1
	v_add_co_u32 v59, s1, s14, v56
	v_lshlrev_b64 v[62:63], 3, v[9:10]
	v_add_nc_u32_e32 v9, -2, v7
	v_add_co_ci_u32_e64 v60, null, s15, v57, s1
	global_load_dwordx4 v[54:57], v[54:55], off
	v_add_nc_u32_e32 v7, 0x140, v7
	v_lshlrev_b64 v[66:67], 3, v[9:10]
	v_add_nc_u32_e32 v9, 8, v58
	global_load_dwordx4 v[58:61], v[59:60], off
	v_add_co_u32 v62, s1, s12, v62
	v_add_co_ci_u32_e64 v63, null, s13, v63, s1
	v_lshlrev_b64 v[8:9], 3, v[9:10]
	v_add_co_u32 v66, s1, s12, v66
	global_load_dwordx4 v[62:65], v[62:63], off
	v_add_co_ci_u32_e64 v67, null, s13, v67, s1
	v_add_co_u32 v8, s1, s14, v8
	v_add_co_ci_u32_e64 v9, null, s15, v9, s1
	global_load_dwordx4 v[66:69], v[66:67], off
	global_load_dwordx4 v[70:73], v[8:9], off
	global_load_dwordx4 v[74:77], v[75:76], off
	s_waitcnt vmcnt(11)
	v_fmac_f32_e32 v17, v22, v30
	v_fmac_f32_e32 v13, v23, v30
	v_fmac_f32_e32 v16, v24, v30
	v_fmac_f32_e32 v14, v25, v30
	v_fma_f32 v8, -v23, v31, v17
	v_fmac_f32_e32 v13, v22, v31
	v_fma_f32 v9, -v25, v31, v16
	v_fmac_f32_e32 v14, v24, v31
	v_fmac_f32_e32 v8, v18, v32
	;; [unrolled: 1-line block ×5, first 2 shown]
	v_fma_f32 v8, -v19, v33, v8
	v_fmac_f32_e32 v13, v18, v33
	v_fma_f32 v9, -v21, v33, v9
	v_fmac_f32_e32 v14, v20, v33
	s_waitcnt vmcnt(10)
	v_fmac_f32_e32 v8, v26, v34
	v_fmac_f32_e32 v13, v27, v34
	v_fmac_f32_e32 v9, v28, v34
	v_fmac_f32_e32 v14, v29, v34
	v_fma_f32 v8, -v27, v35, v8
	v_fmac_f32_e32 v13, v26, v35
	v_fma_f32 v9, -v29, v35, v9
	v_fmac_f32_e32 v14, v28, v35
	s_waitcnt vmcnt(9)
	v_fmac_f32_e32 v8, v38, v36
	v_fmac_f32_e32 v13, v39, v36
	v_fmac_f32_e32 v9, v40, v36
	v_fmac_f32_e32 v14, v41, v36
	;; [unrolled: 9-line block ×8, first 2 shown]
	v_fma_f32 v17, -v75, v73, v8
	v_fmac_f32_e32 v13, v74, v73
	v_fma_f32 v16, -v77, v73, v9
	v_fmac_f32_e32 v14, v76, v73
	s_andn2_b32 exec_lo, exec_lo, s6
	s_cbranch_execnz .LBB194_7
; %bb.8:
	s_or_b32 exec_lo, exec_lo, s6
.LBB194_9:
	s_or_b32 exec_lo, exec_lo, s3
	s_cbranch_execz .LBB194_11
	s_branch .LBB194_16
.LBB194_10:
                                        ; implicit-def: $vgpr13
                                        ; implicit-def: $vgpr17
                                        ; implicit-def: $vgpr16
                                        ; implicit-def: $vgpr14
.LBB194_11:
	v_mov_b32_e32 v13, 0
	v_mov_b32_e32 v17, 0
	;; [unrolled: 1-line block ×4, first 2 shown]
	s_and_saveexec_b32 s1, s0
	s_cbranch_execz .LBB194_15
; %bb.12:
	v_mad_u64_u32 v[8:9], null, v6, 20, 19
	v_mov_b32_e32 v11, 0
	v_mov_b32_e32 v13, 0
	;; [unrolled: 1-line block ×5, first 2 shown]
	s_mov_b32 s0, 0
.LBB194_13:                             ; =>This Inner Loop Header: Depth=1
	v_ashrrev_i32_e32 v7, 31, v6
	v_subrev_nc_u32_e32 v10, 19, v8
	v_add_nc_u32_e32 v18, -9, v8
	v_mov_b32_e32 v19, v11
	v_mov_b32_e32 v9, v11
	v_lshlrev_b64 v[22:23], 2, v[6:7]
	v_lshlrev_b64 v[20:21], 3, v[10:11]
	v_add_nc_u32_e32 v10, -8, v8
	v_lshlrev_b64 v[18:19], 3, v[18:19]
	v_lshlrev_b64 v[24:25], 3, v[8:9]
	v_mov_b32_e32 v39, v11
	v_add_co_u32 v22, vcc_lo, s10, v22
	v_add_co_ci_u32_e64 v23, null, s11, v23, vcc_lo
	v_lshlrev_b64 v[9:10], 3, v[10:11]
	v_add_co_u32 v26, vcc_lo, s12, v20
	global_load_dword v7, v[22:23], off
	v_add_co_ci_u32_e64 v27, null, s13, v21, vcc_lo
	v_add_co_u32 v28, vcc_lo, s12, v18
	v_add_co_ci_u32_e64 v29, null, s13, v19, vcc_lo
	v_add_co_u32 v40, vcc_lo, s12, v24
	;; [unrolled: 2-line block ×3, first 2 shown]
	v_add_co_ci_u32_e64 v10, null, s13, v10, vcc_lo
	s_clause 0x3
	global_load_dwordx4 v[18:21], v[26:27], off offset:16
	global_load_dwordx4 v[22:25], v[26:27], off
	global_load_dwordx2 v[42:43], v[28:29], off
	global_load_dwordx2 v[44:45], v[9:10], off
	v_add_nc_u32_e32 v6, 16, v6
	s_waitcnt vmcnt(4)
	v_subrev_nc_u32_e32 v7, s2, v7
	v_mul_lo_u32 v38, v7, 10
	v_lshlrev_b64 v[26:27], 3, v[38:39]
	v_add_nc_u32_e32 v10, 2, v38
	v_lshlrev_b64 v[30:31], 3, v[10:11]
	v_add_co_u32 v26, vcc_lo, s14, v26
	v_add_co_ci_u32_e64 v27, null, s15, v27, vcc_lo
	v_add_nc_u32_e32 v10, -7, v8
	v_add_co_u32 v30, vcc_lo, s14, v30
	global_load_dwordx4 v[26:29], v[26:27], off
	v_add_co_ci_u32_e64 v31, null, s15, v31, vcc_lo
	v_lshlrev_b64 v[34:35], 3, v[10:11]
	v_add_nc_u32_e32 v10, -6, v8
	global_load_dwordx4 v[30:33], v[30:31], off
	v_lshlrev_b64 v[36:37], 3, v[10:11]
	v_add_nc_u32_e32 v10, -15, v8
	v_add_co_u32 v34, vcc_lo, s12, v34
	v_add_co_ci_u32_e64 v35, null, s13, v35, vcc_lo
	v_add_co_u32 v36, vcc_lo, s12, v36
	v_lshlrev_b64 v[46:47], 3, v[10:11]
	v_add_nc_u32_e32 v10, 4, v38
	v_add_co_ci_u32_e64 v37, null, s13, v37, vcc_lo
	s_clause 0x1
	global_load_dwordx2 v[48:49], v[34:35], off
	global_load_dwordx2 v[50:51], v[36:37], off
	v_lshlrev_b64 v[34:35], 3, v[10:11]
	v_add_nc_u32_e32 v10, -5, v8
	v_add_co_u32 v36, vcc_lo, s12, v46
	v_add_co_ci_u32_e64 v37, null, s13, v47, vcc_lo
	v_lshlrev_b64 v[46:47], 3, v[10:11]
	v_add_nc_u32_e32 v10, -14, v8
	v_add_co_u32 v34, vcc_lo, s14, v34
	v_add_co_ci_u32_e64 v35, null, s15, v35, vcc_lo
	;; [unrolled: 4-line block ×4, first 2 shown]
	v_lshlrev_b64 v[58:59], 3, v[10:11]
	v_add_nc_u32_e32 v10, 6, v38
	v_add_co_u32 v56, vcc_lo, s12, v56
	v_add_co_ci_u32_e64 v57, null, s13, v57, vcc_lo
	v_lshlrev_b64 v[60:61], 3, v[10:11]
	v_add_nc_u32_e32 v10, -3, v8
	s_clause 0x3
	global_load_dwordx2 v[52:53], v[36:37], off
	global_load_dwordx2 v[46:47], v[46:47], off
	;; [unrolled: 1-line block ×4, first 2 shown]
	v_lshlrev_b64 v[62:63], 3, v[10:11]
	v_add_nc_u32_e32 v10, -12, v8
	global_load_dwordx4 v[34:37], v[34:35], off
	v_add_co_u32 v58, vcc_lo, s12, v58
	v_add_co_ci_u32_e64 v59, null, s13, v59, vcc_lo
	v_lshlrev_b64 v[64:65], 3, v[10:11]
	v_add_nc_u32_e32 v10, -2, v8
	v_add_co_u32 v60, vcc_lo, s14, v60
	v_add_co_ci_u32_e64 v61, null, s15, v61, vcc_lo
	v_add_co_u32 v62, vcc_lo, s12, v62
	v_add_co_ci_u32_e64 v63, null, s13, v63, vcc_lo
	;; [unrolled: 2-line block ×3, first 2 shown]
	global_load_dwordx2 v[58:59], v[58:59], off
	s_waitcnt vmcnt(9)
	v_fmac_f32_e32 v17, v22, v26
	v_fmac_f32_e32 v13, v23, v26
	;; [unrolled: 1-line block ×4, first 2 shown]
	v_fma_f32 v7, -v23, v27, v17
	v_fmac_f32_e32 v13, v22, v27
	v_lshlrev_b64 v[22:23], 3, v[10:11]
	v_add_nc_u32_e32 v10, -11, v8
	v_fma_f32 v9, -v43, v27, v16
	v_fmac_f32_e32 v7, v24, v28
	v_fmac_f32_e32 v13, v25, v28
	;; [unrolled: 1-line block ×4, first 2 shown]
	v_fma_f32 v7, -v25, v29, v7
	v_fmac_f32_e32 v13, v24, v29
	v_lshlrev_b64 v[24:25], 3, v[10:11]
	v_add_nc_u32_e32 v10, 8, v38
	v_add_co_u32 v38, vcc_lo, s12, v22
	v_add_co_ci_u32_e64 v39, null, s13, v23, vcc_lo
	v_add_co_u32 v66, vcc_lo, s12, v24
	v_add_co_ci_u32_e64 v67, null, s13, v25, vcc_lo
	global_load_dwordx4 v[22:25], v[60:61], off
	s_clause 0x1
	global_load_dwordx2 v[60:61], v[62:63], off
	global_load_dwordx2 v[62:63], v[64:65], off
	v_lshlrev_b64 v[16:17], 3, v[10:11]
	v_add_nc_u32_e32 v10, -1, v8
	s_clause 0x1
	global_load_dwordx2 v[38:39], v[38:39], off
	global_load_dwordx2 v[42:43], v[66:67], off
	v_fmac_f32_e32 v14, v45, v28
	v_fma_f32 v12, -v45, v29, v9
	v_lshlrev_b64 v[26:27], 3, v[10:11]
	v_add_nc_u32_e32 v10, -10, v8
	v_add_co_u32 v16, vcc_lo, s14, v16
	v_fmac_f32_e32 v14, v44, v29
	v_add_co_ci_u32_e64 v17, null, s15, v17, vcc_lo
	v_lshlrev_b64 v[9:10], 3, v[10:11]
	v_add_co_u32 v44, vcc_lo, s12, v26
	v_add_co_ci_u32_e64 v45, null, s13, v27, vcc_lo
	s_waitcnt vmcnt(13)
	v_fmac_f32_e32 v7, v18, v30
	v_add_co_u32 v9, vcc_lo, s12, v9
	v_add_co_ci_u32_e64 v10, null, s13, v10, vcc_lo
	global_load_dwordx4 v[26:29], v[16:17], off
	s_clause 0x2
	global_load_dwordx2 v[16:17], v[44:45], off
	global_load_dwordx2 v[40:41], v[40:41], off
	;; [unrolled: 1-line block ×3, first 2 shown]
	v_fmac_f32_e32 v13, v19, v30
	s_waitcnt vmcnt(16)
	v_fmac_f32_e32 v12, v48, v30
	v_fmac_f32_e32 v14, v49, v30
	v_fma_f32 v7, -v19, v31, v7
	v_cmp_ge_i32_e32 vcc_lo, v6, v15
	v_fmac_f32_e32 v13, v18, v31
	v_fma_f32 v12, -v49, v31, v12
	v_fmac_f32_e32 v14, v48, v31
	v_fmac_f32_e32 v7, v20, v32
	v_add_nc_u32_e32 v8, 0x140, v8
	v_fmac_f32_e32 v13, v21, v32
	s_waitcnt vmcnt(15)
	v_fmac_f32_e32 v12, v50, v32
	v_fmac_f32_e32 v14, v51, v32
	v_fma_f32 v7, -v21, v33, v7
	s_or_b32 s0, vcc_lo, s0
	v_fmac_f32_e32 v13, v20, v33
	v_fma_f32 v12, -v51, v33, v12
	v_fmac_f32_e32 v14, v50, v33
	s_waitcnt vmcnt(10)
	v_fmac_f32_e32 v7, v52, v34
	v_fmac_f32_e32 v13, v53, v34
	;; [unrolled: 1-line block ×4, first 2 shown]
	v_fma_f32 v7, -v53, v35, v7
	v_fmac_f32_e32 v13, v52, v35
	v_fma_f32 v12, -v47, v35, v12
	v_fmac_f32_e32 v14, v46, v35
	v_fmac_f32_e32 v7, v54, v36
	;; [unrolled: 1-line block ×5, first 2 shown]
	v_fma_f32 v7, -v55, v37, v7
	v_fmac_f32_e32 v13, v54, v37
	v_fma_f32 v12, -v57, v37, v12
	v_fmac_f32_e32 v14, v56, v37
	s_waitcnt vmcnt(8)
	v_fmac_f32_e32 v7, v58, v22
	v_fmac_f32_e32 v13, v59, v22
	s_waitcnt vmcnt(7)
	v_fmac_f32_e32 v12, v60, v22
	v_fmac_f32_e32 v14, v61, v22
	v_fma_f32 v7, -v59, v23, v7
	v_fmac_f32_e32 v13, v58, v23
	v_fma_f32 v12, -v61, v23, v12
	v_fmac_f32_e32 v14, v60, v23
	s_waitcnt vmcnt(6)
	v_fmac_f32_e32 v7, v62, v24
	v_fmac_f32_e32 v13, v63, v24
	s_waitcnt vmcnt(5)
	v_fmac_f32_e32 v12, v38, v24
	v_fmac_f32_e32 v14, v39, v24
	;; [unrolled: 10-line block ×3, first 2 shown]
	v_fma_f32 v7, -v43, v27, v7
	v_fmac_f32_e32 v13, v42, v27
	v_fma_f32 v12, -v17, v27, v12
	v_fmac_f32_e32 v14, v16, v27
	s_waitcnt vmcnt(0)
	v_fmac_f32_e32 v7, v9, v28
	v_fmac_f32_e32 v13, v10, v28
	;; [unrolled: 1-line block ×4, first 2 shown]
	v_fma_f32 v17, -v10, v29, v7
	v_fmac_f32_e32 v13, v9, v29
	v_fma_f32 v16, -v41, v29, v12
	v_fmac_f32_e32 v14, v40, v29
	s_andn2_b32 exec_lo, exec_lo, s0
	s_cbranch_execnz .LBB194_13
; %bb.14:
	s_or_b32 exec_lo, exec_lo, s0
.LBB194_15:
	s_or_b32 exec_lo, exec_lo, s1
.LBB194_16:
	v_mbcnt_lo_u32_b32 v6, -1, 0
	v_xor_b32_e32 v7, 8, v6
	v_xor_b32_e32 v11, 4, v6
	;; [unrolled: 1-line block ×3, first 2 shown]
	v_cmp_gt_i32_e32 vcc_lo, 32, v7
	v_cndmask_b32_e32 v7, v6, v7, vcc_lo
	v_cmp_gt_i32_e32 vcc_lo, 32, v11
	v_lshlrev_b32_e32 v7, 2, v7
	v_cndmask_b32_e32 v11, v6, v11, vcc_lo
	v_cmp_gt_i32_e32 vcc_lo, 32, v15
	ds_bpermute_b32 v8, v7, v17
	ds_bpermute_b32 v9, v7, v13
	;; [unrolled: 1-line block ×4, first 2 shown]
	v_lshlrev_b32_e32 v11, 2, v11
	v_cndmask_b32_e32 v15, v6, v15, vcc_lo
	v_lshlrev_b32_e32 v15, 2, v15
	s_waitcnt lgkmcnt(3)
	v_add_f32_e32 v8, v17, v8
	s_waitcnt lgkmcnt(2)
	v_add_f32_e32 v9, v13, v9
	;; [unrolled: 2-line block ×4, first 2 shown]
	ds_bpermute_b32 v12, v11, v8
	ds_bpermute_b32 v13, v11, v9
	;; [unrolled: 1-line block ×4, first 2 shown]
	s_waitcnt lgkmcnt(3)
	v_add_f32_e32 v8, v8, v12
	s_waitcnt lgkmcnt(2)
	v_add_f32_e32 v9, v9, v13
	;; [unrolled: 2-line block ×4, first 2 shown]
	ds_bpermute_b32 v11, v15, v8
	ds_bpermute_b32 v12, v15, v9
	;; [unrolled: 1-line block ×4, first 2 shown]
	v_xor_b32_e32 v15, 1, v6
	v_cmp_gt_i32_e32 vcc_lo, 32, v15
	v_cndmask_b32_e32 v6, v6, v15, vcc_lo
	v_cmp_eq_u32_e32 vcc_lo, 15, v0
	v_lshlrev_b32_e32 v15, 2, v6
	s_waitcnt lgkmcnt(3)
	v_add_f32_e32 v8, v8, v11
	s_waitcnt lgkmcnt(2)
	v_add_f32_e32 v9, v9, v12
	;; [unrolled: 2-line block ×4, first 2 shown]
	ds_bpermute_b32 v12, v15, v8
	ds_bpermute_b32 v13, v15, v9
	;; [unrolled: 1-line block ×4, first 2 shown]
	s_and_b32 exec_lo, exec_lo, vcc_lo
	s_cbranch_execz .LBB194_21
; %bb.17:
	s_load_dwordx2 s[2:3], s[4:5], 0x38
	v_cmp_eq_f32_e32 vcc_lo, 0, v3
	v_cmp_eq_f32_e64 s0, 0, v4
	s_waitcnt lgkmcnt(0)
	v_add_f32_e32 v0, v8, v12
	v_add_f32_e32 v8, v9, v13
	;; [unrolled: 1-line block ×4, first 2 shown]
	s_and_b32 s0, vcc_lo, s0
	s_and_saveexec_b32 s1, s0
	s_xor_b32 s0, exec_lo, s1
	s_cbranch_execz .LBB194_19
; %bb.18:
	v_lshlrev_b32_e32 v3, 1, v5
	v_mul_f32_e64 v9, v8, -v2
	v_mul_f32_e32 v10, v1, v8
	v_mul_f32_e64 v11, v7, -v2
	v_mul_f32_e32 v12, v1, v7
	v_ashrrev_i32_e32 v4, 31, v3
	v_fmac_f32_e32 v9, v1, v0
	v_fmac_f32_e32 v10, v2, v0
	;; [unrolled: 1-line block ×4, first 2 shown]
	v_lshlrev_b64 v[3:4], 3, v[3:4]
                                        ; implicit-def: $vgpr5
                                        ; implicit-def: $vgpr8
                                        ; implicit-def: $vgpr7
                                        ; implicit-def: $vgpr6
	v_add_co_u32 v0, vcc_lo, s2, v3
	v_add_co_ci_u32_e64 v1, null, s3, v4, vcc_lo
                                        ; implicit-def: $vgpr3_vgpr4
	global_store_dwordx4 v[0:1], v[9:12], off
                                        ; implicit-def: $vgpr1_vgpr2
                                        ; implicit-def: $vgpr0
.LBB194_19:
	s_andn2_saveexec_b32 s0, s0
	s_cbranch_execz .LBB194_21
; %bb.20:
	v_lshlrev_b32_e32 v9, 1, v5
	v_mul_f32_e64 v5, v8, -v2
	v_mul_f32_e32 v14, v1, v8
	v_mul_f32_e64 v8, v7, -v2
	v_mul_f32_e32 v16, v1, v7
	v_ashrrev_i32_e32 v10, 31, v9
	v_fmac_f32_e32 v5, v1, v0
	v_fmac_f32_e32 v14, v2, v0
	;; [unrolled: 1-line block ×4, first 2 shown]
	v_lshlrev_b64 v[9:10], 3, v[9:10]
	v_add_co_u32 v17, vcc_lo, s2, v9
	v_add_co_ci_u32_e64 v18, null, s3, v10, vcc_lo
	global_load_dwordx4 v[9:12], v[17:18], off
	s_waitcnt vmcnt(0)
	v_fmac_f32_e32 v5, v3, v9
	v_fmac_f32_e32 v14, v4, v9
	v_fmac_f32_e32 v8, v3, v11
	v_fmac_f32_e32 v16, v4, v11
	v_fma_f32 v13, -v4, v10, v5
	v_fmac_f32_e32 v14, v3, v10
	v_fma_f32 v15, -v4, v12, v8
	v_fmac_f32_e32 v16, v3, v12
	global_store_dwordx4 v[17:18], v[13:16], off
.LBB194_21:
	s_endpgm
	.section	.rodata,"a",@progbits
	.p2align	6, 0x0
	.amdhsa_kernel _ZN9rocsparseL19gebsrmvn_2xn_kernelILj128ELj10ELj16E21rocsparse_complex_numIfEEEvi20rocsparse_direction_NS_24const_host_device_scalarIT2_EEPKiS8_PKS5_SA_S6_PS5_21rocsparse_index_base_b
		.amdhsa_group_segment_fixed_size 0
		.amdhsa_private_segment_fixed_size 0
		.amdhsa_kernarg_size 72
		.amdhsa_user_sgpr_count 6
		.amdhsa_user_sgpr_private_segment_buffer 1
		.amdhsa_user_sgpr_dispatch_ptr 0
		.amdhsa_user_sgpr_queue_ptr 0
		.amdhsa_user_sgpr_kernarg_segment_ptr 1
		.amdhsa_user_sgpr_dispatch_id 0
		.amdhsa_user_sgpr_flat_scratch_init 0
		.amdhsa_user_sgpr_private_segment_size 0
		.amdhsa_wavefront_size32 1
		.amdhsa_uses_dynamic_stack 0
		.amdhsa_system_sgpr_private_segment_wavefront_offset 0
		.amdhsa_system_sgpr_workgroup_id_x 1
		.amdhsa_system_sgpr_workgroup_id_y 0
		.amdhsa_system_sgpr_workgroup_id_z 0
		.amdhsa_system_sgpr_workgroup_info 0
		.amdhsa_system_vgpr_workitem_id 0
		.amdhsa_next_free_vgpr 78
		.amdhsa_next_free_sgpr 16
		.amdhsa_reserve_vcc 1
		.amdhsa_reserve_flat_scratch 0
		.amdhsa_float_round_mode_32 0
		.amdhsa_float_round_mode_16_64 0
		.amdhsa_float_denorm_mode_32 3
		.amdhsa_float_denorm_mode_16_64 3
		.amdhsa_dx10_clamp 1
		.amdhsa_ieee_mode 1
		.amdhsa_fp16_overflow 0
		.amdhsa_workgroup_processor_mode 1
		.amdhsa_memory_ordered 1
		.amdhsa_forward_progress 1
		.amdhsa_shared_vgpr_count 0
		.amdhsa_exception_fp_ieee_invalid_op 0
		.amdhsa_exception_fp_denorm_src 0
		.amdhsa_exception_fp_ieee_div_zero 0
		.amdhsa_exception_fp_ieee_overflow 0
		.amdhsa_exception_fp_ieee_underflow 0
		.amdhsa_exception_fp_ieee_inexact 0
		.amdhsa_exception_int_div_zero 0
	.end_amdhsa_kernel
	.section	.text._ZN9rocsparseL19gebsrmvn_2xn_kernelILj128ELj10ELj16E21rocsparse_complex_numIfEEEvi20rocsparse_direction_NS_24const_host_device_scalarIT2_EEPKiS8_PKS5_SA_S6_PS5_21rocsparse_index_base_b,"axG",@progbits,_ZN9rocsparseL19gebsrmvn_2xn_kernelILj128ELj10ELj16E21rocsparse_complex_numIfEEEvi20rocsparse_direction_NS_24const_host_device_scalarIT2_EEPKiS8_PKS5_SA_S6_PS5_21rocsparse_index_base_b,comdat
.Lfunc_end194:
	.size	_ZN9rocsparseL19gebsrmvn_2xn_kernelILj128ELj10ELj16E21rocsparse_complex_numIfEEEvi20rocsparse_direction_NS_24const_host_device_scalarIT2_EEPKiS8_PKS5_SA_S6_PS5_21rocsparse_index_base_b, .Lfunc_end194-_ZN9rocsparseL19gebsrmvn_2xn_kernelILj128ELj10ELj16E21rocsparse_complex_numIfEEEvi20rocsparse_direction_NS_24const_host_device_scalarIT2_EEPKiS8_PKS5_SA_S6_PS5_21rocsparse_index_base_b
                                        ; -- End function
	.set _ZN9rocsparseL19gebsrmvn_2xn_kernelILj128ELj10ELj16E21rocsparse_complex_numIfEEEvi20rocsparse_direction_NS_24const_host_device_scalarIT2_EEPKiS8_PKS5_SA_S6_PS5_21rocsparse_index_base_b.num_vgpr, 78
	.set _ZN9rocsparseL19gebsrmvn_2xn_kernelILj128ELj10ELj16E21rocsparse_complex_numIfEEEvi20rocsparse_direction_NS_24const_host_device_scalarIT2_EEPKiS8_PKS5_SA_S6_PS5_21rocsparse_index_base_b.num_agpr, 0
	.set _ZN9rocsparseL19gebsrmvn_2xn_kernelILj128ELj10ELj16E21rocsparse_complex_numIfEEEvi20rocsparse_direction_NS_24const_host_device_scalarIT2_EEPKiS8_PKS5_SA_S6_PS5_21rocsparse_index_base_b.numbered_sgpr, 16
	.set _ZN9rocsparseL19gebsrmvn_2xn_kernelILj128ELj10ELj16E21rocsparse_complex_numIfEEEvi20rocsparse_direction_NS_24const_host_device_scalarIT2_EEPKiS8_PKS5_SA_S6_PS5_21rocsparse_index_base_b.num_named_barrier, 0
	.set _ZN9rocsparseL19gebsrmvn_2xn_kernelILj128ELj10ELj16E21rocsparse_complex_numIfEEEvi20rocsparse_direction_NS_24const_host_device_scalarIT2_EEPKiS8_PKS5_SA_S6_PS5_21rocsparse_index_base_b.private_seg_size, 0
	.set _ZN9rocsparseL19gebsrmvn_2xn_kernelILj128ELj10ELj16E21rocsparse_complex_numIfEEEvi20rocsparse_direction_NS_24const_host_device_scalarIT2_EEPKiS8_PKS5_SA_S6_PS5_21rocsparse_index_base_b.uses_vcc, 1
	.set _ZN9rocsparseL19gebsrmvn_2xn_kernelILj128ELj10ELj16E21rocsparse_complex_numIfEEEvi20rocsparse_direction_NS_24const_host_device_scalarIT2_EEPKiS8_PKS5_SA_S6_PS5_21rocsparse_index_base_b.uses_flat_scratch, 0
	.set _ZN9rocsparseL19gebsrmvn_2xn_kernelILj128ELj10ELj16E21rocsparse_complex_numIfEEEvi20rocsparse_direction_NS_24const_host_device_scalarIT2_EEPKiS8_PKS5_SA_S6_PS5_21rocsparse_index_base_b.has_dyn_sized_stack, 0
	.set _ZN9rocsparseL19gebsrmvn_2xn_kernelILj128ELj10ELj16E21rocsparse_complex_numIfEEEvi20rocsparse_direction_NS_24const_host_device_scalarIT2_EEPKiS8_PKS5_SA_S6_PS5_21rocsparse_index_base_b.has_recursion, 0
	.set _ZN9rocsparseL19gebsrmvn_2xn_kernelILj128ELj10ELj16E21rocsparse_complex_numIfEEEvi20rocsparse_direction_NS_24const_host_device_scalarIT2_EEPKiS8_PKS5_SA_S6_PS5_21rocsparse_index_base_b.has_indirect_call, 0
	.section	.AMDGPU.csdata,"",@progbits
; Kernel info:
; codeLenInByte = 3404
; TotalNumSgprs: 18
; NumVgprs: 78
; ScratchSize: 0
; MemoryBound: 0
; FloatMode: 240
; IeeeMode: 1
; LDSByteSize: 0 bytes/workgroup (compile time only)
; SGPRBlocks: 0
; VGPRBlocks: 9
; NumSGPRsForWavesPerEU: 18
; NumVGPRsForWavesPerEU: 78
; Occupancy: 12
; WaveLimiterHint : 1
; COMPUTE_PGM_RSRC2:SCRATCH_EN: 0
; COMPUTE_PGM_RSRC2:USER_SGPR: 6
; COMPUTE_PGM_RSRC2:TRAP_HANDLER: 0
; COMPUTE_PGM_RSRC2:TGID_X_EN: 1
; COMPUTE_PGM_RSRC2:TGID_Y_EN: 0
; COMPUTE_PGM_RSRC2:TGID_Z_EN: 0
; COMPUTE_PGM_RSRC2:TIDIG_COMP_CNT: 0
	.section	.text._ZN9rocsparseL19gebsrmvn_2xn_kernelILj128ELj10ELj32E21rocsparse_complex_numIfEEEvi20rocsparse_direction_NS_24const_host_device_scalarIT2_EEPKiS8_PKS5_SA_S6_PS5_21rocsparse_index_base_b,"axG",@progbits,_ZN9rocsparseL19gebsrmvn_2xn_kernelILj128ELj10ELj32E21rocsparse_complex_numIfEEEvi20rocsparse_direction_NS_24const_host_device_scalarIT2_EEPKiS8_PKS5_SA_S6_PS5_21rocsparse_index_base_b,comdat
	.globl	_ZN9rocsparseL19gebsrmvn_2xn_kernelILj128ELj10ELj32E21rocsparse_complex_numIfEEEvi20rocsparse_direction_NS_24const_host_device_scalarIT2_EEPKiS8_PKS5_SA_S6_PS5_21rocsparse_index_base_b ; -- Begin function _ZN9rocsparseL19gebsrmvn_2xn_kernelILj128ELj10ELj32E21rocsparse_complex_numIfEEEvi20rocsparse_direction_NS_24const_host_device_scalarIT2_EEPKiS8_PKS5_SA_S6_PS5_21rocsparse_index_base_b
	.p2align	8
	.type	_ZN9rocsparseL19gebsrmvn_2xn_kernelILj128ELj10ELj32E21rocsparse_complex_numIfEEEvi20rocsparse_direction_NS_24const_host_device_scalarIT2_EEPKiS8_PKS5_SA_S6_PS5_21rocsparse_index_base_b,@function
_ZN9rocsparseL19gebsrmvn_2xn_kernelILj128ELj10ELj32E21rocsparse_complex_numIfEEEvi20rocsparse_direction_NS_24const_host_device_scalarIT2_EEPKiS8_PKS5_SA_S6_PS5_21rocsparse_index_base_b: ; @_ZN9rocsparseL19gebsrmvn_2xn_kernelILj128ELj10ELj32E21rocsparse_complex_numIfEEEvi20rocsparse_direction_NS_24const_host_device_scalarIT2_EEPKiS8_PKS5_SA_S6_PS5_21rocsparse_index_base_b
; %bb.0:
	s_clause 0x2
	s_load_dwordx2 s[2:3], s[4:5], 0x40
	s_load_dwordx2 s[0:1], s[4:5], 0x8
	;; [unrolled: 1-line block ×3, first 2 shown]
	s_add_u32 s7, s4, 8
	s_addc_u32 s10, s5, 0
	s_add_u32 s11, s4, 48
	s_addc_u32 s12, s5, 0
	s_waitcnt lgkmcnt(0)
	s_bitcmp1_b32 s3, 0
	s_cselect_b32 s0, s7, s0
	s_cselect_b32 s1, s10, s1
	v_mov_b32_e32 v1, s0
	v_mov_b32_e32 v2, s1
	s_cselect_b32 s0, s11, s8
	s_cselect_b32 s1, s12, s9
	v_mov_b32_e32 v3, s0
	v_mov_b32_e32 v4, s1
	flat_load_dwordx2 v[1:2], v[1:2]
	flat_load_dwordx2 v[3:4], v[3:4]
	s_waitcnt vmcnt(1) lgkmcnt(1)
	v_cmp_eq_f32_e32 vcc_lo, 0, v1
	v_cmp_eq_f32_e64 s0, 0, v2
	s_and_b32 s3, vcc_lo, s0
	s_mov_b32 s0, -1
	s_and_saveexec_b32 s1, s3
	s_cbranch_execz .LBB195_2
; %bb.1:
	s_waitcnt vmcnt(0) lgkmcnt(0)
	v_cmp_neq_f32_e32 vcc_lo, 1.0, v3
	v_cmp_neq_f32_e64 s0, 0, v4
	s_or_b32 s0, vcc_lo, s0
	s_orn2_b32 s0, s0, exec_lo
.LBB195_2:
	s_or_b32 exec_lo, exec_lo, s1
	s_and_saveexec_b32 s1, s0
	s_cbranch_execz .LBB195_21
; %bb.3:
	s_load_dwordx2 s[0:1], s[4:5], 0x0
	v_lshrrev_b32_e32 v5, 5, v0
	v_lshl_or_b32 v5, s6, 2, v5
	s_waitcnt lgkmcnt(0)
	v_cmp_gt_i32_e32 vcc_lo, s0, v5
	s_and_b32 exec_lo, exec_lo, vcc_lo
	s_cbranch_execz .LBB195_21
; %bb.4:
	s_load_dwordx8 s[8:15], s[4:5], 0x10
	v_ashrrev_i32_e32 v6, 31, v5
	v_and_b32_e32 v0, 31, v0
	s_cmp_lg_u32 s1, 0
	v_lshlrev_b64 v[6:7], 2, v[5:6]
	s_waitcnt lgkmcnt(0)
	v_add_co_u32 v6, vcc_lo, s8, v6
	v_add_co_ci_u32_e64 v7, null, s9, v7, vcc_lo
	global_load_dwordx2 v[6:7], v[6:7], off
	s_waitcnt vmcnt(0)
	v_subrev_nc_u32_e32 v6, s2, v6
	v_subrev_nc_u32_e32 v15, s2, v7
	v_add_nc_u32_e32 v6, v6, v0
	v_cmp_lt_i32_e64 s0, v6, v15
	s_cbranch_scc0 .LBB195_10
; %bb.5:
	v_mov_b32_e32 v13, 0
	v_mov_b32_e32 v17, 0
	;; [unrolled: 1-line block ×4, first 2 shown]
	s_and_saveexec_b32 s3, s0
	s_cbranch_execz .LBB195_9
; %bb.6:
	v_mad_u64_u32 v[7:8], null, v6, 20, 18
	v_mov_b32_e32 v10, 0
	v_mov_b32_e32 v11, v6
	;; [unrolled: 1-line block ×6, first 2 shown]
	s_mov_b32 s6, 0
.LBB195_7:                              ; =>This Inner Loop Header: Depth=1
	v_ashrrev_i32_e32 v12, 31, v11
	v_mov_b32_e32 v59, v10
	v_lshlrev_b64 v[8:9], 2, v[11:12]
	v_add_nc_u32_e32 v11, 32, v11
	v_add_co_u32 v8, vcc_lo, s10, v8
	v_add_co_ci_u32_e64 v9, null, s11, v9, vcc_lo
	global_load_dword v12, v[8:9], off
	v_subrev_nc_u32_e32 v9, 18, v7
	v_mov_b32_e32 v8, v10
	v_lshlrev_b64 v[18:19], 3, v[9:10]
	v_add_nc_u32_e32 v9, -14, v7
	v_lshlrev_b64 v[73:74], 3, v[7:8]
	v_lshlrev_b64 v[8:9], 3, v[9:10]
	v_add_co_u32 v22, s1, s12, v18
	v_add_co_ci_u32_e64 v23, null, s13, v19, s1
	v_add_co_u32 v75, vcc_lo, s12, v73
	v_add_co_u32 v8, s1, s12, v8
	v_add_co_ci_u32_e64 v9, null, s13, v9, s1
	s_clause 0x2
	global_load_dwordx4 v[18:21], v[22:23], off offset:16
	global_load_dwordx4 v[22:25], v[22:23], off
	global_load_dwordx4 v[26:29], v[8:9], off
	v_add_co_ci_u32_e64 v76, null, s13, v74, vcc_lo
	v_cmp_ge_i32_e32 vcc_lo, v11, v15
	s_or_b32 s6, vcc_lo, s6
	s_waitcnt vmcnt(3)
	v_subrev_nc_u32_e32 v8, s2, v12
	v_mul_lo_u32 v58, v8, 10
	v_lshlrev_b64 v[30:31], 3, v[58:59]
	v_add_nc_u32_e32 v9, 2, v58
	v_lshlrev_b64 v[34:35], 3, v[9:10]
	v_add_co_u32 v30, s1, s14, v30
	v_add_co_ci_u32_e64 v31, null, s15, v31, s1
	v_add_nc_u32_e32 v9, -12, v7
	v_add_co_u32 v34, s1, s14, v34
	global_load_dwordx4 v[30:33], v[30:31], off
	v_add_co_ci_u32_e64 v35, null, s15, v35, s1
	v_lshlrev_b64 v[38:39], 3, v[9:10]
	v_add_nc_u32_e32 v9, -10, v7
	global_load_dwordx4 v[34:37], v[34:35], off
	v_lshlrev_b64 v[40:41], 3, v[9:10]
	v_add_nc_u32_e32 v9, 4, v58
	v_add_co_u32 v38, s1, s12, v38
	v_add_co_ci_u32_e64 v39, null, s13, v39, s1
	v_lshlrev_b64 v[46:47], 3, v[9:10]
	v_add_nc_u32_e32 v9, -8, v7
	v_add_co_u32 v42, s1, s12, v40
	v_add_co_ci_u32_e64 v43, null, s13, v41, s1
	global_load_dwordx4 v[38:41], v[38:39], off
	v_lshlrev_b64 v[48:49], 3, v[9:10]
	v_add_co_u32 v46, s1, s14, v46
	v_add_co_ci_u32_e64 v47, null, s15, v47, s1
	v_add_nc_u32_e32 v9, -6, v7
	v_add_co_u32 v50, s1, s12, v48
	global_load_dwordx4 v[42:45], v[42:43], off
	v_add_co_ci_u32_e64 v51, null, s13, v49, s1
	global_load_dwordx4 v[46:49], v[46:47], off
	v_lshlrev_b64 v[54:55], 3, v[9:10]
	v_add_nc_u32_e32 v9, 6, v58
	global_load_dwordx4 v[50:53], v[50:51], off
	v_lshlrev_b64 v[56:57], 3, v[9:10]
	v_add_nc_u32_e32 v9, -4, v7
	v_add_co_u32 v54, s1, s12, v54
	v_add_co_ci_u32_e64 v55, null, s13, v55, s1
	v_add_co_u32 v59, s1, s14, v56
	v_lshlrev_b64 v[62:63], 3, v[9:10]
	v_add_nc_u32_e32 v9, -2, v7
	v_add_co_ci_u32_e64 v60, null, s15, v57, s1
	global_load_dwordx4 v[54:57], v[54:55], off
	v_add_nc_u32_e32 v7, 0x280, v7
	v_lshlrev_b64 v[66:67], 3, v[9:10]
	v_add_nc_u32_e32 v9, 8, v58
	global_load_dwordx4 v[58:61], v[59:60], off
	v_add_co_u32 v62, s1, s12, v62
	v_add_co_ci_u32_e64 v63, null, s13, v63, s1
	v_lshlrev_b64 v[8:9], 3, v[9:10]
	v_add_co_u32 v66, s1, s12, v66
	global_load_dwordx4 v[62:65], v[62:63], off
	v_add_co_ci_u32_e64 v67, null, s13, v67, s1
	v_add_co_u32 v8, s1, s14, v8
	v_add_co_ci_u32_e64 v9, null, s15, v9, s1
	global_load_dwordx4 v[66:69], v[66:67], off
	global_load_dwordx4 v[70:73], v[8:9], off
	;; [unrolled: 1-line block ×3, first 2 shown]
	s_waitcnt vmcnt(11)
	v_fmac_f32_e32 v17, v22, v30
	v_fmac_f32_e32 v13, v23, v30
	;; [unrolled: 1-line block ×4, first 2 shown]
	v_fma_f32 v8, -v23, v31, v17
	v_fmac_f32_e32 v13, v22, v31
	v_fma_f32 v9, -v25, v31, v16
	v_fmac_f32_e32 v14, v24, v31
	v_fmac_f32_e32 v8, v18, v32
	;; [unrolled: 1-line block ×5, first 2 shown]
	v_fma_f32 v8, -v19, v33, v8
	v_fmac_f32_e32 v13, v18, v33
	v_fma_f32 v9, -v21, v33, v9
	v_fmac_f32_e32 v14, v20, v33
	s_waitcnt vmcnt(10)
	v_fmac_f32_e32 v8, v26, v34
	v_fmac_f32_e32 v13, v27, v34
	v_fmac_f32_e32 v9, v28, v34
	v_fmac_f32_e32 v14, v29, v34
	v_fma_f32 v8, -v27, v35, v8
	v_fmac_f32_e32 v13, v26, v35
	v_fma_f32 v9, -v29, v35, v9
	v_fmac_f32_e32 v14, v28, v35
	s_waitcnt vmcnt(9)
	v_fmac_f32_e32 v8, v38, v36
	v_fmac_f32_e32 v13, v39, v36
	v_fmac_f32_e32 v9, v40, v36
	v_fmac_f32_e32 v14, v41, v36
	;; [unrolled: 9-line block ×8, first 2 shown]
	v_fma_f32 v17, -v75, v73, v8
	v_fmac_f32_e32 v13, v74, v73
	v_fma_f32 v16, -v77, v73, v9
	v_fmac_f32_e32 v14, v76, v73
	s_andn2_b32 exec_lo, exec_lo, s6
	s_cbranch_execnz .LBB195_7
; %bb.8:
	s_or_b32 exec_lo, exec_lo, s6
.LBB195_9:
	s_or_b32 exec_lo, exec_lo, s3
	s_cbranch_execz .LBB195_11
	s_branch .LBB195_16
.LBB195_10:
                                        ; implicit-def: $vgpr13
                                        ; implicit-def: $vgpr17
                                        ; implicit-def: $vgpr16
                                        ; implicit-def: $vgpr14
.LBB195_11:
	v_mov_b32_e32 v13, 0
	v_mov_b32_e32 v17, 0
	;; [unrolled: 1-line block ×4, first 2 shown]
	s_and_saveexec_b32 s1, s0
	s_cbranch_execz .LBB195_15
; %bb.12:
	v_mad_u64_u32 v[8:9], null, v6, 20, 19
	v_mov_b32_e32 v11, 0
	v_mov_b32_e32 v13, 0
	;; [unrolled: 1-line block ×5, first 2 shown]
	s_mov_b32 s0, 0
.LBB195_13:                             ; =>This Inner Loop Header: Depth=1
	v_ashrrev_i32_e32 v7, 31, v6
	v_subrev_nc_u32_e32 v10, 19, v8
	v_add_nc_u32_e32 v18, -9, v8
	v_mov_b32_e32 v19, v11
	v_mov_b32_e32 v9, v11
	v_lshlrev_b64 v[22:23], 2, v[6:7]
	v_lshlrev_b64 v[20:21], 3, v[10:11]
	v_add_nc_u32_e32 v10, -8, v8
	v_lshlrev_b64 v[18:19], 3, v[18:19]
	v_lshlrev_b64 v[24:25], 3, v[8:9]
	v_mov_b32_e32 v39, v11
	v_add_co_u32 v22, vcc_lo, s10, v22
	v_add_co_ci_u32_e64 v23, null, s11, v23, vcc_lo
	v_lshlrev_b64 v[9:10], 3, v[10:11]
	v_add_co_u32 v26, vcc_lo, s12, v20
	global_load_dword v7, v[22:23], off
	v_add_co_ci_u32_e64 v27, null, s13, v21, vcc_lo
	v_add_co_u32 v28, vcc_lo, s12, v18
	v_add_co_ci_u32_e64 v29, null, s13, v19, vcc_lo
	v_add_co_u32 v40, vcc_lo, s12, v24
	;; [unrolled: 2-line block ×3, first 2 shown]
	v_add_co_ci_u32_e64 v10, null, s13, v10, vcc_lo
	s_clause 0x3
	global_load_dwordx4 v[18:21], v[26:27], off offset:16
	global_load_dwordx4 v[22:25], v[26:27], off
	global_load_dwordx2 v[42:43], v[28:29], off
	global_load_dwordx2 v[44:45], v[9:10], off
	v_add_nc_u32_e32 v6, 32, v6
	s_waitcnt vmcnt(4)
	v_subrev_nc_u32_e32 v7, s2, v7
	v_mul_lo_u32 v38, v7, 10
	v_lshlrev_b64 v[26:27], 3, v[38:39]
	v_add_nc_u32_e32 v10, 2, v38
	v_lshlrev_b64 v[30:31], 3, v[10:11]
	v_add_co_u32 v26, vcc_lo, s14, v26
	v_add_co_ci_u32_e64 v27, null, s15, v27, vcc_lo
	v_add_nc_u32_e32 v10, -7, v8
	v_add_co_u32 v30, vcc_lo, s14, v30
	global_load_dwordx4 v[26:29], v[26:27], off
	v_add_co_ci_u32_e64 v31, null, s15, v31, vcc_lo
	v_lshlrev_b64 v[34:35], 3, v[10:11]
	v_add_nc_u32_e32 v10, -6, v8
	global_load_dwordx4 v[30:33], v[30:31], off
	v_lshlrev_b64 v[36:37], 3, v[10:11]
	v_add_nc_u32_e32 v10, -15, v8
	v_add_co_u32 v34, vcc_lo, s12, v34
	v_add_co_ci_u32_e64 v35, null, s13, v35, vcc_lo
	v_add_co_u32 v36, vcc_lo, s12, v36
	v_lshlrev_b64 v[46:47], 3, v[10:11]
	v_add_nc_u32_e32 v10, 4, v38
	v_add_co_ci_u32_e64 v37, null, s13, v37, vcc_lo
	s_clause 0x1
	global_load_dwordx2 v[48:49], v[34:35], off
	global_load_dwordx2 v[50:51], v[36:37], off
	v_lshlrev_b64 v[34:35], 3, v[10:11]
	v_add_nc_u32_e32 v10, -5, v8
	v_add_co_u32 v36, vcc_lo, s12, v46
	v_add_co_ci_u32_e64 v37, null, s13, v47, vcc_lo
	v_lshlrev_b64 v[46:47], 3, v[10:11]
	v_add_nc_u32_e32 v10, -14, v8
	v_add_co_u32 v34, vcc_lo, s14, v34
	v_add_co_ci_u32_e64 v35, null, s15, v35, vcc_lo
	;; [unrolled: 4-line block ×4, first 2 shown]
	v_lshlrev_b64 v[58:59], 3, v[10:11]
	v_add_nc_u32_e32 v10, 6, v38
	v_add_co_u32 v56, vcc_lo, s12, v56
	v_add_co_ci_u32_e64 v57, null, s13, v57, vcc_lo
	v_lshlrev_b64 v[60:61], 3, v[10:11]
	v_add_nc_u32_e32 v10, -3, v8
	s_clause 0x3
	global_load_dwordx2 v[52:53], v[36:37], off
	global_load_dwordx2 v[46:47], v[46:47], off
	;; [unrolled: 1-line block ×4, first 2 shown]
	v_lshlrev_b64 v[62:63], 3, v[10:11]
	v_add_nc_u32_e32 v10, -12, v8
	global_load_dwordx4 v[34:37], v[34:35], off
	v_add_co_u32 v58, vcc_lo, s12, v58
	v_add_co_ci_u32_e64 v59, null, s13, v59, vcc_lo
	v_lshlrev_b64 v[64:65], 3, v[10:11]
	v_add_nc_u32_e32 v10, -2, v8
	v_add_co_u32 v60, vcc_lo, s14, v60
	v_add_co_ci_u32_e64 v61, null, s15, v61, vcc_lo
	v_add_co_u32 v62, vcc_lo, s12, v62
	v_add_co_ci_u32_e64 v63, null, s13, v63, vcc_lo
	;; [unrolled: 2-line block ×3, first 2 shown]
	global_load_dwordx2 v[58:59], v[58:59], off
	s_waitcnt vmcnt(9)
	v_fmac_f32_e32 v17, v22, v26
	v_fmac_f32_e32 v13, v23, v26
	;; [unrolled: 1-line block ×4, first 2 shown]
	v_fma_f32 v7, -v23, v27, v17
	v_fmac_f32_e32 v13, v22, v27
	v_lshlrev_b64 v[22:23], 3, v[10:11]
	v_add_nc_u32_e32 v10, -11, v8
	v_fma_f32 v9, -v43, v27, v16
	v_fmac_f32_e32 v7, v24, v28
	v_fmac_f32_e32 v13, v25, v28
	;; [unrolled: 1-line block ×4, first 2 shown]
	v_fma_f32 v7, -v25, v29, v7
	v_fmac_f32_e32 v13, v24, v29
	v_lshlrev_b64 v[24:25], 3, v[10:11]
	v_add_nc_u32_e32 v10, 8, v38
	v_add_co_u32 v38, vcc_lo, s12, v22
	v_add_co_ci_u32_e64 v39, null, s13, v23, vcc_lo
	v_add_co_u32 v66, vcc_lo, s12, v24
	v_add_co_ci_u32_e64 v67, null, s13, v25, vcc_lo
	global_load_dwordx4 v[22:25], v[60:61], off
	s_clause 0x1
	global_load_dwordx2 v[60:61], v[62:63], off
	global_load_dwordx2 v[62:63], v[64:65], off
	v_lshlrev_b64 v[16:17], 3, v[10:11]
	v_add_nc_u32_e32 v10, -1, v8
	s_clause 0x1
	global_load_dwordx2 v[38:39], v[38:39], off
	global_load_dwordx2 v[42:43], v[66:67], off
	v_fmac_f32_e32 v14, v45, v28
	v_fma_f32 v12, -v45, v29, v9
	v_lshlrev_b64 v[26:27], 3, v[10:11]
	v_add_nc_u32_e32 v10, -10, v8
	v_add_co_u32 v16, vcc_lo, s14, v16
	v_fmac_f32_e32 v14, v44, v29
	v_add_co_ci_u32_e64 v17, null, s15, v17, vcc_lo
	v_lshlrev_b64 v[9:10], 3, v[10:11]
	v_add_co_u32 v44, vcc_lo, s12, v26
	v_add_co_ci_u32_e64 v45, null, s13, v27, vcc_lo
	s_waitcnt vmcnt(13)
	v_fmac_f32_e32 v7, v18, v30
	v_add_co_u32 v9, vcc_lo, s12, v9
	v_add_co_ci_u32_e64 v10, null, s13, v10, vcc_lo
	global_load_dwordx4 v[26:29], v[16:17], off
	s_clause 0x2
	global_load_dwordx2 v[16:17], v[44:45], off
	global_load_dwordx2 v[40:41], v[40:41], off
	;; [unrolled: 1-line block ×3, first 2 shown]
	v_fmac_f32_e32 v13, v19, v30
	s_waitcnt vmcnt(16)
	v_fmac_f32_e32 v12, v48, v30
	v_fmac_f32_e32 v14, v49, v30
	v_fma_f32 v7, -v19, v31, v7
	v_cmp_ge_i32_e32 vcc_lo, v6, v15
	v_fmac_f32_e32 v13, v18, v31
	v_fma_f32 v12, -v49, v31, v12
	v_fmac_f32_e32 v14, v48, v31
	v_fmac_f32_e32 v7, v20, v32
	v_add_nc_u32_e32 v8, 0x280, v8
	v_fmac_f32_e32 v13, v21, v32
	s_waitcnt vmcnt(15)
	v_fmac_f32_e32 v12, v50, v32
	v_fmac_f32_e32 v14, v51, v32
	v_fma_f32 v7, -v21, v33, v7
	s_or_b32 s0, vcc_lo, s0
	v_fmac_f32_e32 v13, v20, v33
	v_fma_f32 v12, -v51, v33, v12
	v_fmac_f32_e32 v14, v50, v33
	s_waitcnt vmcnt(10)
	v_fmac_f32_e32 v7, v52, v34
	v_fmac_f32_e32 v13, v53, v34
	;; [unrolled: 1-line block ×4, first 2 shown]
	v_fma_f32 v7, -v53, v35, v7
	v_fmac_f32_e32 v13, v52, v35
	v_fma_f32 v12, -v47, v35, v12
	v_fmac_f32_e32 v14, v46, v35
	v_fmac_f32_e32 v7, v54, v36
	;; [unrolled: 1-line block ×5, first 2 shown]
	v_fma_f32 v7, -v55, v37, v7
	v_fmac_f32_e32 v13, v54, v37
	v_fma_f32 v12, -v57, v37, v12
	v_fmac_f32_e32 v14, v56, v37
	s_waitcnt vmcnt(8)
	v_fmac_f32_e32 v7, v58, v22
	v_fmac_f32_e32 v13, v59, v22
	s_waitcnt vmcnt(7)
	v_fmac_f32_e32 v12, v60, v22
	v_fmac_f32_e32 v14, v61, v22
	v_fma_f32 v7, -v59, v23, v7
	v_fmac_f32_e32 v13, v58, v23
	v_fma_f32 v12, -v61, v23, v12
	v_fmac_f32_e32 v14, v60, v23
	s_waitcnt vmcnt(6)
	v_fmac_f32_e32 v7, v62, v24
	v_fmac_f32_e32 v13, v63, v24
	s_waitcnt vmcnt(5)
	v_fmac_f32_e32 v12, v38, v24
	v_fmac_f32_e32 v14, v39, v24
	;; [unrolled: 10-line block ×3, first 2 shown]
	v_fma_f32 v7, -v43, v27, v7
	v_fmac_f32_e32 v13, v42, v27
	v_fma_f32 v12, -v17, v27, v12
	v_fmac_f32_e32 v14, v16, v27
	s_waitcnt vmcnt(0)
	v_fmac_f32_e32 v7, v9, v28
	v_fmac_f32_e32 v13, v10, v28
	;; [unrolled: 1-line block ×4, first 2 shown]
	v_fma_f32 v17, -v10, v29, v7
	v_fmac_f32_e32 v13, v9, v29
	v_fma_f32 v16, -v41, v29, v12
	v_fmac_f32_e32 v14, v40, v29
	s_andn2_b32 exec_lo, exec_lo, s0
	s_cbranch_execnz .LBB195_13
; %bb.14:
	s_or_b32 exec_lo, exec_lo, s0
.LBB195_15:
	s_or_b32 exec_lo, exec_lo, s1
.LBB195_16:
	v_mbcnt_lo_u32_b32 v6, -1, 0
	v_xor_b32_e32 v7, 16, v6
	v_xor_b32_e32 v11, 8, v6
	;; [unrolled: 1-line block ×3, first 2 shown]
	v_cmp_gt_i32_e32 vcc_lo, 32, v7
	v_cndmask_b32_e32 v7, v6, v7, vcc_lo
	v_cmp_gt_i32_e32 vcc_lo, 32, v11
	v_lshlrev_b32_e32 v7, 2, v7
	v_cndmask_b32_e32 v11, v6, v11, vcc_lo
	v_cmp_gt_i32_e32 vcc_lo, 32, v15
	ds_bpermute_b32 v8, v7, v17
	ds_bpermute_b32 v9, v7, v13
	;; [unrolled: 1-line block ×4, first 2 shown]
	v_lshlrev_b32_e32 v11, 2, v11
	v_cndmask_b32_e32 v15, v6, v15, vcc_lo
	v_lshlrev_b32_e32 v15, 2, v15
	s_waitcnt lgkmcnt(3)
	v_add_f32_e32 v8, v17, v8
	s_waitcnt lgkmcnt(2)
	v_add_f32_e32 v9, v13, v9
	;; [unrolled: 2-line block ×4, first 2 shown]
	ds_bpermute_b32 v12, v11, v8
	ds_bpermute_b32 v13, v11, v9
	;; [unrolled: 1-line block ×4, first 2 shown]
	s_waitcnt lgkmcnt(3)
	v_add_f32_e32 v8, v8, v12
	s_waitcnt lgkmcnt(2)
	v_add_f32_e32 v9, v9, v13
	;; [unrolled: 2-line block ×4, first 2 shown]
	ds_bpermute_b32 v11, v15, v8
	ds_bpermute_b32 v12, v15, v9
	;; [unrolled: 1-line block ×4, first 2 shown]
	v_xor_b32_e32 v15, 2, v6
	v_cmp_gt_i32_e32 vcc_lo, 32, v15
	v_cndmask_b32_e32 v15, v6, v15, vcc_lo
	v_lshlrev_b32_e32 v15, 2, v15
	s_waitcnt lgkmcnt(3)
	v_add_f32_e32 v8, v8, v11
	s_waitcnt lgkmcnt(2)
	v_add_f32_e32 v9, v9, v12
	;; [unrolled: 2-line block ×4, first 2 shown]
	ds_bpermute_b32 v11, v15, v8
	ds_bpermute_b32 v12, v15, v9
	;; [unrolled: 1-line block ×4, first 2 shown]
	v_xor_b32_e32 v15, 1, v6
	v_cmp_gt_i32_e32 vcc_lo, 32, v15
	v_cndmask_b32_e32 v6, v6, v15, vcc_lo
	v_cmp_eq_u32_e32 vcc_lo, 31, v0
	v_lshlrev_b32_e32 v15, 2, v6
	s_waitcnt lgkmcnt(3)
	v_add_f32_e32 v8, v8, v11
	s_waitcnt lgkmcnt(2)
	v_add_f32_e32 v9, v9, v12
	;; [unrolled: 2-line block ×4, first 2 shown]
	ds_bpermute_b32 v12, v15, v8
	ds_bpermute_b32 v13, v15, v9
	;; [unrolled: 1-line block ×4, first 2 shown]
	s_and_b32 exec_lo, exec_lo, vcc_lo
	s_cbranch_execz .LBB195_21
; %bb.17:
	s_load_dwordx2 s[2:3], s[4:5], 0x38
	v_cmp_eq_f32_e32 vcc_lo, 0, v3
	v_cmp_eq_f32_e64 s0, 0, v4
	s_waitcnt lgkmcnt(0)
	v_add_f32_e32 v0, v8, v12
	v_add_f32_e32 v8, v9, v13
	v_add_f32_e32 v6, v6, v10
	v_add_f32_e32 v7, v7, v11
	s_and_b32 s0, vcc_lo, s0
	s_and_saveexec_b32 s1, s0
	s_xor_b32 s0, exec_lo, s1
	s_cbranch_execz .LBB195_19
; %bb.18:
	v_lshlrev_b32_e32 v3, 1, v5
	v_mul_f32_e64 v9, v8, -v2
	v_mul_f32_e32 v10, v1, v8
	v_mul_f32_e64 v11, v7, -v2
	v_mul_f32_e32 v12, v1, v7
	v_ashrrev_i32_e32 v4, 31, v3
	v_fmac_f32_e32 v9, v1, v0
	v_fmac_f32_e32 v10, v2, v0
	;; [unrolled: 1-line block ×4, first 2 shown]
	v_lshlrev_b64 v[3:4], 3, v[3:4]
                                        ; implicit-def: $vgpr5
                                        ; implicit-def: $vgpr8
                                        ; implicit-def: $vgpr7
                                        ; implicit-def: $vgpr6
	v_add_co_u32 v0, vcc_lo, s2, v3
	v_add_co_ci_u32_e64 v1, null, s3, v4, vcc_lo
                                        ; implicit-def: $vgpr3_vgpr4
	global_store_dwordx4 v[0:1], v[9:12], off
                                        ; implicit-def: $vgpr1_vgpr2
                                        ; implicit-def: $vgpr0
.LBB195_19:
	s_andn2_saveexec_b32 s0, s0
	s_cbranch_execz .LBB195_21
; %bb.20:
	v_lshlrev_b32_e32 v9, 1, v5
	v_mul_f32_e64 v5, v8, -v2
	v_mul_f32_e32 v14, v1, v8
	v_mul_f32_e64 v8, v7, -v2
	v_mul_f32_e32 v16, v1, v7
	v_ashrrev_i32_e32 v10, 31, v9
	v_fmac_f32_e32 v5, v1, v0
	v_fmac_f32_e32 v14, v2, v0
	;; [unrolled: 1-line block ×4, first 2 shown]
	v_lshlrev_b64 v[9:10], 3, v[9:10]
	v_add_co_u32 v17, vcc_lo, s2, v9
	v_add_co_ci_u32_e64 v18, null, s3, v10, vcc_lo
	global_load_dwordx4 v[9:12], v[17:18], off
	s_waitcnt vmcnt(0)
	v_fmac_f32_e32 v5, v3, v9
	v_fmac_f32_e32 v14, v4, v9
	;; [unrolled: 1-line block ×4, first 2 shown]
	v_fma_f32 v13, -v4, v10, v5
	v_fmac_f32_e32 v14, v3, v10
	v_fma_f32 v15, -v4, v12, v8
	v_fmac_f32_e32 v16, v3, v12
	global_store_dwordx4 v[17:18], v[13:16], off
.LBB195_21:
	s_endpgm
	.section	.rodata,"a",@progbits
	.p2align	6, 0x0
	.amdhsa_kernel _ZN9rocsparseL19gebsrmvn_2xn_kernelILj128ELj10ELj32E21rocsparse_complex_numIfEEEvi20rocsparse_direction_NS_24const_host_device_scalarIT2_EEPKiS8_PKS5_SA_S6_PS5_21rocsparse_index_base_b
		.amdhsa_group_segment_fixed_size 0
		.amdhsa_private_segment_fixed_size 0
		.amdhsa_kernarg_size 72
		.amdhsa_user_sgpr_count 6
		.amdhsa_user_sgpr_private_segment_buffer 1
		.amdhsa_user_sgpr_dispatch_ptr 0
		.amdhsa_user_sgpr_queue_ptr 0
		.amdhsa_user_sgpr_kernarg_segment_ptr 1
		.amdhsa_user_sgpr_dispatch_id 0
		.amdhsa_user_sgpr_flat_scratch_init 0
		.amdhsa_user_sgpr_private_segment_size 0
		.amdhsa_wavefront_size32 1
		.amdhsa_uses_dynamic_stack 0
		.amdhsa_system_sgpr_private_segment_wavefront_offset 0
		.amdhsa_system_sgpr_workgroup_id_x 1
		.amdhsa_system_sgpr_workgroup_id_y 0
		.amdhsa_system_sgpr_workgroup_id_z 0
		.amdhsa_system_sgpr_workgroup_info 0
		.amdhsa_system_vgpr_workitem_id 0
		.amdhsa_next_free_vgpr 78
		.amdhsa_next_free_sgpr 16
		.amdhsa_reserve_vcc 1
		.amdhsa_reserve_flat_scratch 0
		.amdhsa_float_round_mode_32 0
		.amdhsa_float_round_mode_16_64 0
		.amdhsa_float_denorm_mode_32 3
		.amdhsa_float_denorm_mode_16_64 3
		.amdhsa_dx10_clamp 1
		.amdhsa_ieee_mode 1
		.amdhsa_fp16_overflow 0
		.amdhsa_workgroup_processor_mode 1
		.amdhsa_memory_ordered 1
		.amdhsa_forward_progress 1
		.amdhsa_shared_vgpr_count 0
		.amdhsa_exception_fp_ieee_invalid_op 0
		.amdhsa_exception_fp_denorm_src 0
		.amdhsa_exception_fp_ieee_div_zero 0
		.amdhsa_exception_fp_ieee_overflow 0
		.amdhsa_exception_fp_ieee_underflow 0
		.amdhsa_exception_fp_ieee_inexact 0
		.amdhsa_exception_int_div_zero 0
	.end_amdhsa_kernel
	.section	.text._ZN9rocsparseL19gebsrmvn_2xn_kernelILj128ELj10ELj32E21rocsparse_complex_numIfEEEvi20rocsparse_direction_NS_24const_host_device_scalarIT2_EEPKiS8_PKS5_SA_S6_PS5_21rocsparse_index_base_b,"axG",@progbits,_ZN9rocsparseL19gebsrmvn_2xn_kernelILj128ELj10ELj32E21rocsparse_complex_numIfEEEvi20rocsparse_direction_NS_24const_host_device_scalarIT2_EEPKiS8_PKS5_SA_S6_PS5_21rocsparse_index_base_b,comdat
.Lfunc_end195:
	.size	_ZN9rocsparseL19gebsrmvn_2xn_kernelILj128ELj10ELj32E21rocsparse_complex_numIfEEEvi20rocsparse_direction_NS_24const_host_device_scalarIT2_EEPKiS8_PKS5_SA_S6_PS5_21rocsparse_index_base_b, .Lfunc_end195-_ZN9rocsparseL19gebsrmvn_2xn_kernelILj128ELj10ELj32E21rocsparse_complex_numIfEEEvi20rocsparse_direction_NS_24const_host_device_scalarIT2_EEPKiS8_PKS5_SA_S6_PS5_21rocsparse_index_base_b
                                        ; -- End function
	.set _ZN9rocsparseL19gebsrmvn_2xn_kernelILj128ELj10ELj32E21rocsparse_complex_numIfEEEvi20rocsparse_direction_NS_24const_host_device_scalarIT2_EEPKiS8_PKS5_SA_S6_PS5_21rocsparse_index_base_b.num_vgpr, 78
	.set _ZN9rocsparseL19gebsrmvn_2xn_kernelILj128ELj10ELj32E21rocsparse_complex_numIfEEEvi20rocsparse_direction_NS_24const_host_device_scalarIT2_EEPKiS8_PKS5_SA_S6_PS5_21rocsparse_index_base_b.num_agpr, 0
	.set _ZN9rocsparseL19gebsrmvn_2xn_kernelILj128ELj10ELj32E21rocsparse_complex_numIfEEEvi20rocsparse_direction_NS_24const_host_device_scalarIT2_EEPKiS8_PKS5_SA_S6_PS5_21rocsparse_index_base_b.numbered_sgpr, 16
	.set _ZN9rocsparseL19gebsrmvn_2xn_kernelILj128ELj10ELj32E21rocsparse_complex_numIfEEEvi20rocsparse_direction_NS_24const_host_device_scalarIT2_EEPKiS8_PKS5_SA_S6_PS5_21rocsparse_index_base_b.num_named_barrier, 0
	.set _ZN9rocsparseL19gebsrmvn_2xn_kernelILj128ELj10ELj32E21rocsparse_complex_numIfEEEvi20rocsparse_direction_NS_24const_host_device_scalarIT2_EEPKiS8_PKS5_SA_S6_PS5_21rocsparse_index_base_b.private_seg_size, 0
	.set _ZN9rocsparseL19gebsrmvn_2xn_kernelILj128ELj10ELj32E21rocsparse_complex_numIfEEEvi20rocsparse_direction_NS_24const_host_device_scalarIT2_EEPKiS8_PKS5_SA_S6_PS5_21rocsparse_index_base_b.uses_vcc, 1
	.set _ZN9rocsparseL19gebsrmvn_2xn_kernelILj128ELj10ELj32E21rocsparse_complex_numIfEEEvi20rocsparse_direction_NS_24const_host_device_scalarIT2_EEPKiS8_PKS5_SA_S6_PS5_21rocsparse_index_base_b.uses_flat_scratch, 0
	.set _ZN9rocsparseL19gebsrmvn_2xn_kernelILj128ELj10ELj32E21rocsparse_complex_numIfEEEvi20rocsparse_direction_NS_24const_host_device_scalarIT2_EEPKiS8_PKS5_SA_S6_PS5_21rocsparse_index_base_b.has_dyn_sized_stack, 0
	.set _ZN9rocsparseL19gebsrmvn_2xn_kernelILj128ELj10ELj32E21rocsparse_complex_numIfEEEvi20rocsparse_direction_NS_24const_host_device_scalarIT2_EEPKiS8_PKS5_SA_S6_PS5_21rocsparse_index_base_b.has_recursion, 0
	.set _ZN9rocsparseL19gebsrmvn_2xn_kernelILj128ELj10ELj32E21rocsparse_complex_numIfEEEvi20rocsparse_direction_NS_24const_host_device_scalarIT2_EEPKiS8_PKS5_SA_S6_PS5_21rocsparse_index_base_b.has_indirect_call, 0
	.section	.AMDGPU.csdata,"",@progbits
; Kernel info:
; codeLenInByte = 3484
; TotalNumSgprs: 18
; NumVgprs: 78
; ScratchSize: 0
; MemoryBound: 0
; FloatMode: 240
; IeeeMode: 1
; LDSByteSize: 0 bytes/workgroup (compile time only)
; SGPRBlocks: 0
; VGPRBlocks: 9
; NumSGPRsForWavesPerEU: 18
; NumVGPRsForWavesPerEU: 78
; Occupancy: 12
; WaveLimiterHint : 1
; COMPUTE_PGM_RSRC2:SCRATCH_EN: 0
; COMPUTE_PGM_RSRC2:USER_SGPR: 6
; COMPUTE_PGM_RSRC2:TRAP_HANDLER: 0
; COMPUTE_PGM_RSRC2:TGID_X_EN: 1
; COMPUTE_PGM_RSRC2:TGID_Y_EN: 0
; COMPUTE_PGM_RSRC2:TGID_Z_EN: 0
; COMPUTE_PGM_RSRC2:TIDIG_COMP_CNT: 0
	.section	.text._ZN9rocsparseL19gebsrmvn_2xn_kernelILj128ELj10ELj64E21rocsparse_complex_numIfEEEvi20rocsparse_direction_NS_24const_host_device_scalarIT2_EEPKiS8_PKS5_SA_S6_PS5_21rocsparse_index_base_b,"axG",@progbits,_ZN9rocsparseL19gebsrmvn_2xn_kernelILj128ELj10ELj64E21rocsparse_complex_numIfEEEvi20rocsparse_direction_NS_24const_host_device_scalarIT2_EEPKiS8_PKS5_SA_S6_PS5_21rocsparse_index_base_b,comdat
	.globl	_ZN9rocsparseL19gebsrmvn_2xn_kernelILj128ELj10ELj64E21rocsparse_complex_numIfEEEvi20rocsparse_direction_NS_24const_host_device_scalarIT2_EEPKiS8_PKS5_SA_S6_PS5_21rocsparse_index_base_b ; -- Begin function _ZN9rocsparseL19gebsrmvn_2xn_kernelILj128ELj10ELj64E21rocsparse_complex_numIfEEEvi20rocsparse_direction_NS_24const_host_device_scalarIT2_EEPKiS8_PKS5_SA_S6_PS5_21rocsparse_index_base_b
	.p2align	8
	.type	_ZN9rocsparseL19gebsrmvn_2xn_kernelILj128ELj10ELj64E21rocsparse_complex_numIfEEEvi20rocsparse_direction_NS_24const_host_device_scalarIT2_EEPKiS8_PKS5_SA_S6_PS5_21rocsparse_index_base_b,@function
_ZN9rocsparseL19gebsrmvn_2xn_kernelILj128ELj10ELj64E21rocsparse_complex_numIfEEEvi20rocsparse_direction_NS_24const_host_device_scalarIT2_EEPKiS8_PKS5_SA_S6_PS5_21rocsparse_index_base_b: ; @_ZN9rocsparseL19gebsrmvn_2xn_kernelILj128ELj10ELj64E21rocsparse_complex_numIfEEEvi20rocsparse_direction_NS_24const_host_device_scalarIT2_EEPKiS8_PKS5_SA_S6_PS5_21rocsparse_index_base_b
; %bb.0:
	s_clause 0x2
	s_load_dwordx2 s[2:3], s[4:5], 0x40
	s_load_dwordx2 s[0:1], s[4:5], 0x8
	;; [unrolled: 1-line block ×3, first 2 shown]
	s_add_u32 s7, s4, 8
	s_addc_u32 s10, s5, 0
	s_add_u32 s11, s4, 48
	s_addc_u32 s12, s5, 0
	s_waitcnt lgkmcnt(0)
	s_bitcmp1_b32 s3, 0
	s_cselect_b32 s0, s7, s0
	s_cselect_b32 s1, s10, s1
	v_mov_b32_e32 v1, s0
	v_mov_b32_e32 v2, s1
	s_cselect_b32 s0, s11, s8
	s_cselect_b32 s1, s12, s9
	v_mov_b32_e32 v3, s0
	v_mov_b32_e32 v4, s1
	flat_load_dwordx2 v[1:2], v[1:2]
	flat_load_dwordx2 v[3:4], v[3:4]
	s_waitcnt vmcnt(1) lgkmcnt(1)
	v_cmp_eq_f32_e32 vcc_lo, 0, v1
	v_cmp_eq_f32_e64 s0, 0, v2
	s_and_b32 s3, vcc_lo, s0
	s_mov_b32 s0, -1
	s_and_saveexec_b32 s1, s3
	s_cbranch_execz .LBB196_2
; %bb.1:
	s_waitcnt vmcnt(0) lgkmcnt(0)
	v_cmp_neq_f32_e32 vcc_lo, 1.0, v3
	v_cmp_neq_f32_e64 s0, 0, v4
	s_or_b32 s0, vcc_lo, s0
	s_orn2_b32 s0, s0, exec_lo
.LBB196_2:
	s_or_b32 exec_lo, exec_lo, s1
	s_and_saveexec_b32 s1, s0
	s_cbranch_execz .LBB196_21
; %bb.3:
	s_load_dwordx2 s[0:1], s[4:5], 0x0
	v_lshrrev_b32_e32 v5, 6, v0
	v_lshl_or_b32 v5, s6, 1, v5
	s_waitcnt lgkmcnt(0)
	v_cmp_gt_i32_e32 vcc_lo, s0, v5
	s_and_b32 exec_lo, exec_lo, vcc_lo
	s_cbranch_execz .LBB196_21
; %bb.4:
	s_load_dwordx8 s[8:15], s[4:5], 0x10
	v_ashrrev_i32_e32 v6, 31, v5
	v_and_b32_e32 v0, 63, v0
	s_cmp_lg_u32 s1, 0
	v_lshlrev_b64 v[6:7], 2, v[5:6]
	s_waitcnt lgkmcnt(0)
	v_add_co_u32 v6, vcc_lo, s8, v6
	v_add_co_ci_u32_e64 v7, null, s9, v7, vcc_lo
	global_load_dwordx2 v[6:7], v[6:7], off
	s_waitcnt vmcnt(0)
	v_subrev_nc_u32_e32 v6, s2, v6
	v_subrev_nc_u32_e32 v15, s2, v7
	v_add_nc_u32_e32 v6, v6, v0
	v_cmp_lt_i32_e64 s0, v6, v15
	s_cbranch_scc0 .LBB196_10
; %bb.5:
	v_mov_b32_e32 v13, 0
	v_mov_b32_e32 v17, 0
	;; [unrolled: 1-line block ×4, first 2 shown]
	s_and_saveexec_b32 s3, s0
	s_cbranch_execz .LBB196_9
; %bb.6:
	v_mad_u64_u32 v[7:8], null, v6, 20, 18
	v_mov_b32_e32 v10, 0
	v_mov_b32_e32 v11, v6
	;; [unrolled: 1-line block ×6, first 2 shown]
	s_mov_b32 s6, 0
.LBB196_7:                              ; =>This Inner Loop Header: Depth=1
	v_ashrrev_i32_e32 v12, 31, v11
	v_mov_b32_e32 v59, v10
	v_lshlrev_b64 v[8:9], 2, v[11:12]
	v_add_nc_u32_e32 v11, 64, v11
	v_add_co_u32 v8, vcc_lo, s10, v8
	v_add_co_ci_u32_e64 v9, null, s11, v9, vcc_lo
	global_load_dword v12, v[8:9], off
	v_subrev_nc_u32_e32 v9, 18, v7
	v_mov_b32_e32 v8, v10
	v_lshlrev_b64 v[18:19], 3, v[9:10]
	v_add_nc_u32_e32 v9, -14, v7
	v_lshlrev_b64 v[73:74], 3, v[7:8]
	v_lshlrev_b64 v[8:9], 3, v[9:10]
	v_add_co_u32 v22, s1, s12, v18
	v_add_co_ci_u32_e64 v23, null, s13, v19, s1
	v_add_co_u32 v75, vcc_lo, s12, v73
	v_add_co_u32 v8, s1, s12, v8
	v_add_co_ci_u32_e64 v9, null, s13, v9, s1
	s_clause 0x2
	global_load_dwordx4 v[18:21], v[22:23], off offset:16
	global_load_dwordx4 v[22:25], v[22:23], off
	global_load_dwordx4 v[26:29], v[8:9], off
	v_add_co_ci_u32_e64 v76, null, s13, v74, vcc_lo
	v_cmp_ge_i32_e32 vcc_lo, v11, v15
	s_or_b32 s6, vcc_lo, s6
	s_waitcnt vmcnt(3)
	v_subrev_nc_u32_e32 v8, s2, v12
	v_mul_lo_u32 v58, v8, 10
	v_lshlrev_b64 v[30:31], 3, v[58:59]
	v_add_nc_u32_e32 v9, 2, v58
	v_lshlrev_b64 v[34:35], 3, v[9:10]
	v_add_co_u32 v30, s1, s14, v30
	v_add_co_ci_u32_e64 v31, null, s15, v31, s1
	v_add_nc_u32_e32 v9, -12, v7
	v_add_co_u32 v34, s1, s14, v34
	global_load_dwordx4 v[30:33], v[30:31], off
	v_add_co_ci_u32_e64 v35, null, s15, v35, s1
	v_lshlrev_b64 v[38:39], 3, v[9:10]
	v_add_nc_u32_e32 v9, -10, v7
	global_load_dwordx4 v[34:37], v[34:35], off
	v_lshlrev_b64 v[40:41], 3, v[9:10]
	v_add_nc_u32_e32 v9, 4, v58
	v_add_co_u32 v38, s1, s12, v38
	v_add_co_ci_u32_e64 v39, null, s13, v39, s1
	v_lshlrev_b64 v[46:47], 3, v[9:10]
	v_add_nc_u32_e32 v9, -8, v7
	v_add_co_u32 v42, s1, s12, v40
	v_add_co_ci_u32_e64 v43, null, s13, v41, s1
	global_load_dwordx4 v[38:41], v[38:39], off
	v_lshlrev_b64 v[48:49], 3, v[9:10]
	v_add_co_u32 v46, s1, s14, v46
	v_add_co_ci_u32_e64 v47, null, s15, v47, s1
	v_add_nc_u32_e32 v9, -6, v7
	v_add_co_u32 v50, s1, s12, v48
	global_load_dwordx4 v[42:45], v[42:43], off
	v_add_co_ci_u32_e64 v51, null, s13, v49, s1
	global_load_dwordx4 v[46:49], v[46:47], off
	v_lshlrev_b64 v[54:55], 3, v[9:10]
	v_add_nc_u32_e32 v9, 6, v58
	global_load_dwordx4 v[50:53], v[50:51], off
	v_lshlrev_b64 v[56:57], 3, v[9:10]
	v_add_nc_u32_e32 v9, -4, v7
	v_add_co_u32 v54, s1, s12, v54
	v_add_co_ci_u32_e64 v55, null, s13, v55, s1
	v_add_co_u32 v59, s1, s14, v56
	v_lshlrev_b64 v[62:63], 3, v[9:10]
	v_add_nc_u32_e32 v9, -2, v7
	v_add_co_ci_u32_e64 v60, null, s15, v57, s1
	global_load_dwordx4 v[54:57], v[54:55], off
	v_add_nc_u32_e32 v7, 0x500, v7
	v_lshlrev_b64 v[66:67], 3, v[9:10]
	v_add_nc_u32_e32 v9, 8, v58
	global_load_dwordx4 v[58:61], v[59:60], off
	v_add_co_u32 v62, s1, s12, v62
	v_add_co_ci_u32_e64 v63, null, s13, v63, s1
	v_lshlrev_b64 v[8:9], 3, v[9:10]
	v_add_co_u32 v66, s1, s12, v66
	global_load_dwordx4 v[62:65], v[62:63], off
	v_add_co_ci_u32_e64 v67, null, s13, v67, s1
	v_add_co_u32 v8, s1, s14, v8
	v_add_co_ci_u32_e64 v9, null, s15, v9, s1
	global_load_dwordx4 v[66:69], v[66:67], off
	global_load_dwordx4 v[70:73], v[8:9], off
	;; [unrolled: 1-line block ×3, first 2 shown]
	s_waitcnt vmcnt(11)
	v_fmac_f32_e32 v17, v22, v30
	v_fmac_f32_e32 v13, v23, v30
	;; [unrolled: 1-line block ×4, first 2 shown]
	v_fma_f32 v8, -v23, v31, v17
	v_fmac_f32_e32 v13, v22, v31
	v_fma_f32 v9, -v25, v31, v16
	v_fmac_f32_e32 v14, v24, v31
	v_fmac_f32_e32 v8, v18, v32
	;; [unrolled: 1-line block ×5, first 2 shown]
	v_fma_f32 v8, -v19, v33, v8
	v_fmac_f32_e32 v13, v18, v33
	v_fma_f32 v9, -v21, v33, v9
	v_fmac_f32_e32 v14, v20, v33
	s_waitcnt vmcnt(10)
	v_fmac_f32_e32 v8, v26, v34
	v_fmac_f32_e32 v13, v27, v34
	v_fmac_f32_e32 v9, v28, v34
	v_fmac_f32_e32 v14, v29, v34
	v_fma_f32 v8, -v27, v35, v8
	v_fmac_f32_e32 v13, v26, v35
	v_fma_f32 v9, -v29, v35, v9
	v_fmac_f32_e32 v14, v28, v35
	s_waitcnt vmcnt(9)
	v_fmac_f32_e32 v8, v38, v36
	v_fmac_f32_e32 v13, v39, v36
	v_fmac_f32_e32 v9, v40, v36
	v_fmac_f32_e32 v14, v41, v36
	;; [unrolled: 9-line block ×8, first 2 shown]
	v_fma_f32 v17, -v75, v73, v8
	v_fmac_f32_e32 v13, v74, v73
	v_fma_f32 v16, -v77, v73, v9
	v_fmac_f32_e32 v14, v76, v73
	s_andn2_b32 exec_lo, exec_lo, s6
	s_cbranch_execnz .LBB196_7
; %bb.8:
	s_or_b32 exec_lo, exec_lo, s6
.LBB196_9:
	s_or_b32 exec_lo, exec_lo, s3
	s_cbranch_execz .LBB196_11
	s_branch .LBB196_16
.LBB196_10:
                                        ; implicit-def: $vgpr13
                                        ; implicit-def: $vgpr17
                                        ; implicit-def: $vgpr16
                                        ; implicit-def: $vgpr14
.LBB196_11:
	v_mov_b32_e32 v13, 0
	v_mov_b32_e32 v17, 0
	v_mov_b32_e32 v16, 0
	v_mov_b32_e32 v14, 0
	s_and_saveexec_b32 s1, s0
	s_cbranch_execz .LBB196_15
; %bb.12:
	v_mad_u64_u32 v[8:9], null, v6, 20, 19
	v_mov_b32_e32 v11, 0
	v_mov_b32_e32 v13, 0
	;; [unrolled: 1-line block ×5, first 2 shown]
	s_mov_b32 s0, 0
.LBB196_13:                             ; =>This Inner Loop Header: Depth=1
	v_ashrrev_i32_e32 v7, 31, v6
	v_subrev_nc_u32_e32 v10, 19, v8
	v_add_nc_u32_e32 v18, -9, v8
	v_mov_b32_e32 v19, v11
	v_mov_b32_e32 v9, v11
	v_lshlrev_b64 v[22:23], 2, v[6:7]
	v_lshlrev_b64 v[20:21], 3, v[10:11]
	v_add_nc_u32_e32 v10, -8, v8
	v_lshlrev_b64 v[18:19], 3, v[18:19]
	v_lshlrev_b64 v[24:25], 3, v[8:9]
	v_mov_b32_e32 v39, v11
	v_add_co_u32 v22, vcc_lo, s10, v22
	v_add_co_ci_u32_e64 v23, null, s11, v23, vcc_lo
	v_lshlrev_b64 v[9:10], 3, v[10:11]
	v_add_co_u32 v26, vcc_lo, s12, v20
	global_load_dword v7, v[22:23], off
	v_add_co_ci_u32_e64 v27, null, s13, v21, vcc_lo
	v_add_co_u32 v28, vcc_lo, s12, v18
	v_add_co_ci_u32_e64 v29, null, s13, v19, vcc_lo
	v_add_co_u32 v40, vcc_lo, s12, v24
	;; [unrolled: 2-line block ×3, first 2 shown]
	v_add_co_ci_u32_e64 v10, null, s13, v10, vcc_lo
	s_clause 0x3
	global_load_dwordx4 v[18:21], v[26:27], off offset:16
	global_load_dwordx4 v[22:25], v[26:27], off
	global_load_dwordx2 v[42:43], v[28:29], off
	global_load_dwordx2 v[44:45], v[9:10], off
	v_add_nc_u32_e32 v6, 64, v6
	s_waitcnt vmcnt(4)
	v_subrev_nc_u32_e32 v7, s2, v7
	v_mul_lo_u32 v38, v7, 10
	v_lshlrev_b64 v[26:27], 3, v[38:39]
	v_add_nc_u32_e32 v10, 2, v38
	v_lshlrev_b64 v[30:31], 3, v[10:11]
	v_add_co_u32 v26, vcc_lo, s14, v26
	v_add_co_ci_u32_e64 v27, null, s15, v27, vcc_lo
	v_add_nc_u32_e32 v10, -7, v8
	v_add_co_u32 v30, vcc_lo, s14, v30
	global_load_dwordx4 v[26:29], v[26:27], off
	v_add_co_ci_u32_e64 v31, null, s15, v31, vcc_lo
	v_lshlrev_b64 v[34:35], 3, v[10:11]
	v_add_nc_u32_e32 v10, -6, v8
	global_load_dwordx4 v[30:33], v[30:31], off
	v_lshlrev_b64 v[36:37], 3, v[10:11]
	v_add_nc_u32_e32 v10, -15, v8
	v_add_co_u32 v34, vcc_lo, s12, v34
	v_add_co_ci_u32_e64 v35, null, s13, v35, vcc_lo
	v_add_co_u32 v36, vcc_lo, s12, v36
	v_lshlrev_b64 v[46:47], 3, v[10:11]
	v_add_nc_u32_e32 v10, 4, v38
	v_add_co_ci_u32_e64 v37, null, s13, v37, vcc_lo
	s_clause 0x1
	global_load_dwordx2 v[48:49], v[34:35], off
	global_load_dwordx2 v[50:51], v[36:37], off
	v_lshlrev_b64 v[34:35], 3, v[10:11]
	v_add_nc_u32_e32 v10, -5, v8
	v_add_co_u32 v36, vcc_lo, s12, v46
	v_add_co_ci_u32_e64 v37, null, s13, v47, vcc_lo
	v_lshlrev_b64 v[46:47], 3, v[10:11]
	v_add_nc_u32_e32 v10, -14, v8
	v_add_co_u32 v34, vcc_lo, s14, v34
	v_add_co_ci_u32_e64 v35, null, s15, v35, vcc_lo
	;; [unrolled: 4-line block ×4, first 2 shown]
	v_lshlrev_b64 v[58:59], 3, v[10:11]
	v_add_nc_u32_e32 v10, 6, v38
	v_add_co_u32 v56, vcc_lo, s12, v56
	v_add_co_ci_u32_e64 v57, null, s13, v57, vcc_lo
	v_lshlrev_b64 v[60:61], 3, v[10:11]
	v_add_nc_u32_e32 v10, -3, v8
	s_clause 0x3
	global_load_dwordx2 v[52:53], v[36:37], off
	global_load_dwordx2 v[46:47], v[46:47], off
	;; [unrolled: 1-line block ×4, first 2 shown]
	v_lshlrev_b64 v[62:63], 3, v[10:11]
	v_add_nc_u32_e32 v10, -12, v8
	global_load_dwordx4 v[34:37], v[34:35], off
	v_add_co_u32 v58, vcc_lo, s12, v58
	v_add_co_ci_u32_e64 v59, null, s13, v59, vcc_lo
	v_lshlrev_b64 v[64:65], 3, v[10:11]
	v_add_nc_u32_e32 v10, -2, v8
	v_add_co_u32 v60, vcc_lo, s14, v60
	v_add_co_ci_u32_e64 v61, null, s15, v61, vcc_lo
	v_add_co_u32 v62, vcc_lo, s12, v62
	v_add_co_ci_u32_e64 v63, null, s13, v63, vcc_lo
	;; [unrolled: 2-line block ×3, first 2 shown]
	global_load_dwordx2 v[58:59], v[58:59], off
	s_waitcnt vmcnt(9)
	v_fmac_f32_e32 v17, v22, v26
	v_fmac_f32_e32 v13, v23, v26
	v_fmac_f32_e32 v16, v42, v26
	v_fmac_f32_e32 v14, v43, v26
	v_fma_f32 v7, -v23, v27, v17
	v_fmac_f32_e32 v13, v22, v27
	v_lshlrev_b64 v[22:23], 3, v[10:11]
	v_add_nc_u32_e32 v10, -11, v8
	v_fma_f32 v9, -v43, v27, v16
	v_fmac_f32_e32 v7, v24, v28
	v_fmac_f32_e32 v13, v25, v28
	;; [unrolled: 1-line block ×4, first 2 shown]
	v_fma_f32 v7, -v25, v29, v7
	v_fmac_f32_e32 v13, v24, v29
	v_lshlrev_b64 v[24:25], 3, v[10:11]
	v_add_nc_u32_e32 v10, 8, v38
	v_add_co_u32 v38, vcc_lo, s12, v22
	v_add_co_ci_u32_e64 v39, null, s13, v23, vcc_lo
	v_add_co_u32 v66, vcc_lo, s12, v24
	v_add_co_ci_u32_e64 v67, null, s13, v25, vcc_lo
	global_load_dwordx4 v[22:25], v[60:61], off
	s_clause 0x1
	global_load_dwordx2 v[60:61], v[62:63], off
	global_load_dwordx2 v[62:63], v[64:65], off
	v_lshlrev_b64 v[16:17], 3, v[10:11]
	v_add_nc_u32_e32 v10, -1, v8
	s_clause 0x1
	global_load_dwordx2 v[38:39], v[38:39], off
	global_load_dwordx2 v[42:43], v[66:67], off
	v_fmac_f32_e32 v14, v45, v28
	v_fma_f32 v12, -v45, v29, v9
	v_lshlrev_b64 v[26:27], 3, v[10:11]
	v_add_nc_u32_e32 v10, -10, v8
	v_add_co_u32 v16, vcc_lo, s14, v16
	v_fmac_f32_e32 v14, v44, v29
	v_add_co_ci_u32_e64 v17, null, s15, v17, vcc_lo
	v_lshlrev_b64 v[9:10], 3, v[10:11]
	v_add_co_u32 v44, vcc_lo, s12, v26
	v_add_co_ci_u32_e64 v45, null, s13, v27, vcc_lo
	s_waitcnt vmcnt(13)
	v_fmac_f32_e32 v7, v18, v30
	v_add_co_u32 v9, vcc_lo, s12, v9
	v_add_co_ci_u32_e64 v10, null, s13, v10, vcc_lo
	global_load_dwordx4 v[26:29], v[16:17], off
	s_clause 0x2
	global_load_dwordx2 v[16:17], v[44:45], off
	global_load_dwordx2 v[40:41], v[40:41], off
	;; [unrolled: 1-line block ×3, first 2 shown]
	v_fmac_f32_e32 v13, v19, v30
	s_waitcnt vmcnt(16)
	v_fmac_f32_e32 v12, v48, v30
	v_fmac_f32_e32 v14, v49, v30
	v_fma_f32 v7, -v19, v31, v7
	v_cmp_ge_i32_e32 vcc_lo, v6, v15
	v_fmac_f32_e32 v13, v18, v31
	v_fma_f32 v12, -v49, v31, v12
	v_fmac_f32_e32 v14, v48, v31
	v_fmac_f32_e32 v7, v20, v32
	v_add_nc_u32_e32 v8, 0x500, v8
	v_fmac_f32_e32 v13, v21, v32
	s_waitcnt vmcnt(15)
	v_fmac_f32_e32 v12, v50, v32
	v_fmac_f32_e32 v14, v51, v32
	v_fma_f32 v7, -v21, v33, v7
	s_or_b32 s0, vcc_lo, s0
	v_fmac_f32_e32 v13, v20, v33
	v_fma_f32 v12, -v51, v33, v12
	v_fmac_f32_e32 v14, v50, v33
	s_waitcnt vmcnt(10)
	v_fmac_f32_e32 v7, v52, v34
	v_fmac_f32_e32 v13, v53, v34
	;; [unrolled: 1-line block ×4, first 2 shown]
	v_fma_f32 v7, -v53, v35, v7
	v_fmac_f32_e32 v13, v52, v35
	v_fma_f32 v12, -v47, v35, v12
	v_fmac_f32_e32 v14, v46, v35
	v_fmac_f32_e32 v7, v54, v36
	;; [unrolled: 1-line block ×5, first 2 shown]
	v_fma_f32 v7, -v55, v37, v7
	v_fmac_f32_e32 v13, v54, v37
	v_fma_f32 v12, -v57, v37, v12
	v_fmac_f32_e32 v14, v56, v37
	s_waitcnt vmcnt(8)
	v_fmac_f32_e32 v7, v58, v22
	v_fmac_f32_e32 v13, v59, v22
	s_waitcnt vmcnt(7)
	v_fmac_f32_e32 v12, v60, v22
	v_fmac_f32_e32 v14, v61, v22
	v_fma_f32 v7, -v59, v23, v7
	v_fmac_f32_e32 v13, v58, v23
	v_fma_f32 v12, -v61, v23, v12
	v_fmac_f32_e32 v14, v60, v23
	s_waitcnt vmcnt(6)
	v_fmac_f32_e32 v7, v62, v24
	v_fmac_f32_e32 v13, v63, v24
	s_waitcnt vmcnt(5)
	v_fmac_f32_e32 v12, v38, v24
	v_fmac_f32_e32 v14, v39, v24
	;; [unrolled: 10-line block ×3, first 2 shown]
	v_fma_f32 v7, -v43, v27, v7
	v_fmac_f32_e32 v13, v42, v27
	v_fma_f32 v12, -v17, v27, v12
	v_fmac_f32_e32 v14, v16, v27
	s_waitcnt vmcnt(0)
	v_fmac_f32_e32 v7, v9, v28
	v_fmac_f32_e32 v13, v10, v28
	;; [unrolled: 1-line block ×4, first 2 shown]
	v_fma_f32 v17, -v10, v29, v7
	v_fmac_f32_e32 v13, v9, v29
	v_fma_f32 v16, -v41, v29, v12
	v_fmac_f32_e32 v14, v40, v29
	s_andn2_b32 exec_lo, exec_lo, s0
	s_cbranch_execnz .LBB196_13
; %bb.14:
	s_or_b32 exec_lo, exec_lo, s0
.LBB196_15:
	s_or_b32 exec_lo, exec_lo, s1
.LBB196_16:
	v_mbcnt_lo_u32_b32 v6, -1, 0
	v_or_b32_e32 v7, 32, v6
	v_xor_b32_e32 v11, 16, v6
	v_xor_b32_e32 v15, 8, v6
	v_cmp_gt_i32_e32 vcc_lo, 32, v7
	v_cndmask_b32_e32 v7, v6, v7, vcc_lo
	v_cmp_gt_i32_e32 vcc_lo, 32, v11
	v_lshlrev_b32_e32 v7, 2, v7
	v_cndmask_b32_e32 v11, v6, v11, vcc_lo
	v_cmp_gt_i32_e32 vcc_lo, 32, v15
	ds_bpermute_b32 v8, v7, v17
	ds_bpermute_b32 v9, v7, v13
	ds_bpermute_b32 v10, v7, v16
	ds_bpermute_b32 v7, v7, v14
	v_lshlrev_b32_e32 v11, 2, v11
	v_cndmask_b32_e32 v15, v6, v15, vcc_lo
	v_lshlrev_b32_e32 v15, 2, v15
	s_waitcnt lgkmcnt(3)
	v_add_f32_e32 v8, v17, v8
	s_waitcnt lgkmcnt(2)
	v_add_f32_e32 v9, v13, v9
	;; [unrolled: 2-line block ×4, first 2 shown]
	ds_bpermute_b32 v12, v11, v8
	ds_bpermute_b32 v13, v11, v9
	;; [unrolled: 1-line block ×4, first 2 shown]
	s_waitcnt lgkmcnt(3)
	v_add_f32_e32 v8, v8, v12
	s_waitcnt lgkmcnt(2)
	v_add_f32_e32 v9, v9, v13
	;; [unrolled: 2-line block ×4, first 2 shown]
	ds_bpermute_b32 v11, v15, v8
	ds_bpermute_b32 v12, v15, v9
	ds_bpermute_b32 v13, v15, v10
	ds_bpermute_b32 v14, v15, v7
	v_xor_b32_e32 v15, 4, v6
	v_cmp_gt_i32_e32 vcc_lo, 32, v15
	v_cndmask_b32_e32 v15, v6, v15, vcc_lo
	v_lshlrev_b32_e32 v15, 2, v15
	s_waitcnt lgkmcnt(3)
	v_add_f32_e32 v8, v8, v11
	s_waitcnt lgkmcnt(2)
	v_add_f32_e32 v9, v9, v12
	;; [unrolled: 2-line block ×4, first 2 shown]
	ds_bpermute_b32 v11, v15, v8
	ds_bpermute_b32 v12, v15, v9
	;; [unrolled: 1-line block ×4, first 2 shown]
	v_xor_b32_e32 v15, 2, v6
	v_cmp_gt_i32_e32 vcc_lo, 32, v15
	v_cndmask_b32_e32 v15, v6, v15, vcc_lo
	v_lshlrev_b32_e32 v15, 2, v15
	s_waitcnt lgkmcnt(3)
	v_add_f32_e32 v8, v8, v11
	s_waitcnt lgkmcnt(2)
	v_add_f32_e32 v9, v9, v12
	s_waitcnt lgkmcnt(1)
	v_add_f32_e32 v10, v10, v13
	s_waitcnt lgkmcnt(0)
	v_add_f32_e32 v7, v7, v14
	ds_bpermute_b32 v11, v15, v8
	ds_bpermute_b32 v12, v15, v9
	;; [unrolled: 1-line block ×4, first 2 shown]
	v_xor_b32_e32 v15, 1, v6
	v_cmp_gt_i32_e32 vcc_lo, 32, v15
	v_cndmask_b32_e32 v6, v6, v15, vcc_lo
	v_cmp_eq_u32_e32 vcc_lo, 63, v0
	v_lshlrev_b32_e32 v15, 2, v6
	s_waitcnt lgkmcnt(3)
	v_add_f32_e32 v8, v8, v11
	s_waitcnt lgkmcnt(2)
	v_add_f32_e32 v9, v9, v12
	;; [unrolled: 2-line block ×4, first 2 shown]
	ds_bpermute_b32 v12, v15, v8
	ds_bpermute_b32 v13, v15, v9
	;; [unrolled: 1-line block ×4, first 2 shown]
	s_and_b32 exec_lo, exec_lo, vcc_lo
	s_cbranch_execz .LBB196_21
; %bb.17:
	s_load_dwordx2 s[2:3], s[4:5], 0x38
	v_cmp_eq_f32_e32 vcc_lo, 0, v3
	v_cmp_eq_f32_e64 s0, 0, v4
	s_waitcnt lgkmcnt(0)
	v_add_f32_e32 v0, v8, v12
	v_add_f32_e32 v8, v9, v13
	;; [unrolled: 1-line block ×4, first 2 shown]
	s_and_b32 s0, vcc_lo, s0
	s_and_saveexec_b32 s1, s0
	s_xor_b32 s0, exec_lo, s1
	s_cbranch_execz .LBB196_19
; %bb.18:
	v_lshlrev_b32_e32 v3, 1, v5
	v_mul_f32_e64 v9, v8, -v2
	v_mul_f32_e32 v10, v1, v8
	v_mul_f32_e64 v11, v7, -v2
	v_mul_f32_e32 v12, v1, v7
	v_ashrrev_i32_e32 v4, 31, v3
	v_fmac_f32_e32 v9, v1, v0
	v_fmac_f32_e32 v10, v2, v0
	;; [unrolled: 1-line block ×4, first 2 shown]
	v_lshlrev_b64 v[3:4], 3, v[3:4]
                                        ; implicit-def: $vgpr5
                                        ; implicit-def: $vgpr8
                                        ; implicit-def: $vgpr7
                                        ; implicit-def: $vgpr6
	v_add_co_u32 v0, vcc_lo, s2, v3
	v_add_co_ci_u32_e64 v1, null, s3, v4, vcc_lo
                                        ; implicit-def: $vgpr3_vgpr4
	global_store_dwordx4 v[0:1], v[9:12], off
                                        ; implicit-def: $vgpr1_vgpr2
                                        ; implicit-def: $vgpr0
.LBB196_19:
	s_andn2_saveexec_b32 s0, s0
	s_cbranch_execz .LBB196_21
; %bb.20:
	v_lshlrev_b32_e32 v9, 1, v5
	v_mul_f32_e64 v5, v8, -v2
	v_mul_f32_e32 v14, v1, v8
	v_mul_f32_e64 v8, v7, -v2
	v_mul_f32_e32 v16, v1, v7
	v_ashrrev_i32_e32 v10, 31, v9
	v_fmac_f32_e32 v5, v1, v0
	v_fmac_f32_e32 v14, v2, v0
	;; [unrolled: 1-line block ×4, first 2 shown]
	v_lshlrev_b64 v[9:10], 3, v[9:10]
	v_add_co_u32 v17, vcc_lo, s2, v9
	v_add_co_ci_u32_e64 v18, null, s3, v10, vcc_lo
	global_load_dwordx4 v[9:12], v[17:18], off
	s_waitcnt vmcnt(0)
	v_fmac_f32_e32 v5, v3, v9
	v_fmac_f32_e32 v14, v4, v9
	;; [unrolled: 1-line block ×4, first 2 shown]
	v_fma_f32 v13, -v4, v10, v5
	v_fmac_f32_e32 v14, v3, v10
	v_fma_f32 v15, -v4, v12, v8
	v_fmac_f32_e32 v16, v3, v12
	global_store_dwordx4 v[17:18], v[13:16], off
.LBB196_21:
	s_endpgm
	.section	.rodata,"a",@progbits
	.p2align	6, 0x0
	.amdhsa_kernel _ZN9rocsparseL19gebsrmvn_2xn_kernelILj128ELj10ELj64E21rocsparse_complex_numIfEEEvi20rocsparse_direction_NS_24const_host_device_scalarIT2_EEPKiS8_PKS5_SA_S6_PS5_21rocsparse_index_base_b
		.amdhsa_group_segment_fixed_size 0
		.amdhsa_private_segment_fixed_size 0
		.amdhsa_kernarg_size 72
		.amdhsa_user_sgpr_count 6
		.amdhsa_user_sgpr_private_segment_buffer 1
		.amdhsa_user_sgpr_dispatch_ptr 0
		.amdhsa_user_sgpr_queue_ptr 0
		.amdhsa_user_sgpr_kernarg_segment_ptr 1
		.amdhsa_user_sgpr_dispatch_id 0
		.amdhsa_user_sgpr_flat_scratch_init 0
		.amdhsa_user_sgpr_private_segment_size 0
		.amdhsa_wavefront_size32 1
		.amdhsa_uses_dynamic_stack 0
		.amdhsa_system_sgpr_private_segment_wavefront_offset 0
		.amdhsa_system_sgpr_workgroup_id_x 1
		.amdhsa_system_sgpr_workgroup_id_y 0
		.amdhsa_system_sgpr_workgroup_id_z 0
		.amdhsa_system_sgpr_workgroup_info 0
		.amdhsa_system_vgpr_workitem_id 0
		.amdhsa_next_free_vgpr 78
		.amdhsa_next_free_sgpr 16
		.amdhsa_reserve_vcc 1
		.amdhsa_reserve_flat_scratch 0
		.amdhsa_float_round_mode_32 0
		.amdhsa_float_round_mode_16_64 0
		.amdhsa_float_denorm_mode_32 3
		.amdhsa_float_denorm_mode_16_64 3
		.amdhsa_dx10_clamp 1
		.amdhsa_ieee_mode 1
		.amdhsa_fp16_overflow 0
		.amdhsa_workgroup_processor_mode 1
		.amdhsa_memory_ordered 1
		.amdhsa_forward_progress 1
		.amdhsa_shared_vgpr_count 0
		.amdhsa_exception_fp_ieee_invalid_op 0
		.amdhsa_exception_fp_denorm_src 0
		.amdhsa_exception_fp_ieee_div_zero 0
		.amdhsa_exception_fp_ieee_overflow 0
		.amdhsa_exception_fp_ieee_underflow 0
		.amdhsa_exception_fp_ieee_inexact 0
		.amdhsa_exception_int_div_zero 0
	.end_amdhsa_kernel
	.section	.text._ZN9rocsparseL19gebsrmvn_2xn_kernelILj128ELj10ELj64E21rocsparse_complex_numIfEEEvi20rocsparse_direction_NS_24const_host_device_scalarIT2_EEPKiS8_PKS5_SA_S6_PS5_21rocsparse_index_base_b,"axG",@progbits,_ZN9rocsparseL19gebsrmvn_2xn_kernelILj128ELj10ELj64E21rocsparse_complex_numIfEEEvi20rocsparse_direction_NS_24const_host_device_scalarIT2_EEPKiS8_PKS5_SA_S6_PS5_21rocsparse_index_base_b,comdat
.Lfunc_end196:
	.size	_ZN9rocsparseL19gebsrmvn_2xn_kernelILj128ELj10ELj64E21rocsparse_complex_numIfEEEvi20rocsparse_direction_NS_24const_host_device_scalarIT2_EEPKiS8_PKS5_SA_S6_PS5_21rocsparse_index_base_b, .Lfunc_end196-_ZN9rocsparseL19gebsrmvn_2xn_kernelILj128ELj10ELj64E21rocsparse_complex_numIfEEEvi20rocsparse_direction_NS_24const_host_device_scalarIT2_EEPKiS8_PKS5_SA_S6_PS5_21rocsparse_index_base_b
                                        ; -- End function
	.set _ZN9rocsparseL19gebsrmvn_2xn_kernelILj128ELj10ELj64E21rocsparse_complex_numIfEEEvi20rocsparse_direction_NS_24const_host_device_scalarIT2_EEPKiS8_PKS5_SA_S6_PS5_21rocsparse_index_base_b.num_vgpr, 78
	.set _ZN9rocsparseL19gebsrmvn_2xn_kernelILj128ELj10ELj64E21rocsparse_complex_numIfEEEvi20rocsparse_direction_NS_24const_host_device_scalarIT2_EEPKiS8_PKS5_SA_S6_PS5_21rocsparse_index_base_b.num_agpr, 0
	.set _ZN9rocsparseL19gebsrmvn_2xn_kernelILj128ELj10ELj64E21rocsparse_complex_numIfEEEvi20rocsparse_direction_NS_24const_host_device_scalarIT2_EEPKiS8_PKS5_SA_S6_PS5_21rocsparse_index_base_b.numbered_sgpr, 16
	.set _ZN9rocsparseL19gebsrmvn_2xn_kernelILj128ELj10ELj64E21rocsparse_complex_numIfEEEvi20rocsparse_direction_NS_24const_host_device_scalarIT2_EEPKiS8_PKS5_SA_S6_PS5_21rocsparse_index_base_b.num_named_barrier, 0
	.set _ZN9rocsparseL19gebsrmvn_2xn_kernelILj128ELj10ELj64E21rocsparse_complex_numIfEEEvi20rocsparse_direction_NS_24const_host_device_scalarIT2_EEPKiS8_PKS5_SA_S6_PS5_21rocsparse_index_base_b.private_seg_size, 0
	.set _ZN9rocsparseL19gebsrmvn_2xn_kernelILj128ELj10ELj64E21rocsparse_complex_numIfEEEvi20rocsparse_direction_NS_24const_host_device_scalarIT2_EEPKiS8_PKS5_SA_S6_PS5_21rocsparse_index_base_b.uses_vcc, 1
	.set _ZN9rocsparseL19gebsrmvn_2xn_kernelILj128ELj10ELj64E21rocsparse_complex_numIfEEEvi20rocsparse_direction_NS_24const_host_device_scalarIT2_EEPKiS8_PKS5_SA_S6_PS5_21rocsparse_index_base_b.uses_flat_scratch, 0
	.set _ZN9rocsparseL19gebsrmvn_2xn_kernelILj128ELj10ELj64E21rocsparse_complex_numIfEEEvi20rocsparse_direction_NS_24const_host_device_scalarIT2_EEPKiS8_PKS5_SA_S6_PS5_21rocsparse_index_base_b.has_dyn_sized_stack, 0
	.set _ZN9rocsparseL19gebsrmvn_2xn_kernelILj128ELj10ELj64E21rocsparse_complex_numIfEEEvi20rocsparse_direction_NS_24const_host_device_scalarIT2_EEPKiS8_PKS5_SA_S6_PS5_21rocsparse_index_base_b.has_recursion, 0
	.set _ZN9rocsparseL19gebsrmvn_2xn_kernelILj128ELj10ELj64E21rocsparse_complex_numIfEEEvi20rocsparse_direction_NS_24const_host_device_scalarIT2_EEPKiS8_PKS5_SA_S6_PS5_21rocsparse_index_base_b.has_indirect_call, 0
	.section	.AMDGPU.csdata,"",@progbits
; Kernel info:
; codeLenInByte = 3564
; TotalNumSgprs: 18
; NumVgprs: 78
; ScratchSize: 0
; MemoryBound: 0
; FloatMode: 240
; IeeeMode: 1
; LDSByteSize: 0 bytes/workgroup (compile time only)
; SGPRBlocks: 0
; VGPRBlocks: 9
; NumSGPRsForWavesPerEU: 18
; NumVGPRsForWavesPerEU: 78
; Occupancy: 12
; WaveLimiterHint : 1
; COMPUTE_PGM_RSRC2:SCRATCH_EN: 0
; COMPUTE_PGM_RSRC2:USER_SGPR: 6
; COMPUTE_PGM_RSRC2:TRAP_HANDLER: 0
; COMPUTE_PGM_RSRC2:TGID_X_EN: 1
; COMPUTE_PGM_RSRC2:TGID_Y_EN: 0
; COMPUTE_PGM_RSRC2:TGID_Z_EN: 0
; COMPUTE_PGM_RSRC2:TIDIG_COMP_CNT: 0
	.section	.text._ZN9rocsparseL19gebsrmvn_2xn_kernelILj128ELj11ELj4E21rocsparse_complex_numIfEEEvi20rocsparse_direction_NS_24const_host_device_scalarIT2_EEPKiS8_PKS5_SA_S6_PS5_21rocsparse_index_base_b,"axG",@progbits,_ZN9rocsparseL19gebsrmvn_2xn_kernelILj128ELj11ELj4E21rocsparse_complex_numIfEEEvi20rocsparse_direction_NS_24const_host_device_scalarIT2_EEPKiS8_PKS5_SA_S6_PS5_21rocsparse_index_base_b,comdat
	.globl	_ZN9rocsparseL19gebsrmvn_2xn_kernelILj128ELj11ELj4E21rocsparse_complex_numIfEEEvi20rocsparse_direction_NS_24const_host_device_scalarIT2_EEPKiS8_PKS5_SA_S6_PS5_21rocsparse_index_base_b ; -- Begin function _ZN9rocsparseL19gebsrmvn_2xn_kernelILj128ELj11ELj4E21rocsparse_complex_numIfEEEvi20rocsparse_direction_NS_24const_host_device_scalarIT2_EEPKiS8_PKS5_SA_S6_PS5_21rocsparse_index_base_b
	.p2align	8
	.type	_ZN9rocsparseL19gebsrmvn_2xn_kernelILj128ELj11ELj4E21rocsparse_complex_numIfEEEvi20rocsparse_direction_NS_24const_host_device_scalarIT2_EEPKiS8_PKS5_SA_S6_PS5_21rocsparse_index_base_b,@function
_ZN9rocsparseL19gebsrmvn_2xn_kernelILj128ELj11ELj4E21rocsparse_complex_numIfEEEvi20rocsparse_direction_NS_24const_host_device_scalarIT2_EEPKiS8_PKS5_SA_S6_PS5_21rocsparse_index_base_b: ; @_ZN9rocsparseL19gebsrmvn_2xn_kernelILj128ELj11ELj4E21rocsparse_complex_numIfEEEvi20rocsparse_direction_NS_24const_host_device_scalarIT2_EEPKiS8_PKS5_SA_S6_PS5_21rocsparse_index_base_b
; %bb.0:
	s_clause 0x2
	s_load_dwordx2 s[2:3], s[4:5], 0x40
	s_load_dwordx2 s[0:1], s[4:5], 0x8
	;; [unrolled: 1-line block ×3, first 2 shown]
	s_add_u32 s7, s4, 8
	s_addc_u32 s10, s5, 0
	s_add_u32 s11, s4, 48
	s_addc_u32 s12, s5, 0
	s_waitcnt lgkmcnt(0)
	s_bitcmp1_b32 s3, 0
	s_cselect_b32 s0, s7, s0
	s_cselect_b32 s1, s10, s1
	v_mov_b32_e32 v1, s0
	v_mov_b32_e32 v2, s1
	s_cselect_b32 s0, s11, s8
	s_cselect_b32 s1, s12, s9
	v_mov_b32_e32 v3, s0
	v_mov_b32_e32 v4, s1
	flat_load_dwordx2 v[1:2], v[1:2]
	flat_load_dwordx2 v[3:4], v[3:4]
	s_waitcnt vmcnt(1) lgkmcnt(1)
	v_cmp_eq_f32_e32 vcc_lo, 0, v1
	v_cmp_eq_f32_e64 s0, 0, v2
	s_and_b32 s3, vcc_lo, s0
	s_mov_b32 s0, -1
	s_and_saveexec_b32 s1, s3
	s_cbranch_execz .LBB197_2
; %bb.1:
	s_waitcnt vmcnt(0) lgkmcnt(0)
	v_cmp_neq_f32_e32 vcc_lo, 1.0, v3
	v_cmp_neq_f32_e64 s0, 0, v4
	s_or_b32 s0, vcc_lo, s0
	s_orn2_b32 s0, s0, exec_lo
.LBB197_2:
	s_or_b32 exec_lo, exec_lo, s1
	s_and_saveexec_b32 s1, s0
	s_cbranch_execz .LBB197_21
; %bb.3:
	s_load_dwordx2 s[0:1], s[4:5], 0x0
	v_lshrrev_b32_e32 v5, 2, v0
	v_lshl_or_b32 v5, s6, 5, v5
	s_waitcnt lgkmcnt(0)
	v_cmp_gt_i32_e32 vcc_lo, s0, v5
	s_and_b32 exec_lo, exec_lo, vcc_lo
	s_cbranch_execz .LBB197_21
; %bb.4:
	s_load_dwordx8 s[8:15], s[4:5], 0x10
	v_ashrrev_i32_e32 v6, 31, v5
	v_and_b32_e32 v0, 3, v0
	s_cmp_lg_u32 s1, 0
	v_lshlrev_b64 v[6:7], 2, v[5:6]
	s_waitcnt lgkmcnt(0)
	v_add_co_u32 v6, vcc_lo, s8, v6
	v_add_co_ci_u32_e64 v7, null, s9, v7, vcc_lo
	global_load_dwordx2 v[6:7], v[6:7], off
	s_waitcnt vmcnt(0)
	v_subrev_nc_u32_e32 v6, s2, v6
	v_subrev_nc_u32_e32 v16, s2, v7
	v_add_nc_u32_e32 v6, v6, v0
	v_cmp_lt_i32_e64 s0, v6, v16
	s_cbranch_scc0 .LBB197_10
; %bb.5:
	v_mov_b32_e32 v14, 0
	v_mov_b32_e32 v17, 0
	;; [unrolled: 1-line block ×4, first 2 shown]
	s_and_saveexec_b32 s3, s0
	s_cbranch_execz .LBB197_9
; %bb.6:
	v_mad_u64_u32 v[7:8], null, v6, 22, 20
	v_mov_b32_e32 v10, 0
	v_mov_b32_e32 v11, v6
	;; [unrolled: 1-line block ×6, first 2 shown]
	s_mov_b32 s6, 0
.LBB197_7:                              ; =>This Inner Loop Header: Depth=1
	v_ashrrev_i32_e32 v12, 31, v11
	v_subrev_nc_u32_e32 v9, 20, v7
	v_mov_b32_e32 v8, v10
	v_mov_b32_e32 v13, v10
	v_lshlrev_b64 v[23:24], 2, v[11:12]
	v_lshlrev_b64 v[19:20], 3, v[9:10]
	v_subrev_nc_u32_e32 v9, 18, v7
	v_lshlrev_b64 v[21:22], 3, v[7:8]
	v_add_nc_u32_e32 v11, 4, v11
	v_add_co_u32 v23, s1, s10, v23
	v_add_co_ci_u32_e64 v24, null, s11, v24, s1
	v_lshlrev_b64 v[8:9], 3, v[9:10]
	v_add_co_u32 v47, vcc_lo, s12, v21
	global_load_dword v12, v[23:24], off
	v_add_co_u32 v19, s1, s12, v19
	v_add_co_ci_u32_e64 v48, null, s13, v22, vcc_lo
	v_add_co_u32 v8, vcc_lo, s12, v8
	v_add_co_ci_u32_e64 v20, null, s13, v20, s1
	v_add_co_ci_u32_e64 v9, null, s13, v9, vcc_lo
	s_clause 0x1
	global_load_dwordx4 v[19:22], v[19:20], off
	global_load_dwordx4 v[23:26], v[8:9], off
	s_waitcnt vmcnt(2)
	v_subrev_nc_u32_e32 v8, s2, v12
	v_mul_lo_u32 v12, v8, 11
	v_lshlrev_b64 v[27:28], 3, v[12:13]
	v_add_nc_u32_e32 v9, 1, v12
	v_lshlrev_b64 v[29:30], 3, v[9:10]
	v_add_co_u32 v27, vcc_lo, s14, v27
	v_add_co_ci_u32_e64 v28, null, s15, v28, vcc_lo
	v_add_nc_u32_e32 v9, -16, v7
	global_load_dwordx2 v[49:50], v[27:28], off
	v_add_co_u32 v27, vcc_lo, s14, v29
	v_add_co_ci_u32_e64 v28, null, s15, v30, vcc_lo
	v_lshlrev_b64 v[31:32], 3, v[9:10]
	v_add_nc_u32_e32 v9, 2, v12
	global_load_dwordx2 v[51:52], v[27:28], off
	v_lshlrev_b64 v[29:30], 3, v[9:10]
	v_add_co_u32 v27, vcc_lo, s12, v31
	v_add_co_ci_u32_e64 v28, null, s13, v32, vcc_lo
	v_add_nc_u32_e32 v9, -14, v7
	v_add_co_u32 v33, vcc_lo, s14, v29
	v_add_co_ci_u32_e64 v34, null, s15, v30, vcc_lo
	global_load_dwordx4 v[27:30], v[27:28], off
	v_lshlrev_b64 v[31:32], 3, v[9:10]
	v_add_nc_u32_e32 v9, 3, v12
	global_load_dwordx2 v[53:54], v[33:34], off
	v_lshlrev_b64 v[35:36], 3, v[9:10]
	v_add_nc_u32_e32 v9, -12, v7
	v_add_co_u32 v31, vcc_lo, s12, v31
	v_add_co_ci_u32_e64 v32, null, s13, v32, vcc_lo
	v_lshlrev_b64 v[37:38], 3, v[9:10]
	v_add_nc_u32_e32 v9, 4, v12
	v_add_co_u32 v35, vcc_lo, s14, v35
	v_add_co_ci_u32_e64 v36, null, s15, v36, vcc_lo
	v_lshlrev_b64 v[39:40], 3, v[9:10]
	v_add_nc_u32_e32 v9, -10, v7
	global_load_dwordx2 v[55:56], v[35:36], off
	global_load_dwordx4 v[31:34], v[31:32], off
	v_add_co_u32 v35, vcc_lo, s12, v37
	v_lshlrev_b64 v[41:42], 3, v[9:10]
	v_add_nc_u32_e32 v9, 5, v12
	v_add_co_ci_u32_e64 v36, null, s13, v38, vcc_lo
	v_add_co_u32 v39, vcc_lo, s14, v39
	v_add_co_ci_u32_e64 v40, null, s15, v40, vcc_lo
	v_lshlrev_b64 v[43:44], 3, v[9:10]
	v_add_nc_u32_e32 v9, -8, v7
	global_load_dwordx4 v[35:38], v[35:36], off
	global_load_dwordx2 v[57:58], v[39:40], off
	v_add_co_u32 v39, vcc_lo, s12, v41
	v_lshlrev_b64 v[45:46], 3, v[9:10]
	v_add_nc_u32_e32 v9, 6, v12
	v_add_co_ci_u32_e64 v40, null, s13, v42, vcc_lo
	v_add_co_u32 v43, vcc_lo, s14, v43
	v_add_co_ci_u32_e64 v44, null, s15, v44, vcc_lo
	v_lshlrev_b64 v[59:60], 3, v[9:10]
	v_add_nc_u32_e32 v9, -6, v7
	global_load_dwordx4 v[39:42], v[39:40], off
	global_load_dwordx2 v[61:62], v[43:44], off
	v_add_co_u32 v43, vcc_lo, s12, v45
	v_lshlrev_b64 v[63:64], 3, v[9:10]
	v_add_nc_u32_e32 v9, 7, v12
	v_add_co_ci_u32_e64 v44, null, s13, v46, vcc_lo
	v_add_co_u32 v59, vcc_lo, s14, v59
	v_add_co_ci_u32_e64 v60, null, s15, v60, vcc_lo
	global_load_dwordx4 v[43:46], v[43:44], off
	global_load_dwordx2 v[59:60], v[59:60], off
	s_waitcnt vmcnt(11)
	v_fmac_f32_e32 v17, v19, v49
	v_fmac_f32_e32 v18, v21, v49
	;; [unrolled: 1-line block ×4, first 2 shown]
	v_fma_f32 v8, -v20, v50, v17
	v_fma_f32 v13, -v22, v50, v18
	v_lshlrev_b64 v[17:18], 3, v[9:10]
	v_fmac_f32_e32 v14, v19, v50
	v_add_nc_u32_e32 v9, -4, v7
	v_fmac_f32_e32 v15, v21, v50
	v_add_co_u32 v19, vcc_lo, s12, v63
	v_add_co_ci_u32_e64 v20, null, s13, v64, vcc_lo
	v_lshlrev_b64 v[21:22], 3, v[9:10]
	v_add_nc_u32_e32 v9, 8, v12
	v_add_co_u32 v49, vcc_lo, s14, v17
	s_waitcnt vmcnt(10)
	v_fmac_f32_e32 v8, v23, v51
	v_fmac_f32_e32 v14, v24, v51
	v_add_co_ci_u32_e64 v50, null, s15, v18, vcc_lo
	v_fmac_f32_e32 v13, v25, v51
	v_fmac_f32_e32 v15, v26, v51
	v_fma_f32 v8, -v24, v52, v8
	v_fmac_f32_e32 v14, v23, v52
	v_lshlrev_b64 v[23:24], 3, v[9:10]
	v_add_nc_u32_e32 v9, -2, v7
	global_load_dwordx4 v[17:20], v[19:20], off
	v_fma_f32 v67, -v26, v52, v13
	v_fmac_f32_e32 v15, v25, v52
	global_load_dwordx2 v[51:52], v[49:50], off
	v_add_co_u32 v21, vcc_lo, s12, v21
	v_lshlrev_b64 v[25:26], 3, v[9:10]
	v_add_nc_u32_e32 v9, 9, v12
	v_add_co_ci_u32_e64 v22, null, s13, v22, vcc_lo
	v_add_co_u32 v49, vcc_lo, s14, v23
	v_add_co_ci_u32_e64 v50, null, s15, v24, vcc_lo
	v_lshlrev_b64 v[63:64], 3, v[9:10]
	s_waitcnt vmcnt(10)
	v_fmac_f32_e32 v15, v30, v53
	global_load_dwordx4 v[21:24], v[21:22], off
	global_load_dwordx2 v[65:66], v[49:50], off
	v_fmac_f32_e32 v67, v29, v53
	v_add_nc_u32_e32 v9, 10, v12
	v_add_co_u32 v12, vcc_lo, s12, v25
	v_fmac_f32_e32 v8, v27, v53
	v_add_co_ci_u32_e64 v13, null, s13, v26, vcc_lo
	v_fmac_f32_e32 v15, v29, v54
	v_add_co_u32 v29, vcc_lo, s14, v63
	v_fmac_f32_e32 v14, v28, v53
	v_fma_f32 v67, -v30, v54, v67
	v_add_co_ci_u32_e64 v30, null, s15, v64, vcc_lo
	v_fma_f32 v53, -v28, v54, v8
	v_lshlrev_b64 v[8:9], 3, v[9:10]
	v_fmac_f32_e32 v14, v27, v54
	global_load_dwordx4 v[25:28], v[12:13], off
	global_load_dwordx2 v[12:13], v[29:30], off
	s_waitcnt vmcnt(12)
	v_fmac_f32_e32 v67, v33, v55
	v_fmac_f32_e32 v53, v31, v55
	v_fmac_f32_e32 v15, v34, v55
	v_add_co_u32 v8, vcc_lo, s14, v8
	v_add_co_ci_u32_e64 v9, null, s15, v9, vcc_lo
	global_load_dwordx4 v[47:50], v[47:48], off
	global_load_dwordx2 v[8:9], v[8:9], off
	v_fmac_f32_e32 v14, v32, v55
	v_fma_f32 v29, -v32, v56, v53
	v_fma_f32 v30, -v34, v56, v67
	v_fmac_f32_e32 v15, v33, v56
	v_cmp_ge_i32_e32 vcc_lo, v11, v16
	v_fmac_f32_e32 v14, v31, v56
	s_waitcnt vmcnt(12)
	v_fmac_f32_e32 v29, v35, v57
	v_fmac_f32_e32 v30, v37, v57
	;; [unrolled: 1-line block ×3, first 2 shown]
	v_add_nc_u32_e32 v7, 0x58, v7
	v_fmac_f32_e32 v14, v36, v57
	v_fma_f32 v29, -v36, v58, v29
	v_fma_f32 v30, -v38, v58, v30
	v_fmac_f32_e32 v15, v37, v58
	s_or_b32 s6, vcc_lo, s6
	v_fmac_f32_e32 v14, v35, v58
	s_waitcnt vmcnt(10)
	v_fmac_f32_e32 v29, v39, v61
	v_fmac_f32_e32 v30, v41, v61
	;; [unrolled: 1-line block ×4, first 2 shown]
	v_fma_f32 v29, -v40, v62, v29
	v_fma_f32 v30, -v42, v62, v30
	v_fmac_f32_e32 v15, v41, v62
	v_fmac_f32_e32 v14, v39, v62
	s_waitcnt vmcnt(8)
	v_fmac_f32_e32 v29, v43, v59
	v_fmac_f32_e32 v30, v45, v59
	;; [unrolled: 1-line block ×4, first 2 shown]
	v_fma_f32 v29, -v44, v60, v29
	v_fma_f32 v30, -v46, v60, v30
	v_fmac_f32_e32 v15, v45, v60
	v_fmac_f32_e32 v14, v43, v60
	s_waitcnt vmcnt(6)
	v_fmac_f32_e32 v29, v17, v51
	v_fmac_f32_e32 v14, v18, v51
	v_fmac_f32_e32 v30, v19, v51
	v_fmac_f32_e32 v15, v20, v51
	v_fma_f32 v18, -v18, v52, v29
	v_fmac_f32_e32 v14, v17, v52
	v_fma_f32 v17, -v20, v52, v30
	v_fmac_f32_e32 v15, v19, v52
	s_waitcnt vmcnt(4)
	v_fmac_f32_e32 v18, v21, v65
	v_fmac_f32_e32 v14, v22, v65
	v_fmac_f32_e32 v17, v23, v65
	v_fmac_f32_e32 v15, v24, v65
	v_fma_f32 v18, -v22, v66, v18
	v_fmac_f32_e32 v14, v21, v66
	v_fma_f32 v17, -v24, v66, v17
	;; [unrolled: 9-line block ×4, first 2 shown]
	v_fmac_f32_e32 v15, v49, v9
	s_andn2_b32 exec_lo, exec_lo, s6
	s_cbranch_execnz .LBB197_7
; %bb.8:
	s_or_b32 exec_lo, exec_lo, s6
.LBB197_9:
	s_or_b32 exec_lo, exec_lo, s3
	s_cbranch_execz .LBB197_11
	s_branch .LBB197_16
.LBB197_10:
                                        ; implicit-def: $vgpr14
                                        ; implicit-def: $vgpr17
                                        ; implicit-def: $vgpr18
                                        ; implicit-def: $vgpr15
.LBB197_11:
	v_mov_b32_e32 v14, 0
	v_mov_b32_e32 v17, 0
	v_mov_b32_e32 v18, 0
	v_mov_b32_e32 v15, 0
	s_and_saveexec_b32 s1, s0
	s_cbranch_execz .LBB197_15
; %bb.12:
	v_mad_u64_u32 v[8:9], null, v6, 22, 21
	v_mov_b32_e32 v11, 0
	v_mov_b32_e32 v14, 0
	;; [unrolled: 1-line block ×5, first 2 shown]
	s_mov_b32 s0, 0
.LBB197_13:                             ; =>This Inner Loop Header: Depth=1
	v_ashrrev_i32_e32 v7, 31, v6
	v_subrev_nc_u32_e32 v10, 21, v8
	v_add_nc_u32_e32 v19, -10, v8
	v_mov_b32_e32 v20, v11
	v_mov_b32_e32 v9, v11
	v_lshlrev_b64 v[21:22], 2, v[6:7]
	v_lshlrev_b64 v[23:24], 3, v[10:11]
	v_mov_b32_e32 v13, v11
	v_lshlrev_b64 v[19:20], 3, v[19:20]
	v_lshlrev_b64 v[9:10], 3, v[8:9]
	v_add_nc_u32_e32 v6, 4, v6
	v_add_co_u32 v21, vcc_lo, s10, v21
	v_add_co_ci_u32_e64 v22, null, s11, v22, vcc_lo
	v_add_co_u32 v23, vcc_lo, s12, v23
	v_add_co_ci_u32_e64 v24, null, s13, v24, vcc_lo
	global_load_dword v7, v[21:22], off
	v_add_co_u32 v19, vcc_lo, s12, v19
	v_add_co_ci_u32_e64 v20, null, s13, v20, vcc_lo
	v_add_co_u32 v25, vcc_lo, s12, v9
	v_add_co_ci_u32_e64 v26, null, s13, v10, vcc_lo
	s_waitcnt vmcnt(0)
	v_subrev_nc_u32_e32 v7, s2, v7
	v_mul_lo_u32 v12, v7, 11
	v_add_nc_u32_e32 v10, 1, v12
	v_lshlrev_b64 v[21:22], 3, v[12:13]
	v_lshlrev_b64 v[27:28], 3, v[10:11]
	v_add_nc_u32_e32 v10, -9, v8
	v_add_co_u32 v21, vcc_lo, s14, v21
	v_add_co_ci_u32_e64 v22, null, s15, v22, vcc_lo
	v_lshlrev_b64 v[29:30], 3, v[10:11]
	v_subrev_nc_u32_e32 v10, 19, v8
	v_add_co_u32 v27, vcc_lo, s14, v27
	v_add_co_ci_u32_e64 v28, null, s15, v28, vcc_lo
	v_lshlrev_b64 v[31:32], 3, v[10:11]
	v_add_nc_u32_e32 v10, 2, v12
	v_add_co_u32 v29, vcc_lo, s12, v29
	v_add_co_ci_u32_e64 v30, null, s13, v30, vcc_lo
	v_lshlrev_b64 v[33:34], 3, v[10:11]
	v_add_nc_u32_e32 v10, -8, v8
	v_add_co_u32 v31, vcc_lo, s12, v31
	v_add_co_ci_u32_e64 v32, null, s13, v32, vcc_lo
	v_lshlrev_b64 v[35:36], 3, v[10:11]
	v_subrev_nc_u32_e32 v10, 18, v8
	v_add_co_u32 v33, vcc_lo, s14, v33
	v_add_co_ci_u32_e64 v34, null, s15, v34, vcc_lo
	v_lshlrev_b64 v[37:38], 3, v[10:11]
	v_add_nc_u32_e32 v10, 3, v12
	v_add_co_u32 v35, vcc_lo, s12, v35
	v_add_co_ci_u32_e64 v36, null, s13, v36, vcc_lo
	;; [unrolled: 12-line block ×3, first 2 shown]
	v_lshlrev_b64 v[45:46], 3, v[10:11]
	v_add_nc_u32_e32 v10, -6, v8
	v_add_co_u32 v43, vcc_lo, s12, v43
	v_add_co_ci_u32_e64 v44, null, s13, v44, vcc_lo
	v_lshlrev_b64 v[47:48], 3, v[10:11]
	v_add_nc_u32_e32 v10, -16, v8
	v_add_co_u32 v45, vcc_lo, s14, v45
	v_add_co_ci_u32_e64 v46, null, s15, v46, vcc_lo
	v_lshlrev_b64 v[49:50], 3, v[10:11]
	v_add_nc_u32_e32 v10, 5, v12
	v_add_co_u32 v47, vcc_lo, s12, v47
	v_add_co_ci_u32_e64 v48, null, s13, v48, vcc_lo
	v_lshlrev_b64 v[51:52], 3, v[10:11]
	v_add_nc_u32_e32 v10, -5, v8
	v_add_co_u32 v49, vcc_lo, s12, v49
	v_add_co_ci_u32_e64 v50, null, s13, v50, vcc_lo
	v_lshlrev_b64 v[53:54], 3, v[10:11]
	v_add_nc_u32_e32 v10, -15, v8
	v_add_co_u32 v51, vcc_lo, s14, v51
	v_add_co_ci_u32_e64 v52, null, s15, v52, vcc_lo
	v_lshlrev_b64 v[55:56], 3, v[10:11]
	v_add_nc_u32_e32 v10, 6, v12
	v_add_co_u32 v53, vcc_lo, s12, v53
	v_add_co_ci_u32_e64 v54, null, s13, v54, vcc_lo
	;; [unrolled: 12-line block ×3, first 2 shown]
	v_lshlrev_b64 v[9:10], 3, v[10:11]
	v_add_co_u32 v61, vcc_lo, s12, v61
	v_add_co_ci_u32_e64 v62, null, s13, v62, vcc_lo
	v_add_co_u32 v63, vcc_lo, s14, v9
	v_add_co_ci_u32_e64 v64, null, s15, v10, vcc_lo
	global_load_dwordx2 v[9:10], v[19:20], off
	global_load_dwordx2 v[65:66], v[21:22], off
	s_waitcnt vmcnt(0)
	v_fmac_f32_e32 v18, v9, v65
	v_fmac_f32_e32 v15, v10, v65
	v_fma_f32 v7, -v10, v66, v18
	global_load_dwordx4 v[18:21], v[23:24], off
	global_load_dwordx2 v[22:23], v[27:28], off
	s_clause 0x1
	global_load_dwordx2 v[27:28], v[29:30], off
	global_load_dwordx2 v[29:30], v[31:32], off
	v_add_nc_u32_e32 v10, -3, v8
	v_fmac_f32_e32 v15, v9, v66
	s_waitcnt vmcnt(3)
	v_fmac_f32_e32 v14, v19, v65
	v_fmac_f32_e32 v17, v18, v65
	s_waitcnt vmcnt(1)
	v_fmac_f32_e32 v7, v27, v22
	v_fmac_f32_e32 v15, v28, v22
	v_fmac_f32_e32 v14, v18, v66
	v_fma_f32 v9, -v19, v66, v17
	v_lshlrev_b64 v[17:18], 3, v[10:11]
	v_add_nc_u32_e32 v10, -13, v8
	v_fma_f32 v7, -v28, v23, v7
	v_fmac_f32_e32 v14, v21, v22
	v_fmac_f32_e32 v9, v20, v22
	;; [unrolled: 1-line block ×3, first 2 shown]
	v_add_co_u32 v17, vcc_lo, s12, v17
	v_fmac_f32_e32 v14, v20, v23
	v_lshlrev_b64 v[19:20], 3, v[10:11]
	v_add_nc_u32_e32 v10, 8, v12
	v_add_co_ci_u32_e64 v18, null, s13, v18, vcc_lo
	v_fma_f32 v13, -v21, v23, v9
	v_lshlrev_b64 v[31:32], 3, v[10:11]
	v_add_co_u32 v19, vcc_lo, s12, v19
	v_add_co_ci_u32_e64 v20, null, s13, v20, vcc_lo
	v_add_nc_u32_e32 v10, -2, v8
	v_add_co_u32 v23, vcc_lo, s14, v31
	v_add_co_ci_u32_e64 v24, null, s15, v32, vcc_lo
	global_load_dwordx2 v[31:32], v[33:34], off
	s_clause 0x1
	global_load_dwordx2 v[33:34], v[35:36], off
	global_load_dwordx2 v[35:36], v[37:38], off
	v_lshlrev_b64 v[21:22], 3, v[10:11]
	v_add_nc_u32_e32 v10, -12, v8
	v_lshlrev_b64 v[9:10], 3, v[10:11]
	v_add_co_u32 v21, vcc_lo, s12, v21
	v_add_co_ci_u32_e64 v22, null, s13, v22, vcc_lo
	v_add_co_u32 v27, vcc_lo, s12, v9
	v_add_co_ci_u32_e64 v28, null, s13, v10, vcc_lo
	v_add_nc_u32_e32 v10, 9, v12
	s_waitcnt vmcnt(2)
	v_fmac_f32_e32 v13, v29, v31
	v_fmac_f32_e32 v14, v30, v31
	s_waitcnt vmcnt(1)
	v_fmac_f32_e32 v7, v33, v31
	v_fmac_f32_e32 v15, v34, v31
	v_fma_f32 v65, -v30, v32, v13
	v_fmac_f32_e32 v14, v29, v32
	v_lshlrev_b64 v[29:30], 3, v[10:11]
	v_add_nc_u32_e32 v10, -1, v8
	v_fma_f32 v7, -v34, v32, v7
	v_fmac_f32_e32 v15, v33, v32
	v_lshlrev_b64 v[31:32], 3, v[10:11]
	v_add_nc_u32_e32 v10, -11, v8
	v_add_co_u32 v29, vcc_lo, s14, v29
	v_add_co_ci_u32_e64 v30, null, s15, v30, vcc_lo
	v_lshlrev_b64 v[33:34], 3, v[10:11]
	v_add_nc_u32_e32 v10, 10, v12
	v_add_co_u32 v12, vcc_lo, s12, v31
	v_add_co_ci_u32_e64 v13, null, s13, v32, vcc_lo
	v_lshlrev_b64 v[9:10], 3, v[10:11]
	v_add_co_u32 v31, vcc_lo, s12, v33
	v_add_co_ci_u32_e64 v32, null, s13, v34, vcc_lo
	v_add_nc_u32_e32 v8, 0x58, v8
	v_add_co_u32 v9, vcc_lo, s14, v9
	v_add_co_ci_u32_e64 v10, null, s15, v10, vcc_lo
	global_load_dwordx2 v[33:34], v[39:40], off
	s_clause 0x1
	global_load_dwordx2 v[37:38], v[41:42], off
	global_load_dwordx2 v[39:40], v[43:44], off
	global_load_dwordx2 v[41:42], v[45:46], off
	s_clause 0x1
	global_load_dwordx2 v[43:44], v[47:48], off
	global_load_dwordx2 v[45:46], v[49:50], off
	global_load_dwordx2 v[47:48], v[51:52], off
	s_clause 0x1
	global_load_dwordx2 v[49:50], v[53:54], off
	global_load_dwordx2 v[51:52], v[55:56], off
	global_load_dwordx2 v[53:54], v[57:58], off
	s_clause 0x1
	global_load_dwordx2 v[55:56], v[59:60], off
	global_load_dwordx2 v[57:58], v[61:62], off
	global_load_dwordx2 v[59:60], v[63:64], off
	s_clause 0x1
	global_load_dwordx2 v[17:18], v[17:18], off
	global_load_dwordx2 v[19:20], v[19:20], off
	global_load_dwordx2 v[23:24], v[23:24], off
	s_clause 0x1
	global_load_dwordx2 v[21:22], v[21:22], off
	global_load_dwordx2 v[27:28], v[27:28], off
	global_load_dwordx2 v[29:30], v[29:30], off
	s_clause 0x2
	global_load_dwordx2 v[12:13], v[12:13], off
	global_load_dwordx2 v[25:26], v[25:26], off
	global_load_dwordx2 v[31:32], v[31:32], off
	global_load_dwordx2 v[9:10], v[9:10], off
	v_cmp_ge_i32_e32 vcc_lo, v6, v16
	s_or_b32 s0, vcc_lo, s0
	s_waitcnt vmcnt(22)
	v_fmac_f32_e32 v65, v35, v33
	v_fmac_f32_e32 v14, v36, v33
	s_waitcnt vmcnt(21)
	v_fmac_f32_e32 v7, v37, v33
	v_fmac_f32_e32 v15, v38, v33
	v_fma_f32 v33, -v36, v34, v65
	v_fmac_f32_e32 v14, v35, v34
	v_fma_f32 v7, -v38, v34, v7
	v_fmac_f32_e32 v15, v37, v34
	s_waitcnt vmcnt(19)
	v_fmac_f32_e32 v33, v39, v41
	v_fmac_f32_e32 v14, v40, v41
	s_waitcnt vmcnt(18)
	v_fmac_f32_e32 v7, v43, v41
	v_fmac_f32_e32 v15, v44, v41
	v_fma_f32 v33, -v40, v42, v33
	v_fmac_f32_e32 v14, v39, v42
	v_fma_f32 v7, -v44, v42, v7
	v_fmac_f32_e32 v15, v43, v42
	;; [unrolled: 10-line block ×7, first 2 shown]
	s_waitcnt vmcnt(0)
	v_fmac_f32_e32 v17, v31, v9
	v_fmac_f32_e32 v14, v32, v9
	;; [unrolled: 1-line block ×4, first 2 shown]
	v_fma_f32 v17, -v32, v10, v17
	v_fmac_f32_e32 v14, v31, v10
	v_fma_f32 v18, -v26, v10, v7
	v_fmac_f32_e32 v15, v25, v10
	s_andn2_b32 exec_lo, exec_lo, s0
	s_cbranch_execnz .LBB197_13
; %bb.14:
	s_or_b32 exec_lo, exec_lo, s0
.LBB197_15:
	s_or_b32 exec_lo, exec_lo, s1
.LBB197_16:
	v_mbcnt_lo_u32_b32 v6, -1, 0
	v_xor_b32_e32 v7, 2, v6
	v_xor_b32_e32 v11, 1, v6
	v_cmp_gt_i32_e32 vcc_lo, 32, v7
	v_cndmask_b32_e32 v7, v6, v7, vcc_lo
	v_cmp_gt_i32_e32 vcc_lo, 32, v11
	v_lshlrev_b32_e32 v7, 2, v7
	v_cndmask_b32_e32 v6, v6, v11, vcc_lo
	v_cmp_eq_u32_e32 vcc_lo, 3, v0
	ds_bpermute_b32 v8, v7, v17
	ds_bpermute_b32 v9, v7, v14
	;; [unrolled: 1-line block ×4, first 2 shown]
	v_lshlrev_b32_e32 v11, 2, v6
	s_waitcnt lgkmcnt(3)
	v_add_f32_e32 v8, v17, v8
	s_waitcnt lgkmcnt(2)
	v_add_f32_e32 v9, v14, v9
	;; [unrolled: 2-line block ×4, first 2 shown]
	ds_bpermute_b32 v12, v11, v8
	ds_bpermute_b32 v13, v11, v9
	;; [unrolled: 1-line block ×4, first 2 shown]
	s_and_b32 exec_lo, exec_lo, vcc_lo
	s_cbranch_execz .LBB197_21
; %bb.17:
	s_load_dwordx2 s[2:3], s[4:5], 0x38
	v_cmp_eq_f32_e32 vcc_lo, 0, v3
	v_cmp_eq_f32_e64 s0, 0, v4
	s_waitcnt lgkmcnt(0)
	v_add_f32_e32 v0, v8, v12
	v_add_f32_e32 v8, v9, v13
	;; [unrolled: 1-line block ×4, first 2 shown]
	s_and_b32 s0, vcc_lo, s0
	s_and_saveexec_b32 s1, s0
	s_xor_b32 s0, exec_lo, s1
	s_cbranch_execz .LBB197_19
; %bb.18:
	v_lshlrev_b32_e32 v3, 1, v5
	v_mul_f32_e64 v9, v8, -v2
	v_mul_f32_e32 v10, v1, v8
	v_mul_f32_e64 v11, v7, -v2
	v_mul_f32_e32 v12, v1, v7
	v_ashrrev_i32_e32 v4, 31, v3
	v_fmac_f32_e32 v9, v1, v0
	v_fmac_f32_e32 v10, v2, v0
	v_fmac_f32_e32 v11, v1, v6
	v_fmac_f32_e32 v12, v2, v6
	v_lshlrev_b64 v[3:4], 3, v[3:4]
                                        ; implicit-def: $vgpr5
                                        ; implicit-def: $vgpr8
                                        ; implicit-def: $vgpr7
                                        ; implicit-def: $vgpr6
	v_add_co_u32 v0, vcc_lo, s2, v3
	v_add_co_ci_u32_e64 v1, null, s3, v4, vcc_lo
                                        ; implicit-def: $vgpr3_vgpr4
	global_store_dwordx4 v[0:1], v[9:12], off
                                        ; implicit-def: $vgpr1_vgpr2
                                        ; implicit-def: $vgpr0
.LBB197_19:
	s_andn2_saveexec_b32 s0, s0
	s_cbranch_execz .LBB197_21
; %bb.20:
	v_lshlrev_b32_e32 v9, 1, v5
	v_mul_f32_e64 v5, v8, -v2
	v_mul_f32_e32 v14, v1, v8
	v_mul_f32_e64 v8, v7, -v2
	v_mul_f32_e32 v16, v1, v7
	v_ashrrev_i32_e32 v10, 31, v9
	v_fmac_f32_e32 v5, v1, v0
	v_fmac_f32_e32 v14, v2, v0
	;; [unrolled: 1-line block ×4, first 2 shown]
	v_lshlrev_b64 v[9:10], 3, v[9:10]
	v_add_co_u32 v17, vcc_lo, s2, v9
	v_add_co_ci_u32_e64 v18, null, s3, v10, vcc_lo
	global_load_dwordx4 v[9:12], v[17:18], off
	s_waitcnt vmcnt(0)
	v_fmac_f32_e32 v5, v3, v9
	v_fmac_f32_e32 v14, v4, v9
	;; [unrolled: 1-line block ×4, first 2 shown]
	v_fma_f32 v13, -v4, v10, v5
	v_fmac_f32_e32 v14, v3, v10
	v_fma_f32 v15, -v4, v12, v8
	v_fmac_f32_e32 v16, v3, v12
	global_store_dwordx4 v[17:18], v[13:16], off
.LBB197_21:
	s_endpgm
	.section	.rodata,"a",@progbits
	.p2align	6, 0x0
	.amdhsa_kernel _ZN9rocsparseL19gebsrmvn_2xn_kernelILj128ELj11ELj4E21rocsparse_complex_numIfEEEvi20rocsparse_direction_NS_24const_host_device_scalarIT2_EEPKiS8_PKS5_SA_S6_PS5_21rocsparse_index_base_b
		.amdhsa_group_segment_fixed_size 0
		.amdhsa_private_segment_fixed_size 0
		.amdhsa_kernarg_size 72
		.amdhsa_user_sgpr_count 6
		.amdhsa_user_sgpr_private_segment_buffer 1
		.amdhsa_user_sgpr_dispatch_ptr 0
		.amdhsa_user_sgpr_queue_ptr 0
		.amdhsa_user_sgpr_kernarg_segment_ptr 1
		.amdhsa_user_sgpr_dispatch_id 0
		.amdhsa_user_sgpr_flat_scratch_init 0
		.amdhsa_user_sgpr_private_segment_size 0
		.amdhsa_wavefront_size32 1
		.amdhsa_uses_dynamic_stack 0
		.amdhsa_system_sgpr_private_segment_wavefront_offset 0
		.amdhsa_system_sgpr_workgroup_id_x 1
		.amdhsa_system_sgpr_workgroup_id_y 0
		.amdhsa_system_sgpr_workgroup_id_z 0
		.amdhsa_system_sgpr_workgroup_info 0
		.amdhsa_system_vgpr_workitem_id 0
		.amdhsa_next_free_vgpr 68
		.amdhsa_next_free_sgpr 16
		.amdhsa_reserve_vcc 1
		.amdhsa_reserve_flat_scratch 0
		.amdhsa_float_round_mode_32 0
		.amdhsa_float_round_mode_16_64 0
		.amdhsa_float_denorm_mode_32 3
		.amdhsa_float_denorm_mode_16_64 3
		.amdhsa_dx10_clamp 1
		.amdhsa_ieee_mode 1
		.amdhsa_fp16_overflow 0
		.amdhsa_workgroup_processor_mode 1
		.amdhsa_memory_ordered 1
		.amdhsa_forward_progress 1
		.amdhsa_shared_vgpr_count 0
		.amdhsa_exception_fp_ieee_invalid_op 0
		.amdhsa_exception_fp_denorm_src 0
		.amdhsa_exception_fp_ieee_div_zero 0
		.amdhsa_exception_fp_ieee_overflow 0
		.amdhsa_exception_fp_ieee_underflow 0
		.amdhsa_exception_fp_ieee_inexact 0
		.amdhsa_exception_int_div_zero 0
	.end_amdhsa_kernel
	.section	.text._ZN9rocsparseL19gebsrmvn_2xn_kernelILj128ELj11ELj4E21rocsparse_complex_numIfEEEvi20rocsparse_direction_NS_24const_host_device_scalarIT2_EEPKiS8_PKS5_SA_S6_PS5_21rocsparse_index_base_b,"axG",@progbits,_ZN9rocsparseL19gebsrmvn_2xn_kernelILj128ELj11ELj4E21rocsparse_complex_numIfEEEvi20rocsparse_direction_NS_24const_host_device_scalarIT2_EEPKiS8_PKS5_SA_S6_PS5_21rocsparse_index_base_b,comdat
.Lfunc_end197:
	.size	_ZN9rocsparseL19gebsrmvn_2xn_kernelILj128ELj11ELj4E21rocsparse_complex_numIfEEEvi20rocsparse_direction_NS_24const_host_device_scalarIT2_EEPKiS8_PKS5_SA_S6_PS5_21rocsparse_index_base_b, .Lfunc_end197-_ZN9rocsparseL19gebsrmvn_2xn_kernelILj128ELj11ELj4E21rocsparse_complex_numIfEEEvi20rocsparse_direction_NS_24const_host_device_scalarIT2_EEPKiS8_PKS5_SA_S6_PS5_21rocsparse_index_base_b
                                        ; -- End function
	.set _ZN9rocsparseL19gebsrmvn_2xn_kernelILj128ELj11ELj4E21rocsparse_complex_numIfEEEvi20rocsparse_direction_NS_24const_host_device_scalarIT2_EEPKiS8_PKS5_SA_S6_PS5_21rocsparse_index_base_b.num_vgpr, 68
	.set _ZN9rocsparseL19gebsrmvn_2xn_kernelILj128ELj11ELj4E21rocsparse_complex_numIfEEEvi20rocsparse_direction_NS_24const_host_device_scalarIT2_EEPKiS8_PKS5_SA_S6_PS5_21rocsparse_index_base_b.num_agpr, 0
	.set _ZN9rocsparseL19gebsrmvn_2xn_kernelILj128ELj11ELj4E21rocsparse_complex_numIfEEEvi20rocsparse_direction_NS_24const_host_device_scalarIT2_EEPKiS8_PKS5_SA_S6_PS5_21rocsparse_index_base_b.numbered_sgpr, 16
	.set _ZN9rocsparseL19gebsrmvn_2xn_kernelILj128ELj11ELj4E21rocsparse_complex_numIfEEEvi20rocsparse_direction_NS_24const_host_device_scalarIT2_EEPKiS8_PKS5_SA_S6_PS5_21rocsparse_index_base_b.num_named_barrier, 0
	.set _ZN9rocsparseL19gebsrmvn_2xn_kernelILj128ELj11ELj4E21rocsparse_complex_numIfEEEvi20rocsparse_direction_NS_24const_host_device_scalarIT2_EEPKiS8_PKS5_SA_S6_PS5_21rocsparse_index_base_b.private_seg_size, 0
	.set _ZN9rocsparseL19gebsrmvn_2xn_kernelILj128ELj11ELj4E21rocsparse_complex_numIfEEEvi20rocsparse_direction_NS_24const_host_device_scalarIT2_EEPKiS8_PKS5_SA_S6_PS5_21rocsparse_index_base_b.uses_vcc, 1
	.set _ZN9rocsparseL19gebsrmvn_2xn_kernelILj128ELj11ELj4E21rocsparse_complex_numIfEEEvi20rocsparse_direction_NS_24const_host_device_scalarIT2_EEPKiS8_PKS5_SA_S6_PS5_21rocsparse_index_base_b.uses_flat_scratch, 0
	.set _ZN9rocsparseL19gebsrmvn_2xn_kernelILj128ELj11ELj4E21rocsparse_complex_numIfEEEvi20rocsparse_direction_NS_24const_host_device_scalarIT2_EEPKiS8_PKS5_SA_S6_PS5_21rocsparse_index_base_b.has_dyn_sized_stack, 0
	.set _ZN9rocsparseL19gebsrmvn_2xn_kernelILj128ELj11ELj4E21rocsparse_complex_numIfEEEvi20rocsparse_direction_NS_24const_host_device_scalarIT2_EEPKiS8_PKS5_SA_S6_PS5_21rocsparse_index_base_b.has_recursion, 0
	.set _ZN9rocsparseL19gebsrmvn_2xn_kernelILj128ELj11ELj4E21rocsparse_complex_numIfEEEvi20rocsparse_direction_NS_24const_host_device_scalarIT2_EEPKiS8_PKS5_SA_S6_PS5_21rocsparse_index_base_b.has_indirect_call, 0
	.section	.AMDGPU.csdata,"",@progbits
; Kernel info:
; codeLenInByte = 4008
; TotalNumSgprs: 18
; NumVgprs: 68
; ScratchSize: 0
; MemoryBound: 0
; FloatMode: 240
; IeeeMode: 1
; LDSByteSize: 0 bytes/workgroup (compile time only)
; SGPRBlocks: 0
; VGPRBlocks: 8
; NumSGPRsForWavesPerEU: 18
; NumVGPRsForWavesPerEU: 68
; Occupancy: 12
; WaveLimiterHint : 1
; COMPUTE_PGM_RSRC2:SCRATCH_EN: 0
; COMPUTE_PGM_RSRC2:USER_SGPR: 6
; COMPUTE_PGM_RSRC2:TRAP_HANDLER: 0
; COMPUTE_PGM_RSRC2:TGID_X_EN: 1
; COMPUTE_PGM_RSRC2:TGID_Y_EN: 0
; COMPUTE_PGM_RSRC2:TGID_Z_EN: 0
; COMPUTE_PGM_RSRC2:TIDIG_COMP_CNT: 0
	.section	.text._ZN9rocsparseL19gebsrmvn_2xn_kernelILj128ELj11ELj8E21rocsparse_complex_numIfEEEvi20rocsparse_direction_NS_24const_host_device_scalarIT2_EEPKiS8_PKS5_SA_S6_PS5_21rocsparse_index_base_b,"axG",@progbits,_ZN9rocsparseL19gebsrmvn_2xn_kernelILj128ELj11ELj8E21rocsparse_complex_numIfEEEvi20rocsparse_direction_NS_24const_host_device_scalarIT2_EEPKiS8_PKS5_SA_S6_PS5_21rocsparse_index_base_b,comdat
	.globl	_ZN9rocsparseL19gebsrmvn_2xn_kernelILj128ELj11ELj8E21rocsparse_complex_numIfEEEvi20rocsparse_direction_NS_24const_host_device_scalarIT2_EEPKiS8_PKS5_SA_S6_PS5_21rocsparse_index_base_b ; -- Begin function _ZN9rocsparseL19gebsrmvn_2xn_kernelILj128ELj11ELj8E21rocsparse_complex_numIfEEEvi20rocsparse_direction_NS_24const_host_device_scalarIT2_EEPKiS8_PKS5_SA_S6_PS5_21rocsparse_index_base_b
	.p2align	8
	.type	_ZN9rocsparseL19gebsrmvn_2xn_kernelILj128ELj11ELj8E21rocsparse_complex_numIfEEEvi20rocsparse_direction_NS_24const_host_device_scalarIT2_EEPKiS8_PKS5_SA_S6_PS5_21rocsparse_index_base_b,@function
_ZN9rocsparseL19gebsrmvn_2xn_kernelILj128ELj11ELj8E21rocsparse_complex_numIfEEEvi20rocsparse_direction_NS_24const_host_device_scalarIT2_EEPKiS8_PKS5_SA_S6_PS5_21rocsparse_index_base_b: ; @_ZN9rocsparseL19gebsrmvn_2xn_kernelILj128ELj11ELj8E21rocsparse_complex_numIfEEEvi20rocsparse_direction_NS_24const_host_device_scalarIT2_EEPKiS8_PKS5_SA_S6_PS5_21rocsparse_index_base_b
; %bb.0:
	s_clause 0x2
	s_load_dwordx2 s[2:3], s[4:5], 0x40
	s_load_dwordx2 s[0:1], s[4:5], 0x8
	;; [unrolled: 1-line block ×3, first 2 shown]
	s_add_u32 s7, s4, 8
	s_addc_u32 s10, s5, 0
	s_add_u32 s11, s4, 48
	s_addc_u32 s12, s5, 0
	s_waitcnt lgkmcnt(0)
	s_bitcmp1_b32 s3, 0
	s_cselect_b32 s0, s7, s0
	s_cselect_b32 s1, s10, s1
	v_mov_b32_e32 v1, s0
	v_mov_b32_e32 v2, s1
	s_cselect_b32 s0, s11, s8
	s_cselect_b32 s1, s12, s9
	v_mov_b32_e32 v3, s0
	v_mov_b32_e32 v4, s1
	flat_load_dwordx2 v[1:2], v[1:2]
	flat_load_dwordx2 v[3:4], v[3:4]
	s_waitcnt vmcnt(1) lgkmcnt(1)
	v_cmp_eq_f32_e32 vcc_lo, 0, v1
	v_cmp_eq_f32_e64 s0, 0, v2
	s_and_b32 s3, vcc_lo, s0
	s_mov_b32 s0, -1
	s_and_saveexec_b32 s1, s3
	s_cbranch_execz .LBB198_2
; %bb.1:
	s_waitcnt vmcnt(0) lgkmcnt(0)
	v_cmp_neq_f32_e32 vcc_lo, 1.0, v3
	v_cmp_neq_f32_e64 s0, 0, v4
	s_or_b32 s0, vcc_lo, s0
	s_orn2_b32 s0, s0, exec_lo
.LBB198_2:
	s_or_b32 exec_lo, exec_lo, s1
	s_and_saveexec_b32 s1, s0
	s_cbranch_execz .LBB198_21
; %bb.3:
	s_load_dwordx2 s[0:1], s[4:5], 0x0
	v_lshrrev_b32_e32 v5, 3, v0
	v_lshl_or_b32 v5, s6, 4, v5
	s_waitcnt lgkmcnt(0)
	v_cmp_gt_i32_e32 vcc_lo, s0, v5
	s_and_b32 exec_lo, exec_lo, vcc_lo
	s_cbranch_execz .LBB198_21
; %bb.4:
	s_load_dwordx8 s[8:15], s[4:5], 0x10
	v_ashrrev_i32_e32 v6, 31, v5
	v_and_b32_e32 v0, 7, v0
	s_cmp_lg_u32 s1, 0
	v_lshlrev_b64 v[6:7], 2, v[5:6]
	s_waitcnt lgkmcnt(0)
	v_add_co_u32 v6, vcc_lo, s8, v6
	v_add_co_ci_u32_e64 v7, null, s9, v7, vcc_lo
	global_load_dwordx2 v[6:7], v[6:7], off
	s_waitcnt vmcnt(0)
	v_subrev_nc_u32_e32 v6, s2, v6
	v_subrev_nc_u32_e32 v16, s2, v7
	v_add_nc_u32_e32 v6, v6, v0
	v_cmp_lt_i32_e64 s0, v6, v16
	s_cbranch_scc0 .LBB198_10
; %bb.5:
	v_mov_b32_e32 v14, 0
	v_mov_b32_e32 v17, 0
	v_mov_b32_e32 v18, 0
	v_mov_b32_e32 v15, 0
	s_and_saveexec_b32 s3, s0
	s_cbranch_execz .LBB198_9
; %bb.6:
	v_mad_u64_u32 v[7:8], null, v6, 22, 20
	v_mov_b32_e32 v10, 0
	v_mov_b32_e32 v11, v6
	;; [unrolled: 1-line block ×6, first 2 shown]
	s_mov_b32 s6, 0
.LBB198_7:                              ; =>This Inner Loop Header: Depth=1
	v_ashrrev_i32_e32 v12, 31, v11
	v_subrev_nc_u32_e32 v9, 20, v7
	v_mov_b32_e32 v8, v10
	v_mov_b32_e32 v13, v10
	v_lshlrev_b64 v[23:24], 2, v[11:12]
	v_lshlrev_b64 v[19:20], 3, v[9:10]
	v_subrev_nc_u32_e32 v9, 18, v7
	v_lshlrev_b64 v[21:22], 3, v[7:8]
	v_add_nc_u32_e32 v11, 8, v11
	v_add_co_u32 v23, s1, s10, v23
	v_add_co_ci_u32_e64 v24, null, s11, v24, s1
	v_lshlrev_b64 v[8:9], 3, v[9:10]
	v_add_co_u32 v47, vcc_lo, s12, v21
	global_load_dword v12, v[23:24], off
	v_add_co_u32 v19, s1, s12, v19
	v_add_co_ci_u32_e64 v48, null, s13, v22, vcc_lo
	v_add_co_u32 v8, vcc_lo, s12, v8
	v_add_co_ci_u32_e64 v20, null, s13, v20, s1
	v_add_co_ci_u32_e64 v9, null, s13, v9, vcc_lo
	s_clause 0x1
	global_load_dwordx4 v[19:22], v[19:20], off
	global_load_dwordx4 v[23:26], v[8:9], off
	s_waitcnt vmcnt(2)
	v_subrev_nc_u32_e32 v8, s2, v12
	v_mul_lo_u32 v12, v8, 11
	v_lshlrev_b64 v[27:28], 3, v[12:13]
	v_add_nc_u32_e32 v9, 1, v12
	v_lshlrev_b64 v[29:30], 3, v[9:10]
	v_add_co_u32 v27, vcc_lo, s14, v27
	v_add_co_ci_u32_e64 v28, null, s15, v28, vcc_lo
	v_add_nc_u32_e32 v9, -16, v7
	global_load_dwordx2 v[49:50], v[27:28], off
	v_add_co_u32 v27, vcc_lo, s14, v29
	v_add_co_ci_u32_e64 v28, null, s15, v30, vcc_lo
	v_lshlrev_b64 v[31:32], 3, v[9:10]
	v_add_nc_u32_e32 v9, 2, v12
	global_load_dwordx2 v[51:52], v[27:28], off
	v_lshlrev_b64 v[29:30], 3, v[9:10]
	v_add_co_u32 v27, vcc_lo, s12, v31
	v_add_co_ci_u32_e64 v28, null, s13, v32, vcc_lo
	v_add_nc_u32_e32 v9, -14, v7
	v_add_co_u32 v33, vcc_lo, s14, v29
	v_add_co_ci_u32_e64 v34, null, s15, v30, vcc_lo
	global_load_dwordx4 v[27:30], v[27:28], off
	v_lshlrev_b64 v[31:32], 3, v[9:10]
	v_add_nc_u32_e32 v9, 3, v12
	global_load_dwordx2 v[53:54], v[33:34], off
	v_lshlrev_b64 v[35:36], 3, v[9:10]
	v_add_nc_u32_e32 v9, -12, v7
	v_add_co_u32 v31, vcc_lo, s12, v31
	v_add_co_ci_u32_e64 v32, null, s13, v32, vcc_lo
	v_lshlrev_b64 v[37:38], 3, v[9:10]
	v_add_nc_u32_e32 v9, 4, v12
	v_add_co_u32 v35, vcc_lo, s14, v35
	v_add_co_ci_u32_e64 v36, null, s15, v36, vcc_lo
	v_lshlrev_b64 v[39:40], 3, v[9:10]
	v_add_nc_u32_e32 v9, -10, v7
	global_load_dwordx2 v[55:56], v[35:36], off
	global_load_dwordx4 v[31:34], v[31:32], off
	v_add_co_u32 v35, vcc_lo, s12, v37
	v_lshlrev_b64 v[41:42], 3, v[9:10]
	v_add_nc_u32_e32 v9, 5, v12
	v_add_co_ci_u32_e64 v36, null, s13, v38, vcc_lo
	v_add_co_u32 v39, vcc_lo, s14, v39
	v_add_co_ci_u32_e64 v40, null, s15, v40, vcc_lo
	v_lshlrev_b64 v[43:44], 3, v[9:10]
	v_add_nc_u32_e32 v9, -8, v7
	global_load_dwordx4 v[35:38], v[35:36], off
	global_load_dwordx2 v[57:58], v[39:40], off
	v_add_co_u32 v39, vcc_lo, s12, v41
	v_lshlrev_b64 v[45:46], 3, v[9:10]
	v_add_nc_u32_e32 v9, 6, v12
	v_add_co_ci_u32_e64 v40, null, s13, v42, vcc_lo
	v_add_co_u32 v43, vcc_lo, s14, v43
	v_add_co_ci_u32_e64 v44, null, s15, v44, vcc_lo
	v_lshlrev_b64 v[59:60], 3, v[9:10]
	v_add_nc_u32_e32 v9, -6, v7
	global_load_dwordx4 v[39:42], v[39:40], off
	global_load_dwordx2 v[61:62], v[43:44], off
	v_add_co_u32 v43, vcc_lo, s12, v45
	v_lshlrev_b64 v[63:64], 3, v[9:10]
	v_add_nc_u32_e32 v9, 7, v12
	v_add_co_ci_u32_e64 v44, null, s13, v46, vcc_lo
	v_add_co_u32 v59, vcc_lo, s14, v59
	v_add_co_ci_u32_e64 v60, null, s15, v60, vcc_lo
	global_load_dwordx4 v[43:46], v[43:44], off
	global_load_dwordx2 v[59:60], v[59:60], off
	s_waitcnt vmcnt(11)
	v_fmac_f32_e32 v17, v19, v49
	v_fmac_f32_e32 v18, v21, v49
	;; [unrolled: 1-line block ×4, first 2 shown]
	v_fma_f32 v8, -v20, v50, v17
	v_fma_f32 v13, -v22, v50, v18
	v_lshlrev_b64 v[17:18], 3, v[9:10]
	v_fmac_f32_e32 v14, v19, v50
	v_add_nc_u32_e32 v9, -4, v7
	v_fmac_f32_e32 v15, v21, v50
	v_add_co_u32 v19, vcc_lo, s12, v63
	v_add_co_ci_u32_e64 v20, null, s13, v64, vcc_lo
	v_lshlrev_b64 v[21:22], 3, v[9:10]
	v_add_nc_u32_e32 v9, 8, v12
	v_add_co_u32 v49, vcc_lo, s14, v17
	s_waitcnt vmcnt(10)
	v_fmac_f32_e32 v8, v23, v51
	v_fmac_f32_e32 v14, v24, v51
	v_add_co_ci_u32_e64 v50, null, s15, v18, vcc_lo
	v_fmac_f32_e32 v13, v25, v51
	v_fmac_f32_e32 v15, v26, v51
	v_fma_f32 v8, -v24, v52, v8
	v_fmac_f32_e32 v14, v23, v52
	v_lshlrev_b64 v[23:24], 3, v[9:10]
	v_add_nc_u32_e32 v9, -2, v7
	global_load_dwordx4 v[17:20], v[19:20], off
	v_fma_f32 v67, -v26, v52, v13
	v_fmac_f32_e32 v15, v25, v52
	global_load_dwordx2 v[51:52], v[49:50], off
	v_add_co_u32 v21, vcc_lo, s12, v21
	v_lshlrev_b64 v[25:26], 3, v[9:10]
	v_add_nc_u32_e32 v9, 9, v12
	v_add_co_ci_u32_e64 v22, null, s13, v22, vcc_lo
	v_add_co_u32 v49, vcc_lo, s14, v23
	v_add_co_ci_u32_e64 v50, null, s15, v24, vcc_lo
	v_lshlrev_b64 v[63:64], 3, v[9:10]
	s_waitcnt vmcnt(10)
	v_fmac_f32_e32 v15, v30, v53
	global_load_dwordx4 v[21:24], v[21:22], off
	global_load_dwordx2 v[65:66], v[49:50], off
	v_fmac_f32_e32 v67, v29, v53
	v_add_nc_u32_e32 v9, 10, v12
	v_add_co_u32 v12, vcc_lo, s12, v25
	v_fmac_f32_e32 v8, v27, v53
	v_add_co_ci_u32_e64 v13, null, s13, v26, vcc_lo
	v_fmac_f32_e32 v15, v29, v54
	v_add_co_u32 v29, vcc_lo, s14, v63
	v_fmac_f32_e32 v14, v28, v53
	v_fma_f32 v67, -v30, v54, v67
	v_add_co_ci_u32_e64 v30, null, s15, v64, vcc_lo
	v_fma_f32 v53, -v28, v54, v8
	v_lshlrev_b64 v[8:9], 3, v[9:10]
	v_fmac_f32_e32 v14, v27, v54
	global_load_dwordx4 v[25:28], v[12:13], off
	global_load_dwordx2 v[12:13], v[29:30], off
	s_waitcnt vmcnt(12)
	v_fmac_f32_e32 v67, v33, v55
	v_fmac_f32_e32 v53, v31, v55
	;; [unrolled: 1-line block ×3, first 2 shown]
	v_add_co_u32 v8, vcc_lo, s14, v8
	v_add_co_ci_u32_e64 v9, null, s15, v9, vcc_lo
	global_load_dwordx4 v[47:50], v[47:48], off
	global_load_dwordx2 v[8:9], v[8:9], off
	v_fmac_f32_e32 v14, v32, v55
	v_fma_f32 v29, -v32, v56, v53
	v_fma_f32 v30, -v34, v56, v67
	v_fmac_f32_e32 v15, v33, v56
	v_cmp_ge_i32_e32 vcc_lo, v11, v16
	v_fmac_f32_e32 v14, v31, v56
	s_waitcnt vmcnt(12)
	v_fmac_f32_e32 v29, v35, v57
	v_fmac_f32_e32 v30, v37, v57
	;; [unrolled: 1-line block ×3, first 2 shown]
	v_add_nc_u32_e32 v7, 0xb0, v7
	v_fmac_f32_e32 v14, v36, v57
	v_fma_f32 v29, -v36, v58, v29
	v_fma_f32 v30, -v38, v58, v30
	v_fmac_f32_e32 v15, v37, v58
	s_or_b32 s6, vcc_lo, s6
	v_fmac_f32_e32 v14, v35, v58
	s_waitcnt vmcnt(10)
	v_fmac_f32_e32 v29, v39, v61
	v_fmac_f32_e32 v30, v41, v61
	;; [unrolled: 1-line block ×4, first 2 shown]
	v_fma_f32 v29, -v40, v62, v29
	v_fma_f32 v30, -v42, v62, v30
	v_fmac_f32_e32 v15, v41, v62
	v_fmac_f32_e32 v14, v39, v62
	s_waitcnt vmcnt(8)
	v_fmac_f32_e32 v29, v43, v59
	v_fmac_f32_e32 v30, v45, v59
	;; [unrolled: 1-line block ×4, first 2 shown]
	v_fma_f32 v29, -v44, v60, v29
	v_fma_f32 v30, -v46, v60, v30
	v_fmac_f32_e32 v15, v45, v60
	v_fmac_f32_e32 v14, v43, v60
	s_waitcnt vmcnt(6)
	v_fmac_f32_e32 v29, v17, v51
	v_fmac_f32_e32 v14, v18, v51
	v_fmac_f32_e32 v30, v19, v51
	v_fmac_f32_e32 v15, v20, v51
	v_fma_f32 v18, -v18, v52, v29
	v_fmac_f32_e32 v14, v17, v52
	v_fma_f32 v17, -v20, v52, v30
	v_fmac_f32_e32 v15, v19, v52
	s_waitcnt vmcnt(4)
	v_fmac_f32_e32 v18, v21, v65
	v_fmac_f32_e32 v14, v22, v65
	v_fmac_f32_e32 v17, v23, v65
	v_fmac_f32_e32 v15, v24, v65
	v_fma_f32 v18, -v22, v66, v18
	v_fmac_f32_e32 v14, v21, v66
	v_fma_f32 v17, -v24, v66, v17
	;; [unrolled: 9-line block ×4, first 2 shown]
	v_fmac_f32_e32 v15, v49, v9
	s_andn2_b32 exec_lo, exec_lo, s6
	s_cbranch_execnz .LBB198_7
; %bb.8:
	s_or_b32 exec_lo, exec_lo, s6
.LBB198_9:
	s_or_b32 exec_lo, exec_lo, s3
	s_cbranch_execz .LBB198_11
	s_branch .LBB198_16
.LBB198_10:
                                        ; implicit-def: $vgpr14
                                        ; implicit-def: $vgpr17
                                        ; implicit-def: $vgpr18
                                        ; implicit-def: $vgpr15
.LBB198_11:
	v_mov_b32_e32 v14, 0
	v_mov_b32_e32 v17, 0
	;; [unrolled: 1-line block ×4, first 2 shown]
	s_and_saveexec_b32 s1, s0
	s_cbranch_execz .LBB198_15
; %bb.12:
	v_mad_u64_u32 v[8:9], null, v6, 22, 21
	v_mov_b32_e32 v11, 0
	v_mov_b32_e32 v14, 0
	;; [unrolled: 1-line block ×5, first 2 shown]
	s_mov_b32 s0, 0
.LBB198_13:                             ; =>This Inner Loop Header: Depth=1
	v_ashrrev_i32_e32 v7, 31, v6
	v_subrev_nc_u32_e32 v10, 21, v8
	v_add_nc_u32_e32 v19, -10, v8
	v_mov_b32_e32 v20, v11
	v_mov_b32_e32 v9, v11
	v_lshlrev_b64 v[21:22], 2, v[6:7]
	v_lshlrev_b64 v[23:24], 3, v[10:11]
	v_mov_b32_e32 v13, v11
	v_lshlrev_b64 v[19:20], 3, v[19:20]
	v_lshlrev_b64 v[9:10], 3, v[8:9]
	v_add_nc_u32_e32 v6, 8, v6
	v_add_co_u32 v21, vcc_lo, s10, v21
	v_add_co_ci_u32_e64 v22, null, s11, v22, vcc_lo
	v_add_co_u32 v23, vcc_lo, s12, v23
	v_add_co_ci_u32_e64 v24, null, s13, v24, vcc_lo
	global_load_dword v7, v[21:22], off
	v_add_co_u32 v19, vcc_lo, s12, v19
	v_add_co_ci_u32_e64 v20, null, s13, v20, vcc_lo
	v_add_co_u32 v25, vcc_lo, s12, v9
	v_add_co_ci_u32_e64 v26, null, s13, v10, vcc_lo
	s_waitcnt vmcnt(0)
	v_subrev_nc_u32_e32 v7, s2, v7
	v_mul_lo_u32 v12, v7, 11
	v_add_nc_u32_e32 v10, 1, v12
	v_lshlrev_b64 v[21:22], 3, v[12:13]
	v_lshlrev_b64 v[27:28], 3, v[10:11]
	v_add_nc_u32_e32 v10, -9, v8
	v_add_co_u32 v21, vcc_lo, s14, v21
	v_add_co_ci_u32_e64 v22, null, s15, v22, vcc_lo
	v_lshlrev_b64 v[29:30], 3, v[10:11]
	v_subrev_nc_u32_e32 v10, 19, v8
	v_add_co_u32 v27, vcc_lo, s14, v27
	v_add_co_ci_u32_e64 v28, null, s15, v28, vcc_lo
	v_lshlrev_b64 v[31:32], 3, v[10:11]
	v_add_nc_u32_e32 v10, 2, v12
	v_add_co_u32 v29, vcc_lo, s12, v29
	v_add_co_ci_u32_e64 v30, null, s13, v30, vcc_lo
	v_lshlrev_b64 v[33:34], 3, v[10:11]
	v_add_nc_u32_e32 v10, -8, v8
	v_add_co_u32 v31, vcc_lo, s12, v31
	v_add_co_ci_u32_e64 v32, null, s13, v32, vcc_lo
	v_lshlrev_b64 v[35:36], 3, v[10:11]
	v_subrev_nc_u32_e32 v10, 18, v8
	v_add_co_u32 v33, vcc_lo, s14, v33
	v_add_co_ci_u32_e64 v34, null, s15, v34, vcc_lo
	v_lshlrev_b64 v[37:38], 3, v[10:11]
	v_add_nc_u32_e32 v10, 3, v12
	v_add_co_u32 v35, vcc_lo, s12, v35
	v_add_co_ci_u32_e64 v36, null, s13, v36, vcc_lo
	;; [unrolled: 12-line block ×3, first 2 shown]
	v_lshlrev_b64 v[45:46], 3, v[10:11]
	v_add_nc_u32_e32 v10, -6, v8
	v_add_co_u32 v43, vcc_lo, s12, v43
	v_add_co_ci_u32_e64 v44, null, s13, v44, vcc_lo
	v_lshlrev_b64 v[47:48], 3, v[10:11]
	v_add_nc_u32_e32 v10, -16, v8
	v_add_co_u32 v45, vcc_lo, s14, v45
	v_add_co_ci_u32_e64 v46, null, s15, v46, vcc_lo
	v_lshlrev_b64 v[49:50], 3, v[10:11]
	v_add_nc_u32_e32 v10, 5, v12
	v_add_co_u32 v47, vcc_lo, s12, v47
	v_add_co_ci_u32_e64 v48, null, s13, v48, vcc_lo
	v_lshlrev_b64 v[51:52], 3, v[10:11]
	v_add_nc_u32_e32 v10, -5, v8
	v_add_co_u32 v49, vcc_lo, s12, v49
	v_add_co_ci_u32_e64 v50, null, s13, v50, vcc_lo
	v_lshlrev_b64 v[53:54], 3, v[10:11]
	v_add_nc_u32_e32 v10, -15, v8
	v_add_co_u32 v51, vcc_lo, s14, v51
	v_add_co_ci_u32_e64 v52, null, s15, v52, vcc_lo
	v_lshlrev_b64 v[55:56], 3, v[10:11]
	v_add_nc_u32_e32 v10, 6, v12
	v_add_co_u32 v53, vcc_lo, s12, v53
	v_add_co_ci_u32_e64 v54, null, s13, v54, vcc_lo
	;; [unrolled: 12-line block ×3, first 2 shown]
	v_lshlrev_b64 v[9:10], 3, v[10:11]
	v_add_co_u32 v61, vcc_lo, s12, v61
	v_add_co_ci_u32_e64 v62, null, s13, v62, vcc_lo
	v_add_co_u32 v63, vcc_lo, s14, v9
	v_add_co_ci_u32_e64 v64, null, s15, v10, vcc_lo
	global_load_dwordx2 v[9:10], v[19:20], off
	global_load_dwordx2 v[65:66], v[21:22], off
	s_waitcnt vmcnt(0)
	v_fmac_f32_e32 v18, v9, v65
	v_fmac_f32_e32 v15, v10, v65
	v_fma_f32 v7, -v10, v66, v18
	global_load_dwordx4 v[18:21], v[23:24], off
	global_load_dwordx2 v[22:23], v[27:28], off
	s_clause 0x1
	global_load_dwordx2 v[27:28], v[29:30], off
	global_load_dwordx2 v[29:30], v[31:32], off
	v_add_nc_u32_e32 v10, -3, v8
	v_fmac_f32_e32 v15, v9, v66
	s_waitcnt vmcnt(3)
	v_fmac_f32_e32 v14, v19, v65
	v_fmac_f32_e32 v17, v18, v65
	s_waitcnt vmcnt(1)
	v_fmac_f32_e32 v7, v27, v22
	v_fmac_f32_e32 v15, v28, v22
	;; [unrolled: 1-line block ×3, first 2 shown]
	v_fma_f32 v9, -v19, v66, v17
	v_lshlrev_b64 v[17:18], 3, v[10:11]
	v_add_nc_u32_e32 v10, -13, v8
	v_fma_f32 v7, -v28, v23, v7
	v_fmac_f32_e32 v14, v21, v22
	v_fmac_f32_e32 v9, v20, v22
	;; [unrolled: 1-line block ×3, first 2 shown]
	v_add_co_u32 v17, vcc_lo, s12, v17
	v_fmac_f32_e32 v14, v20, v23
	v_lshlrev_b64 v[19:20], 3, v[10:11]
	v_add_nc_u32_e32 v10, 8, v12
	v_add_co_ci_u32_e64 v18, null, s13, v18, vcc_lo
	v_fma_f32 v13, -v21, v23, v9
	v_lshlrev_b64 v[31:32], 3, v[10:11]
	v_add_co_u32 v19, vcc_lo, s12, v19
	v_add_co_ci_u32_e64 v20, null, s13, v20, vcc_lo
	v_add_nc_u32_e32 v10, -2, v8
	v_add_co_u32 v23, vcc_lo, s14, v31
	v_add_co_ci_u32_e64 v24, null, s15, v32, vcc_lo
	global_load_dwordx2 v[31:32], v[33:34], off
	s_clause 0x1
	global_load_dwordx2 v[33:34], v[35:36], off
	global_load_dwordx2 v[35:36], v[37:38], off
	v_lshlrev_b64 v[21:22], 3, v[10:11]
	v_add_nc_u32_e32 v10, -12, v8
	v_lshlrev_b64 v[9:10], 3, v[10:11]
	v_add_co_u32 v21, vcc_lo, s12, v21
	v_add_co_ci_u32_e64 v22, null, s13, v22, vcc_lo
	v_add_co_u32 v27, vcc_lo, s12, v9
	v_add_co_ci_u32_e64 v28, null, s13, v10, vcc_lo
	v_add_nc_u32_e32 v10, 9, v12
	s_waitcnt vmcnt(2)
	v_fmac_f32_e32 v13, v29, v31
	v_fmac_f32_e32 v14, v30, v31
	s_waitcnt vmcnt(1)
	v_fmac_f32_e32 v7, v33, v31
	v_fmac_f32_e32 v15, v34, v31
	v_fma_f32 v65, -v30, v32, v13
	v_fmac_f32_e32 v14, v29, v32
	v_lshlrev_b64 v[29:30], 3, v[10:11]
	v_add_nc_u32_e32 v10, -1, v8
	v_fma_f32 v7, -v34, v32, v7
	v_fmac_f32_e32 v15, v33, v32
	v_lshlrev_b64 v[31:32], 3, v[10:11]
	v_add_nc_u32_e32 v10, -11, v8
	v_add_co_u32 v29, vcc_lo, s14, v29
	v_add_co_ci_u32_e64 v30, null, s15, v30, vcc_lo
	v_lshlrev_b64 v[33:34], 3, v[10:11]
	v_add_nc_u32_e32 v10, 10, v12
	v_add_co_u32 v12, vcc_lo, s12, v31
	v_add_co_ci_u32_e64 v13, null, s13, v32, vcc_lo
	v_lshlrev_b64 v[9:10], 3, v[10:11]
	v_add_co_u32 v31, vcc_lo, s12, v33
	v_add_co_ci_u32_e64 v32, null, s13, v34, vcc_lo
	v_add_nc_u32_e32 v8, 0xb0, v8
	v_add_co_u32 v9, vcc_lo, s14, v9
	v_add_co_ci_u32_e64 v10, null, s15, v10, vcc_lo
	global_load_dwordx2 v[33:34], v[39:40], off
	s_clause 0x1
	global_load_dwordx2 v[37:38], v[41:42], off
	global_load_dwordx2 v[39:40], v[43:44], off
	global_load_dwordx2 v[41:42], v[45:46], off
	s_clause 0x1
	global_load_dwordx2 v[43:44], v[47:48], off
	global_load_dwordx2 v[45:46], v[49:50], off
	;; [unrolled: 4-line block ×7, first 2 shown]
	global_load_dwordx2 v[31:32], v[31:32], off
	global_load_dwordx2 v[9:10], v[9:10], off
	v_cmp_ge_i32_e32 vcc_lo, v6, v16
	s_or_b32 s0, vcc_lo, s0
	s_waitcnt vmcnt(22)
	v_fmac_f32_e32 v65, v35, v33
	v_fmac_f32_e32 v14, v36, v33
	s_waitcnt vmcnt(21)
	v_fmac_f32_e32 v7, v37, v33
	v_fmac_f32_e32 v15, v38, v33
	v_fma_f32 v33, -v36, v34, v65
	v_fmac_f32_e32 v14, v35, v34
	v_fma_f32 v7, -v38, v34, v7
	v_fmac_f32_e32 v15, v37, v34
	s_waitcnt vmcnt(19)
	v_fmac_f32_e32 v33, v39, v41
	v_fmac_f32_e32 v14, v40, v41
	s_waitcnt vmcnt(18)
	v_fmac_f32_e32 v7, v43, v41
	v_fmac_f32_e32 v15, v44, v41
	v_fma_f32 v33, -v40, v42, v33
	v_fmac_f32_e32 v14, v39, v42
	v_fma_f32 v7, -v44, v42, v7
	v_fmac_f32_e32 v15, v43, v42
	;; [unrolled: 10-line block ×7, first 2 shown]
	s_waitcnt vmcnt(0)
	v_fmac_f32_e32 v17, v31, v9
	v_fmac_f32_e32 v14, v32, v9
	;; [unrolled: 1-line block ×4, first 2 shown]
	v_fma_f32 v17, -v32, v10, v17
	v_fmac_f32_e32 v14, v31, v10
	v_fma_f32 v18, -v26, v10, v7
	v_fmac_f32_e32 v15, v25, v10
	s_andn2_b32 exec_lo, exec_lo, s0
	s_cbranch_execnz .LBB198_13
; %bb.14:
	s_or_b32 exec_lo, exec_lo, s0
.LBB198_15:
	s_or_b32 exec_lo, exec_lo, s1
.LBB198_16:
	v_mbcnt_lo_u32_b32 v6, -1, 0
	v_xor_b32_e32 v7, 4, v6
	v_xor_b32_e32 v11, 2, v6
	v_cmp_gt_i32_e32 vcc_lo, 32, v7
	v_cndmask_b32_e32 v7, v6, v7, vcc_lo
	v_cmp_gt_i32_e32 vcc_lo, 32, v11
	v_lshlrev_b32_e32 v7, 2, v7
	v_cndmask_b32_e32 v11, v6, v11, vcc_lo
	ds_bpermute_b32 v8, v7, v17
	ds_bpermute_b32 v9, v7, v14
	;; [unrolled: 1-line block ×4, first 2 shown]
	v_lshlrev_b32_e32 v11, 2, v11
	s_waitcnt lgkmcnt(3)
	v_add_f32_e32 v8, v17, v8
	s_waitcnt lgkmcnt(2)
	v_add_f32_e32 v9, v14, v9
	;; [unrolled: 2-line block ×4, first 2 shown]
	v_xor_b32_e32 v15, 1, v6
	ds_bpermute_b32 v12, v11, v8
	ds_bpermute_b32 v13, v11, v9
	;; [unrolled: 1-line block ×4, first 2 shown]
	v_cmp_gt_i32_e32 vcc_lo, 32, v15
	v_cndmask_b32_e32 v6, v6, v15, vcc_lo
	v_cmp_eq_u32_e32 vcc_lo, 7, v0
	v_lshlrev_b32_e32 v15, 2, v6
	s_waitcnt lgkmcnt(3)
	v_add_f32_e32 v8, v8, v12
	s_waitcnt lgkmcnt(2)
	v_add_f32_e32 v9, v9, v13
	;; [unrolled: 2-line block ×4, first 2 shown]
	ds_bpermute_b32 v12, v15, v8
	ds_bpermute_b32 v13, v15, v9
	;; [unrolled: 1-line block ×4, first 2 shown]
	s_and_b32 exec_lo, exec_lo, vcc_lo
	s_cbranch_execz .LBB198_21
; %bb.17:
	s_load_dwordx2 s[2:3], s[4:5], 0x38
	v_cmp_eq_f32_e32 vcc_lo, 0, v3
	v_cmp_eq_f32_e64 s0, 0, v4
	s_waitcnt lgkmcnt(0)
	v_add_f32_e32 v0, v8, v12
	v_add_f32_e32 v8, v9, v13
	;; [unrolled: 1-line block ×4, first 2 shown]
	s_and_b32 s0, vcc_lo, s0
	s_and_saveexec_b32 s1, s0
	s_xor_b32 s0, exec_lo, s1
	s_cbranch_execz .LBB198_19
; %bb.18:
	v_lshlrev_b32_e32 v3, 1, v5
	v_mul_f32_e64 v9, v8, -v2
	v_mul_f32_e32 v10, v1, v8
	v_mul_f32_e64 v11, v7, -v2
	v_mul_f32_e32 v12, v1, v7
	v_ashrrev_i32_e32 v4, 31, v3
	v_fmac_f32_e32 v9, v1, v0
	v_fmac_f32_e32 v10, v2, v0
	;; [unrolled: 1-line block ×4, first 2 shown]
	v_lshlrev_b64 v[3:4], 3, v[3:4]
                                        ; implicit-def: $vgpr5
                                        ; implicit-def: $vgpr8
                                        ; implicit-def: $vgpr7
                                        ; implicit-def: $vgpr6
	v_add_co_u32 v0, vcc_lo, s2, v3
	v_add_co_ci_u32_e64 v1, null, s3, v4, vcc_lo
                                        ; implicit-def: $vgpr3_vgpr4
	global_store_dwordx4 v[0:1], v[9:12], off
                                        ; implicit-def: $vgpr1_vgpr2
                                        ; implicit-def: $vgpr0
.LBB198_19:
	s_andn2_saveexec_b32 s0, s0
	s_cbranch_execz .LBB198_21
; %bb.20:
	v_lshlrev_b32_e32 v9, 1, v5
	v_mul_f32_e64 v5, v8, -v2
	v_mul_f32_e32 v14, v1, v8
	v_mul_f32_e64 v8, v7, -v2
	v_mul_f32_e32 v16, v1, v7
	v_ashrrev_i32_e32 v10, 31, v9
	v_fmac_f32_e32 v5, v1, v0
	v_fmac_f32_e32 v14, v2, v0
	;; [unrolled: 1-line block ×4, first 2 shown]
	v_lshlrev_b64 v[9:10], 3, v[9:10]
	v_add_co_u32 v17, vcc_lo, s2, v9
	v_add_co_ci_u32_e64 v18, null, s3, v10, vcc_lo
	global_load_dwordx4 v[9:12], v[17:18], off
	s_waitcnt vmcnt(0)
	v_fmac_f32_e32 v5, v3, v9
	v_fmac_f32_e32 v14, v4, v9
	;; [unrolled: 1-line block ×4, first 2 shown]
	v_fma_f32 v13, -v4, v10, v5
	v_fmac_f32_e32 v14, v3, v10
	v_fma_f32 v15, -v4, v12, v8
	v_fmac_f32_e32 v16, v3, v12
	global_store_dwordx4 v[17:18], v[13:16], off
.LBB198_21:
	s_endpgm
	.section	.rodata,"a",@progbits
	.p2align	6, 0x0
	.amdhsa_kernel _ZN9rocsparseL19gebsrmvn_2xn_kernelILj128ELj11ELj8E21rocsparse_complex_numIfEEEvi20rocsparse_direction_NS_24const_host_device_scalarIT2_EEPKiS8_PKS5_SA_S6_PS5_21rocsparse_index_base_b
		.amdhsa_group_segment_fixed_size 0
		.amdhsa_private_segment_fixed_size 0
		.amdhsa_kernarg_size 72
		.amdhsa_user_sgpr_count 6
		.amdhsa_user_sgpr_private_segment_buffer 1
		.amdhsa_user_sgpr_dispatch_ptr 0
		.amdhsa_user_sgpr_queue_ptr 0
		.amdhsa_user_sgpr_kernarg_segment_ptr 1
		.amdhsa_user_sgpr_dispatch_id 0
		.amdhsa_user_sgpr_flat_scratch_init 0
		.amdhsa_user_sgpr_private_segment_size 0
		.amdhsa_wavefront_size32 1
		.amdhsa_uses_dynamic_stack 0
		.amdhsa_system_sgpr_private_segment_wavefront_offset 0
		.amdhsa_system_sgpr_workgroup_id_x 1
		.amdhsa_system_sgpr_workgroup_id_y 0
		.amdhsa_system_sgpr_workgroup_id_z 0
		.amdhsa_system_sgpr_workgroup_info 0
		.amdhsa_system_vgpr_workitem_id 0
		.amdhsa_next_free_vgpr 68
		.amdhsa_next_free_sgpr 16
		.amdhsa_reserve_vcc 1
		.amdhsa_reserve_flat_scratch 0
		.amdhsa_float_round_mode_32 0
		.amdhsa_float_round_mode_16_64 0
		.amdhsa_float_denorm_mode_32 3
		.amdhsa_float_denorm_mode_16_64 3
		.amdhsa_dx10_clamp 1
		.amdhsa_ieee_mode 1
		.amdhsa_fp16_overflow 0
		.amdhsa_workgroup_processor_mode 1
		.amdhsa_memory_ordered 1
		.amdhsa_forward_progress 1
		.amdhsa_shared_vgpr_count 0
		.amdhsa_exception_fp_ieee_invalid_op 0
		.amdhsa_exception_fp_denorm_src 0
		.amdhsa_exception_fp_ieee_div_zero 0
		.amdhsa_exception_fp_ieee_overflow 0
		.amdhsa_exception_fp_ieee_underflow 0
		.amdhsa_exception_fp_ieee_inexact 0
		.amdhsa_exception_int_div_zero 0
	.end_amdhsa_kernel
	.section	.text._ZN9rocsparseL19gebsrmvn_2xn_kernelILj128ELj11ELj8E21rocsparse_complex_numIfEEEvi20rocsparse_direction_NS_24const_host_device_scalarIT2_EEPKiS8_PKS5_SA_S6_PS5_21rocsparse_index_base_b,"axG",@progbits,_ZN9rocsparseL19gebsrmvn_2xn_kernelILj128ELj11ELj8E21rocsparse_complex_numIfEEEvi20rocsparse_direction_NS_24const_host_device_scalarIT2_EEPKiS8_PKS5_SA_S6_PS5_21rocsparse_index_base_b,comdat
.Lfunc_end198:
	.size	_ZN9rocsparseL19gebsrmvn_2xn_kernelILj128ELj11ELj8E21rocsparse_complex_numIfEEEvi20rocsparse_direction_NS_24const_host_device_scalarIT2_EEPKiS8_PKS5_SA_S6_PS5_21rocsparse_index_base_b, .Lfunc_end198-_ZN9rocsparseL19gebsrmvn_2xn_kernelILj128ELj11ELj8E21rocsparse_complex_numIfEEEvi20rocsparse_direction_NS_24const_host_device_scalarIT2_EEPKiS8_PKS5_SA_S6_PS5_21rocsparse_index_base_b
                                        ; -- End function
	.set _ZN9rocsparseL19gebsrmvn_2xn_kernelILj128ELj11ELj8E21rocsparse_complex_numIfEEEvi20rocsparse_direction_NS_24const_host_device_scalarIT2_EEPKiS8_PKS5_SA_S6_PS5_21rocsparse_index_base_b.num_vgpr, 68
	.set _ZN9rocsparseL19gebsrmvn_2xn_kernelILj128ELj11ELj8E21rocsparse_complex_numIfEEEvi20rocsparse_direction_NS_24const_host_device_scalarIT2_EEPKiS8_PKS5_SA_S6_PS5_21rocsparse_index_base_b.num_agpr, 0
	.set _ZN9rocsparseL19gebsrmvn_2xn_kernelILj128ELj11ELj8E21rocsparse_complex_numIfEEEvi20rocsparse_direction_NS_24const_host_device_scalarIT2_EEPKiS8_PKS5_SA_S6_PS5_21rocsparse_index_base_b.numbered_sgpr, 16
	.set _ZN9rocsparseL19gebsrmvn_2xn_kernelILj128ELj11ELj8E21rocsparse_complex_numIfEEEvi20rocsparse_direction_NS_24const_host_device_scalarIT2_EEPKiS8_PKS5_SA_S6_PS5_21rocsparse_index_base_b.num_named_barrier, 0
	.set _ZN9rocsparseL19gebsrmvn_2xn_kernelILj128ELj11ELj8E21rocsparse_complex_numIfEEEvi20rocsparse_direction_NS_24const_host_device_scalarIT2_EEPKiS8_PKS5_SA_S6_PS5_21rocsparse_index_base_b.private_seg_size, 0
	.set _ZN9rocsparseL19gebsrmvn_2xn_kernelILj128ELj11ELj8E21rocsparse_complex_numIfEEEvi20rocsparse_direction_NS_24const_host_device_scalarIT2_EEPKiS8_PKS5_SA_S6_PS5_21rocsparse_index_base_b.uses_vcc, 1
	.set _ZN9rocsparseL19gebsrmvn_2xn_kernelILj128ELj11ELj8E21rocsparse_complex_numIfEEEvi20rocsparse_direction_NS_24const_host_device_scalarIT2_EEPKiS8_PKS5_SA_S6_PS5_21rocsparse_index_base_b.uses_flat_scratch, 0
	.set _ZN9rocsparseL19gebsrmvn_2xn_kernelILj128ELj11ELj8E21rocsparse_complex_numIfEEEvi20rocsparse_direction_NS_24const_host_device_scalarIT2_EEPKiS8_PKS5_SA_S6_PS5_21rocsparse_index_base_b.has_dyn_sized_stack, 0
	.set _ZN9rocsparseL19gebsrmvn_2xn_kernelILj128ELj11ELj8E21rocsparse_complex_numIfEEEvi20rocsparse_direction_NS_24const_host_device_scalarIT2_EEPKiS8_PKS5_SA_S6_PS5_21rocsparse_index_base_b.has_recursion, 0
	.set _ZN9rocsparseL19gebsrmvn_2xn_kernelILj128ELj11ELj8E21rocsparse_complex_numIfEEEvi20rocsparse_direction_NS_24const_host_device_scalarIT2_EEPKiS8_PKS5_SA_S6_PS5_21rocsparse_index_base_b.has_indirect_call, 0
	.section	.AMDGPU.csdata,"",@progbits
; Kernel info:
; codeLenInByte = 4088
; TotalNumSgprs: 18
; NumVgprs: 68
; ScratchSize: 0
; MemoryBound: 0
; FloatMode: 240
; IeeeMode: 1
; LDSByteSize: 0 bytes/workgroup (compile time only)
; SGPRBlocks: 0
; VGPRBlocks: 8
; NumSGPRsForWavesPerEU: 18
; NumVGPRsForWavesPerEU: 68
; Occupancy: 12
; WaveLimiterHint : 1
; COMPUTE_PGM_RSRC2:SCRATCH_EN: 0
; COMPUTE_PGM_RSRC2:USER_SGPR: 6
; COMPUTE_PGM_RSRC2:TRAP_HANDLER: 0
; COMPUTE_PGM_RSRC2:TGID_X_EN: 1
; COMPUTE_PGM_RSRC2:TGID_Y_EN: 0
; COMPUTE_PGM_RSRC2:TGID_Z_EN: 0
; COMPUTE_PGM_RSRC2:TIDIG_COMP_CNT: 0
	.section	.text._ZN9rocsparseL19gebsrmvn_2xn_kernelILj128ELj11ELj16E21rocsparse_complex_numIfEEEvi20rocsparse_direction_NS_24const_host_device_scalarIT2_EEPKiS8_PKS5_SA_S6_PS5_21rocsparse_index_base_b,"axG",@progbits,_ZN9rocsparseL19gebsrmvn_2xn_kernelILj128ELj11ELj16E21rocsparse_complex_numIfEEEvi20rocsparse_direction_NS_24const_host_device_scalarIT2_EEPKiS8_PKS5_SA_S6_PS5_21rocsparse_index_base_b,comdat
	.globl	_ZN9rocsparseL19gebsrmvn_2xn_kernelILj128ELj11ELj16E21rocsparse_complex_numIfEEEvi20rocsparse_direction_NS_24const_host_device_scalarIT2_EEPKiS8_PKS5_SA_S6_PS5_21rocsparse_index_base_b ; -- Begin function _ZN9rocsparseL19gebsrmvn_2xn_kernelILj128ELj11ELj16E21rocsparse_complex_numIfEEEvi20rocsparse_direction_NS_24const_host_device_scalarIT2_EEPKiS8_PKS5_SA_S6_PS5_21rocsparse_index_base_b
	.p2align	8
	.type	_ZN9rocsparseL19gebsrmvn_2xn_kernelILj128ELj11ELj16E21rocsparse_complex_numIfEEEvi20rocsparse_direction_NS_24const_host_device_scalarIT2_EEPKiS8_PKS5_SA_S6_PS5_21rocsparse_index_base_b,@function
_ZN9rocsparseL19gebsrmvn_2xn_kernelILj128ELj11ELj16E21rocsparse_complex_numIfEEEvi20rocsparse_direction_NS_24const_host_device_scalarIT2_EEPKiS8_PKS5_SA_S6_PS5_21rocsparse_index_base_b: ; @_ZN9rocsparseL19gebsrmvn_2xn_kernelILj128ELj11ELj16E21rocsparse_complex_numIfEEEvi20rocsparse_direction_NS_24const_host_device_scalarIT2_EEPKiS8_PKS5_SA_S6_PS5_21rocsparse_index_base_b
; %bb.0:
	s_clause 0x2
	s_load_dwordx2 s[2:3], s[4:5], 0x40
	s_load_dwordx2 s[0:1], s[4:5], 0x8
	;; [unrolled: 1-line block ×3, first 2 shown]
	s_add_u32 s7, s4, 8
	s_addc_u32 s10, s5, 0
	s_add_u32 s11, s4, 48
	s_addc_u32 s12, s5, 0
	s_waitcnt lgkmcnt(0)
	s_bitcmp1_b32 s3, 0
	s_cselect_b32 s0, s7, s0
	s_cselect_b32 s1, s10, s1
	v_mov_b32_e32 v1, s0
	v_mov_b32_e32 v2, s1
	s_cselect_b32 s0, s11, s8
	s_cselect_b32 s1, s12, s9
	v_mov_b32_e32 v3, s0
	v_mov_b32_e32 v4, s1
	flat_load_dwordx2 v[1:2], v[1:2]
	flat_load_dwordx2 v[3:4], v[3:4]
	s_waitcnt vmcnt(1) lgkmcnt(1)
	v_cmp_eq_f32_e32 vcc_lo, 0, v1
	v_cmp_eq_f32_e64 s0, 0, v2
	s_and_b32 s3, vcc_lo, s0
	s_mov_b32 s0, -1
	s_and_saveexec_b32 s1, s3
	s_cbranch_execz .LBB199_2
; %bb.1:
	s_waitcnt vmcnt(0) lgkmcnt(0)
	v_cmp_neq_f32_e32 vcc_lo, 1.0, v3
	v_cmp_neq_f32_e64 s0, 0, v4
	s_or_b32 s0, vcc_lo, s0
	s_orn2_b32 s0, s0, exec_lo
.LBB199_2:
	s_or_b32 exec_lo, exec_lo, s1
	s_and_saveexec_b32 s1, s0
	s_cbranch_execz .LBB199_21
; %bb.3:
	s_load_dwordx2 s[0:1], s[4:5], 0x0
	v_lshrrev_b32_e32 v5, 4, v0
	v_lshl_or_b32 v5, s6, 3, v5
	s_waitcnt lgkmcnt(0)
	v_cmp_gt_i32_e32 vcc_lo, s0, v5
	s_and_b32 exec_lo, exec_lo, vcc_lo
	s_cbranch_execz .LBB199_21
; %bb.4:
	s_load_dwordx8 s[8:15], s[4:5], 0x10
	v_ashrrev_i32_e32 v6, 31, v5
	v_and_b32_e32 v0, 15, v0
	s_cmp_lg_u32 s1, 0
	v_lshlrev_b64 v[6:7], 2, v[5:6]
	s_waitcnt lgkmcnt(0)
	v_add_co_u32 v6, vcc_lo, s8, v6
	v_add_co_ci_u32_e64 v7, null, s9, v7, vcc_lo
	global_load_dwordx2 v[6:7], v[6:7], off
	s_waitcnt vmcnt(0)
	v_subrev_nc_u32_e32 v6, s2, v6
	v_subrev_nc_u32_e32 v16, s2, v7
	v_add_nc_u32_e32 v6, v6, v0
	v_cmp_lt_i32_e64 s0, v6, v16
	s_cbranch_scc0 .LBB199_10
; %bb.5:
	v_mov_b32_e32 v14, 0
	v_mov_b32_e32 v17, 0
	;; [unrolled: 1-line block ×4, first 2 shown]
	s_and_saveexec_b32 s3, s0
	s_cbranch_execz .LBB199_9
; %bb.6:
	v_mad_u64_u32 v[7:8], null, v6, 22, 20
	v_mov_b32_e32 v10, 0
	v_mov_b32_e32 v11, v6
	;; [unrolled: 1-line block ×6, first 2 shown]
	s_mov_b32 s6, 0
.LBB199_7:                              ; =>This Inner Loop Header: Depth=1
	v_ashrrev_i32_e32 v12, 31, v11
	v_subrev_nc_u32_e32 v9, 20, v7
	v_mov_b32_e32 v8, v10
	v_mov_b32_e32 v13, v10
	v_lshlrev_b64 v[23:24], 2, v[11:12]
	v_lshlrev_b64 v[19:20], 3, v[9:10]
	v_subrev_nc_u32_e32 v9, 18, v7
	v_lshlrev_b64 v[21:22], 3, v[7:8]
	v_add_nc_u32_e32 v11, 16, v11
	v_add_co_u32 v23, s1, s10, v23
	v_add_co_ci_u32_e64 v24, null, s11, v24, s1
	v_lshlrev_b64 v[8:9], 3, v[9:10]
	v_add_co_u32 v47, vcc_lo, s12, v21
	global_load_dword v12, v[23:24], off
	v_add_co_u32 v19, s1, s12, v19
	v_add_co_ci_u32_e64 v48, null, s13, v22, vcc_lo
	v_add_co_u32 v8, vcc_lo, s12, v8
	v_add_co_ci_u32_e64 v20, null, s13, v20, s1
	v_add_co_ci_u32_e64 v9, null, s13, v9, vcc_lo
	s_clause 0x1
	global_load_dwordx4 v[19:22], v[19:20], off
	global_load_dwordx4 v[23:26], v[8:9], off
	s_waitcnt vmcnt(2)
	v_subrev_nc_u32_e32 v8, s2, v12
	v_mul_lo_u32 v12, v8, 11
	v_lshlrev_b64 v[27:28], 3, v[12:13]
	v_add_nc_u32_e32 v9, 1, v12
	v_lshlrev_b64 v[29:30], 3, v[9:10]
	v_add_co_u32 v27, vcc_lo, s14, v27
	v_add_co_ci_u32_e64 v28, null, s15, v28, vcc_lo
	v_add_nc_u32_e32 v9, -16, v7
	global_load_dwordx2 v[49:50], v[27:28], off
	v_add_co_u32 v27, vcc_lo, s14, v29
	v_add_co_ci_u32_e64 v28, null, s15, v30, vcc_lo
	v_lshlrev_b64 v[31:32], 3, v[9:10]
	v_add_nc_u32_e32 v9, 2, v12
	global_load_dwordx2 v[51:52], v[27:28], off
	v_lshlrev_b64 v[29:30], 3, v[9:10]
	v_add_co_u32 v27, vcc_lo, s12, v31
	v_add_co_ci_u32_e64 v28, null, s13, v32, vcc_lo
	v_add_nc_u32_e32 v9, -14, v7
	v_add_co_u32 v33, vcc_lo, s14, v29
	v_add_co_ci_u32_e64 v34, null, s15, v30, vcc_lo
	global_load_dwordx4 v[27:30], v[27:28], off
	v_lshlrev_b64 v[31:32], 3, v[9:10]
	v_add_nc_u32_e32 v9, 3, v12
	global_load_dwordx2 v[53:54], v[33:34], off
	v_lshlrev_b64 v[35:36], 3, v[9:10]
	v_add_nc_u32_e32 v9, -12, v7
	v_add_co_u32 v31, vcc_lo, s12, v31
	v_add_co_ci_u32_e64 v32, null, s13, v32, vcc_lo
	v_lshlrev_b64 v[37:38], 3, v[9:10]
	v_add_nc_u32_e32 v9, 4, v12
	v_add_co_u32 v35, vcc_lo, s14, v35
	v_add_co_ci_u32_e64 v36, null, s15, v36, vcc_lo
	v_lshlrev_b64 v[39:40], 3, v[9:10]
	v_add_nc_u32_e32 v9, -10, v7
	global_load_dwordx2 v[55:56], v[35:36], off
	global_load_dwordx4 v[31:34], v[31:32], off
	v_add_co_u32 v35, vcc_lo, s12, v37
	v_lshlrev_b64 v[41:42], 3, v[9:10]
	v_add_nc_u32_e32 v9, 5, v12
	v_add_co_ci_u32_e64 v36, null, s13, v38, vcc_lo
	v_add_co_u32 v39, vcc_lo, s14, v39
	v_add_co_ci_u32_e64 v40, null, s15, v40, vcc_lo
	v_lshlrev_b64 v[43:44], 3, v[9:10]
	v_add_nc_u32_e32 v9, -8, v7
	global_load_dwordx4 v[35:38], v[35:36], off
	global_load_dwordx2 v[57:58], v[39:40], off
	v_add_co_u32 v39, vcc_lo, s12, v41
	v_lshlrev_b64 v[45:46], 3, v[9:10]
	v_add_nc_u32_e32 v9, 6, v12
	v_add_co_ci_u32_e64 v40, null, s13, v42, vcc_lo
	v_add_co_u32 v43, vcc_lo, s14, v43
	v_add_co_ci_u32_e64 v44, null, s15, v44, vcc_lo
	v_lshlrev_b64 v[59:60], 3, v[9:10]
	v_add_nc_u32_e32 v9, -6, v7
	global_load_dwordx4 v[39:42], v[39:40], off
	global_load_dwordx2 v[61:62], v[43:44], off
	v_add_co_u32 v43, vcc_lo, s12, v45
	v_lshlrev_b64 v[63:64], 3, v[9:10]
	v_add_nc_u32_e32 v9, 7, v12
	v_add_co_ci_u32_e64 v44, null, s13, v46, vcc_lo
	v_add_co_u32 v59, vcc_lo, s14, v59
	v_add_co_ci_u32_e64 v60, null, s15, v60, vcc_lo
	global_load_dwordx4 v[43:46], v[43:44], off
	global_load_dwordx2 v[59:60], v[59:60], off
	s_waitcnt vmcnt(11)
	v_fmac_f32_e32 v17, v19, v49
	v_fmac_f32_e32 v18, v21, v49
	;; [unrolled: 1-line block ×4, first 2 shown]
	v_fma_f32 v8, -v20, v50, v17
	v_fma_f32 v13, -v22, v50, v18
	v_lshlrev_b64 v[17:18], 3, v[9:10]
	v_fmac_f32_e32 v14, v19, v50
	v_add_nc_u32_e32 v9, -4, v7
	v_fmac_f32_e32 v15, v21, v50
	v_add_co_u32 v19, vcc_lo, s12, v63
	v_add_co_ci_u32_e64 v20, null, s13, v64, vcc_lo
	v_lshlrev_b64 v[21:22], 3, v[9:10]
	v_add_nc_u32_e32 v9, 8, v12
	v_add_co_u32 v49, vcc_lo, s14, v17
	s_waitcnt vmcnt(10)
	v_fmac_f32_e32 v8, v23, v51
	v_fmac_f32_e32 v14, v24, v51
	v_add_co_ci_u32_e64 v50, null, s15, v18, vcc_lo
	v_fmac_f32_e32 v13, v25, v51
	v_fmac_f32_e32 v15, v26, v51
	v_fma_f32 v8, -v24, v52, v8
	v_fmac_f32_e32 v14, v23, v52
	v_lshlrev_b64 v[23:24], 3, v[9:10]
	v_add_nc_u32_e32 v9, -2, v7
	global_load_dwordx4 v[17:20], v[19:20], off
	v_fma_f32 v67, -v26, v52, v13
	v_fmac_f32_e32 v15, v25, v52
	global_load_dwordx2 v[51:52], v[49:50], off
	v_add_co_u32 v21, vcc_lo, s12, v21
	v_lshlrev_b64 v[25:26], 3, v[9:10]
	v_add_nc_u32_e32 v9, 9, v12
	v_add_co_ci_u32_e64 v22, null, s13, v22, vcc_lo
	v_add_co_u32 v49, vcc_lo, s14, v23
	v_add_co_ci_u32_e64 v50, null, s15, v24, vcc_lo
	v_lshlrev_b64 v[63:64], 3, v[9:10]
	s_waitcnt vmcnt(10)
	v_fmac_f32_e32 v15, v30, v53
	global_load_dwordx4 v[21:24], v[21:22], off
	global_load_dwordx2 v[65:66], v[49:50], off
	v_fmac_f32_e32 v67, v29, v53
	v_add_nc_u32_e32 v9, 10, v12
	v_add_co_u32 v12, vcc_lo, s12, v25
	v_fmac_f32_e32 v8, v27, v53
	v_add_co_ci_u32_e64 v13, null, s13, v26, vcc_lo
	v_fmac_f32_e32 v15, v29, v54
	v_add_co_u32 v29, vcc_lo, s14, v63
	v_fmac_f32_e32 v14, v28, v53
	v_fma_f32 v67, -v30, v54, v67
	v_add_co_ci_u32_e64 v30, null, s15, v64, vcc_lo
	v_fma_f32 v53, -v28, v54, v8
	v_lshlrev_b64 v[8:9], 3, v[9:10]
	v_fmac_f32_e32 v14, v27, v54
	global_load_dwordx4 v[25:28], v[12:13], off
	global_load_dwordx2 v[12:13], v[29:30], off
	s_waitcnt vmcnt(12)
	v_fmac_f32_e32 v67, v33, v55
	v_fmac_f32_e32 v53, v31, v55
	;; [unrolled: 1-line block ×3, first 2 shown]
	v_add_co_u32 v8, vcc_lo, s14, v8
	v_add_co_ci_u32_e64 v9, null, s15, v9, vcc_lo
	global_load_dwordx4 v[47:50], v[47:48], off
	global_load_dwordx2 v[8:9], v[8:9], off
	v_fmac_f32_e32 v14, v32, v55
	v_fma_f32 v29, -v32, v56, v53
	v_fma_f32 v30, -v34, v56, v67
	v_fmac_f32_e32 v15, v33, v56
	v_cmp_ge_i32_e32 vcc_lo, v11, v16
	v_fmac_f32_e32 v14, v31, v56
	s_waitcnt vmcnt(12)
	v_fmac_f32_e32 v29, v35, v57
	v_fmac_f32_e32 v30, v37, v57
	;; [unrolled: 1-line block ×3, first 2 shown]
	v_add_nc_u32_e32 v7, 0x160, v7
	v_fmac_f32_e32 v14, v36, v57
	v_fma_f32 v29, -v36, v58, v29
	v_fma_f32 v30, -v38, v58, v30
	v_fmac_f32_e32 v15, v37, v58
	s_or_b32 s6, vcc_lo, s6
	v_fmac_f32_e32 v14, v35, v58
	s_waitcnt vmcnt(10)
	v_fmac_f32_e32 v29, v39, v61
	v_fmac_f32_e32 v30, v41, v61
	;; [unrolled: 1-line block ×4, first 2 shown]
	v_fma_f32 v29, -v40, v62, v29
	v_fma_f32 v30, -v42, v62, v30
	v_fmac_f32_e32 v15, v41, v62
	v_fmac_f32_e32 v14, v39, v62
	s_waitcnt vmcnt(8)
	v_fmac_f32_e32 v29, v43, v59
	v_fmac_f32_e32 v30, v45, v59
	;; [unrolled: 1-line block ×4, first 2 shown]
	v_fma_f32 v29, -v44, v60, v29
	v_fma_f32 v30, -v46, v60, v30
	v_fmac_f32_e32 v15, v45, v60
	v_fmac_f32_e32 v14, v43, v60
	s_waitcnt vmcnt(6)
	v_fmac_f32_e32 v29, v17, v51
	v_fmac_f32_e32 v14, v18, v51
	v_fmac_f32_e32 v30, v19, v51
	v_fmac_f32_e32 v15, v20, v51
	v_fma_f32 v18, -v18, v52, v29
	v_fmac_f32_e32 v14, v17, v52
	v_fma_f32 v17, -v20, v52, v30
	v_fmac_f32_e32 v15, v19, v52
	s_waitcnt vmcnt(4)
	v_fmac_f32_e32 v18, v21, v65
	v_fmac_f32_e32 v14, v22, v65
	v_fmac_f32_e32 v17, v23, v65
	v_fmac_f32_e32 v15, v24, v65
	v_fma_f32 v18, -v22, v66, v18
	v_fmac_f32_e32 v14, v21, v66
	v_fma_f32 v17, -v24, v66, v17
	v_fmac_f32_e32 v15, v23, v66
	s_waitcnt vmcnt(2)
	v_fmac_f32_e32 v18, v25, v12
	v_fmac_f32_e32 v14, v26, v12
	v_fmac_f32_e32 v17, v27, v12
	v_fmac_f32_e32 v15, v28, v12
	v_fma_f32 v12, -v26, v13, v18
	v_fmac_f32_e32 v14, v25, v13
	v_fma_f32 v18, -v28, v13, v17
	v_fmac_f32_e32 v15, v27, v13
	s_waitcnt vmcnt(0)
	v_fmac_f32_e32 v12, v47, v8
	v_fmac_f32_e32 v14, v48, v8
	v_fmac_f32_e32 v18, v49, v8
	v_fmac_f32_e32 v15, v50, v8
	v_fma_f32 v17, -v48, v9, v12
	v_fmac_f32_e32 v14, v47, v9
	v_fma_f32 v18, -v50, v9, v18
	v_fmac_f32_e32 v15, v49, v9
	s_andn2_b32 exec_lo, exec_lo, s6
	s_cbranch_execnz .LBB199_7
; %bb.8:
	s_or_b32 exec_lo, exec_lo, s6
.LBB199_9:
	s_or_b32 exec_lo, exec_lo, s3
	s_cbranch_execz .LBB199_11
	s_branch .LBB199_16
.LBB199_10:
                                        ; implicit-def: $vgpr14
                                        ; implicit-def: $vgpr17
                                        ; implicit-def: $vgpr18
                                        ; implicit-def: $vgpr15
.LBB199_11:
	v_mov_b32_e32 v14, 0
	v_mov_b32_e32 v17, 0
	;; [unrolled: 1-line block ×4, first 2 shown]
	s_and_saveexec_b32 s1, s0
	s_cbranch_execz .LBB199_15
; %bb.12:
	v_mad_u64_u32 v[8:9], null, v6, 22, 21
	v_mov_b32_e32 v11, 0
	v_mov_b32_e32 v14, 0
	;; [unrolled: 1-line block ×5, first 2 shown]
	s_mov_b32 s0, 0
.LBB199_13:                             ; =>This Inner Loop Header: Depth=1
	v_ashrrev_i32_e32 v7, 31, v6
	v_subrev_nc_u32_e32 v10, 21, v8
	v_add_nc_u32_e32 v19, -10, v8
	v_mov_b32_e32 v20, v11
	v_mov_b32_e32 v9, v11
	v_lshlrev_b64 v[21:22], 2, v[6:7]
	v_lshlrev_b64 v[23:24], 3, v[10:11]
	v_mov_b32_e32 v13, v11
	v_lshlrev_b64 v[19:20], 3, v[19:20]
	v_lshlrev_b64 v[9:10], 3, v[8:9]
	v_add_nc_u32_e32 v6, 16, v6
	v_add_co_u32 v21, vcc_lo, s10, v21
	v_add_co_ci_u32_e64 v22, null, s11, v22, vcc_lo
	v_add_co_u32 v23, vcc_lo, s12, v23
	v_add_co_ci_u32_e64 v24, null, s13, v24, vcc_lo
	global_load_dword v7, v[21:22], off
	v_add_co_u32 v19, vcc_lo, s12, v19
	v_add_co_ci_u32_e64 v20, null, s13, v20, vcc_lo
	v_add_co_u32 v25, vcc_lo, s12, v9
	v_add_co_ci_u32_e64 v26, null, s13, v10, vcc_lo
	s_waitcnt vmcnt(0)
	v_subrev_nc_u32_e32 v7, s2, v7
	v_mul_lo_u32 v12, v7, 11
	v_add_nc_u32_e32 v10, 1, v12
	v_lshlrev_b64 v[21:22], 3, v[12:13]
	v_lshlrev_b64 v[27:28], 3, v[10:11]
	v_add_nc_u32_e32 v10, -9, v8
	v_add_co_u32 v21, vcc_lo, s14, v21
	v_add_co_ci_u32_e64 v22, null, s15, v22, vcc_lo
	v_lshlrev_b64 v[29:30], 3, v[10:11]
	v_subrev_nc_u32_e32 v10, 19, v8
	v_add_co_u32 v27, vcc_lo, s14, v27
	v_add_co_ci_u32_e64 v28, null, s15, v28, vcc_lo
	v_lshlrev_b64 v[31:32], 3, v[10:11]
	v_add_nc_u32_e32 v10, 2, v12
	v_add_co_u32 v29, vcc_lo, s12, v29
	v_add_co_ci_u32_e64 v30, null, s13, v30, vcc_lo
	v_lshlrev_b64 v[33:34], 3, v[10:11]
	v_add_nc_u32_e32 v10, -8, v8
	v_add_co_u32 v31, vcc_lo, s12, v31
	v_add_co_ci_u32_e64 v32, null, s13, v32, vcc_lo
	v_lshlrev_b64 v[35:36], 3, v[10:11]
	v_subrev_nc_u32_e32 v10, 18, v8
	v_add_co_u32 v33, vcc_lo, s14, v33
	v_add_co_ci_u32_e64 v34, null, s15, v34, vcc_lo
	v_lshlrev_b64 v[37:38], 3, v[10:11]
	v_add_nc_u32_e32 v10, 3, v12
	v_add_co_u32 v35, vcc_lo, s12, v35
	v_add_co_ci_u32_e64 v36, null, s13, v36, vcc_lo
	;; [unrolled: 12-line block ×3, first 2 shown]
	v_lshlrev_b64 v[45:46], 3, v[10:11]
	v_add_nc_u32_e32 v10, -6, v8
	v_add_co_u32 v43, vcc_lo, s12, v43
	v_add_co_ci_u32_e64 v44, null, s13, v44, vcc_lo
	v_lshlrev_b64 v[47:48], 3, v[10:11]
	v_add_nc_u32_e32 v10, -16, v8
	v_add_co_u32 v45, vcc_lo, s14, v45
	v_add_co_ci_u32_e64 v46, null, s15, v46, vcc_lo
	v_lshlrev_b64 v[49:50], 3, v[10:11]
	v_add_nc_u32_e32 v10, 5, v12
	v_add_co_u32 v47, vcc_lo, s12, v47
	v_add_co_ci_u32_e64 v48, null, s13, v48, vcc_lo
	v_lshlrev_b64 v[51:52], 3, v[10:11]
	v_add_nc_u32_e32 v10, -5, v8
	v_add_co_u32 v49, vcc_lo, s12, v49
	v_add_co_ci_u32_e64 v50, null, s13, v50, vcc_lo
	v_lshlrev_b64 v[53:54], 3, v[10:11]
	v_add_nc_u32_e32 v10, -15, v8
	v_add_co_u32 v51, vcc_lo, s14, v51
	v_add_co_ci_u32_e64 v52, null, s15, v52, vcc_lo
	v_lshlrev_b64 v[55:56], 3, v[10:11]
	v_add_nc_u32_e32 v10, 6, v12
	v_add_co_u32 v53, vcc_lo, s12, v53
	v_add_co_ci_u32_e64 v54, null, s13, v54, vcc_lo
	;; [unrolled: 12-line block ×3, first 2 shown]
	v_lshlrev_b64 v[9:10], 3, v[10:11]
	v_add_co_u32 v61, vcc_lo, s12, v61
	v_add_co_ci_u32_e64 v62, null, s13, v62, vcc_lo
	v_add_co_u32 v63, vcc_lo, s14, v9
	v_add_co_ci_u32_e64 v64, null, s15, v10, vcc_lo
	global_load_dwordx2 v[9:10], v[19:20], off
	global_load_dwordx2 v[65:66], v[21:22], off
	s_waitcnt vmcnt(0)
	v_fmac_f32_e32 v18, v9, v65
	v_fmac_f32_e32 v15, v10, v65
	v_fma_f32 v7, -v10, v66, v18
	global_load_dwordx4 v[18:21], v[23:24], off
	global_load_dwordx2 v[22:23], v[27:28], off
	s_clause 0x1
	global_load_dwordx2 v[27:28], v[29:30], off
	global_load_dwordx2 v[29:30], v[31:32], off
	v_add_nc_u32_e32 v10, -3, v8
	v_fmac_f32_e32 v15, v9, v66
	s_waitcnt vmcnt(3)
	v_fmac_f32_e32 v14, v19, v65
	v_fmac_f32_e32 v17, v18, v65
	s_waitcnt vmcnt(1)
	v_fmac_f32_e32 v7, v27, v22
	v_fmac_f32_e32 v15, v28, v22
	;; [unrolled: 1-line block ×3, first 2 shown]
	v_fma_f32 v9, -v19, v66, v17
	v_lshlrev_b64 v[17:18], 3, v[10:11]
	v_add_nc_u32_e32 v10, -13, v8
	v_fma_f32 v7, -v28, v23, v7
	v_fmac_f32_e32 v14, v21, v22
	v_fmac_f32_e32 v9, v20, v22
	;; [unrolled: 1-line block ×3, first 2 shown]
	v_add_co_u32 v17, vcc_lo, s12, v17
	v_fmac_f32_e32 v14, v20, v23
	v_lshlrev_b64 v[19:20], 3, v[10:11]
	v_add_nc_u32_e32 v10, 8, v12
	v_add_co_ci_u32_e64 v18, null, s13, v18, vcc_lo
	v_fma_f32 v13, -v21, v23, v9
	v_lshlrev_b64 v[31:32], 3, v[10:11]
	v_add_co_u32 v19, vcc_lo, s12, v19
	v_add_co_ci_u32_e64 v20, null, s13, v20, vcc_lo
	v_add_nc_u32_e32 v10, -2, v8
	v_add_co_u32 v23, vcc_lo, s14, v31
	v_add_co_ci_u32_e64 v24, null, s15, v32, vcc_lo
	global_load_dwordx2 v[31:32], v[33:34], off
	s_clause 0x1
	global_load_dwordx2 v[33:34], v[35:36], off
	global_load_dwordx2 v[35:36], v[37:38], off
	v_lshlrev_b64 v[21:22], 3, v[10:11]
	v_add_nc_u32_e32 v10, -12, v8
	v_lshlrev_b64 v[9:10], 3, v[10:11]
	v_add_co_u32 v21, vcc_lo, s12, v21
	v_add_co_ci_u32_e64 v22, null, s13, v22, vcc_lo
	v_add_co_u32 v27, vcc_lo, s12, v9
	v_add_co_ci_u32_e64 v28, null, s13, v10, vcc_lo
	v_add_nc_u32_e32 v10, 9, v12
	s_waitcnt vmcnt(2)
	v_fmac_f32_e32 v13, v29, v31
	v_fmac_f32_e32 v14, v30, v31
	s_waitcnt vmcnt(1)
	v_fmac_f32_e32 v7, v33, v31
	v_fmac_f32_e32 v15, v34, v31
	v_fma_f32 v65, -v30, v32, v13
	v_fmac_f32_e32 v14, v29, v32
	v_lshlrev_b64 v[29:30], 3, v[10:11]
	v_add_nc_u32_e32 v10, -1, v8
	v_fma_f32 v7, -v34, v32, v7
	v_fmac_f32_e32 v15, v33, v32
	v_lshlrev_b64 v[31:32], 3, v[10:11]
	v_add_nc_u32_e32 v10, -11, v8
	v_add_co_u32 v29, vcc_lo, s14, v29
	v_add_co_ci_u32_e64 v30, null, s15, v30, vcc_lo
	v_lshlrev_b64 v[33:34], 3, v[10:11]
	v_add_nc_u32_e32 v10, 10, v12
	v_add_co_u32 v12, vcc_lo, s12, v31
	v_add_co_ci_u32_e64 v13, null, s13, v32, vcc_lo
	v_lshlrev_b64 v[9:10], 3, v[10:11]
	v_add_co_u32 v31, vcc_lo, s12, v33
	v_add_co_ci_u32_e64 v32, null, s13, v34, vcc_lo
	v_add_nc_u32_e32 v8, 0x160, v8
	v_add_co_u32 v9, vcc_lo, s14, v9
	v_add_co_ci_u32_e64 v10, null, s15, v10, vcc_lo
	global_load_dwordx2 v[33:34], v[39:40], off
	s_clause 0x1
	global_load_dwordx2 v[37:38], v[41:42], off
	global_load_dwordx2 v[39:40], v[43:44], off
	global_load_dwordx2 v[41:42], v[45:46], off
	s_clause 0x1
	global_load_dwordx2 v[43:44], v[47:48], off
	global_load_dwordx2 v[45:46], v[49:50], off
	;; [unrolled: 4-line block ×7, first 2 shown]
	global_load_dwordx2 v[31:32], v[31:32], off
	global_load_dwordx2 v[9:10], v[9:10], off
	v_cmp_ge_i32_e32 vcc_lo, v6, v16
	s_or_b32 s0, vcc_lo, s0
	s_waitcnt vmcnt(22)
	v_fmac_f32_e32 v65, v35, v33
	v_fmac_f32_e32 v14, v36, v33
	s_waitcnt vmcnt(21)
	v_fmac_f32_e32 v7, v37, v33
	v_fmac_f32_e32 v15, v38, v33
	v_fma_f32 v33, -v36, v34, v65
	v_fmac_f32_e32 v14, v35, v34
	v_fma_f32 v7, -v38, v34, v7
	v_fmac_f32_e32 v15, v37, v34
	s_waitcnt vmcnt(19)
	v_fmac_f32_e32 v33, v39, v41
	v_fmac_f32_e32 v14, v40, v41
	s_waitcnt vmcnt(18)
	v_fmac_f32_e32 v7, v43, v41
	v_fmac_f32_e32 v15, v44, v41
	v_fma_f32 v33, -v40, v42, v33
	v_fmac_f32_e32 v14, v39, v42
	v_fma_f32 v7, -v44, v42, v7
	v_fmac_f32_e32 v15, v43, v42
	;; [unrolled: 10-line block ×7, first 2 shown]
	s_waitcnt vmcnt(0)
	v_fmac_f32_e32 v17, v31, v9
	v_fmac_f32_e32 v14, v32, v9
	;; [unrolled: 1-line block ×4, first 2 shown]
	v_fma_f32 v17, -v32, v10, v17
	v_fmac_f32_e32 v14, v31, v10
	v_fma_f32 v18, -v26, v10, v7
	v_fmac_f32_e32 v15, v25, v10
	s_andn2_b32 exec_lo, exec_lo, s0
	s_cbranch_execnz .LBB199_13
; %bb.14:
	s_or_b32 exec_lo, exec_lo, s0
.LBB199_15:
	s_or_b32 exec_lo, exec_lo, s1
.LBB199_16:
	v_mbcnt_lo_u32_b32 v6, -1, 0
	v_xor_b32_e32 v7, 8, v6
	v_xor_b32_e32 v11, 4, v6
	v_cmp_gt_i32_e32 vcc_lo, 32, v7
	v_cndmask_b32_e32 v7, v6, v7, vcc_lo
	v_cmp_gt_i32_e32 vcc_lo, 32, v11
	v_lshlrev_b32_e32 v7, 2, v7
	v_cndmask_b32_e32 v11, v6, v11, vcc_lo
	ds_bpermute_b32 v8, v7, v17
	ds_bpermute_b32 v9, v7, v14
	;; [unrolled: 1-line block ×4, first 2 shown]
	v_lshlrev_b32_e32 v11, 2, v11
	s_waitcnt lgkmcnt(3)
	v_add_f32_e32 v8, v17, v8
	s_waitcnt lgkmcnt(2)
	v_add_f32_e32 v9, v14, v9
	;; [unrolled: 2-line block ×4, first 2 shown]
	v_xor_b32_e32 v15, 2, v6
	ds_bpermute_b32 v12, v11, v8
	ds_bpermute_b32 v13, v11, v9
	;; [unrolled: 1-line block ×4, first 2 shown]
	v_cmp_gt_i32_e32 vcc_lo, 32, v15
	v_cndmask_b32_e32 v15, v6, v15, vcc_lo
	v_lshlrev_b32_e32 v15, 2, v15
	s_waitcnt lgkmcnt(3)
	v_add_f32_e32 v8, v8, v12
	s_waitcnt lgkmcnt(2)
	v_add_f32_e32 v9, v9, v13
	;; [unrolled: 2-line block ×4, first 2 shown]
	ds_bpermute_b32 v11, v15, v8
	ds_bpermute_b32 v12, v15, v9
	;; [unrolled: 1-line block ×4, first 2 shown]
	v_xor_b32_e32 v15, 1, v6
	v_cmp_gt_i32_e32 vcc_lo, 32, v15
	v_cndmask_b32_e32 v6, v6, v15, vcc_lo
	v_cmp_eq_u32_e32 vcc_lo, 15, v0
	v_lshlrev_b32_e32 v15, 2, v6
	s_waitcnt lgkmcnt(3)
	v_add_f32_e32 v8, v8, v11
	s_waitcnt lgkmcnt(2)
	v_add_f32_e32 v9, v9, v12
	;; [unrolled: 2-line block ×4, first 2 shown]
	ds_bpermute_b32 v12, v15, v8
	ds_bpermute_b32 v13, v15, v9
	;; [unrolled: 1-line block ×4, first 2 shown]
	s_and_b32 exec_lo, exec_lo, vcc_lo
	s_cbranch_execz .LBB199_21
; %bb.17:
	s_load_dwordx2 s[2:3], s[4:5], 0x38
	v_cmp_eq_f32_e32 vcc_lo, 0, v3
	v_cmp_eq_f32_e64 s0, 0, v4
	s_waitcnt lgkmcnt(0)
	v_add_f32_e32 v0, v8, v12
	v_add_f32_e32 v8, v9, v13
	;; [unrolled: 1-line block ×4, first 2 shown]
	s_and_b32 s0, vcc_lo, s0
	s_and_saveexec_b32 s1, s0
	s_xor_b32 s0, exec_lo, s1
	s_cbranch_execz .LBB199_19
; %bb.18:
	v_lshlrev_b32_e32 v3, 1, v5
	v_mul_f32_e64 v9, v8, -v2
	v_mul_f32_e32 v10, v1, v8
	v_mul_f32_e64 v11, v7, -v2
	v_mul_f32_e32 v12, v1, v7
	v_ashrrev_i32_e32 v4, 31, v3
	v_fmac_f32_e32 v9, v1, v0
	v_fmac_f32_e32 v10, v2, v0
	;; [unrolled: 1-line block ×4, first 2 shown]
	v_lshlrev_b64 v[3:4], 3, v[3:4]
                                        ; implicit-def: $vgpr5
                                        ; implicit-def: $vgpr8
                                        ; implicit-def: $vgpr7
                                        ; implicit-def: $vgpr6
	v_add_co_u32 v0, vcc_lo, s2, v3
	v_add_co_ci_u32_e64 v1, null, s3, v4, vcc_lo
                                        ; implicit-def: $vgpr3_vgpr4
	global_store_dwordx4 v[0:1], v[9:12], off
                                        ; implicit-def: $vgpr1_vgpr2
                                        ; implicit-def: $vgpr0
.LBB199_19:
	s_andn2_saveexec_b32 s0, s0
	s_cbranch_execz .LBB199_21
; %bb.20:
	v_lshlrev_b32_e32 v9, 1, v5
	v_mul_f32_e64 v5, v8, -v2
	v_mul_f32_e32 v14, v1, v8
	v_mul_f32_e64 v8, v7, -v2
	v_mul_f32_e32 v16, v1, v7
	v_ashrrev_i32_e32 v10, 31, v9
	v_fmac_f32_e32 v5, v1, v0
	v_fmac_f32_e32 v14, v2, v0
	;; [unrolled: 1-line block ×4, first 2 shown]
	v_lshlrev_b64 v[9:10], 3, v[9:10]
	v_add_co_u32 v17, vcc_lo, s2, v9
	v_add_co_ci_u32_e64 v18, null, s3, v10, vcc_lo
	global_load_dwordx4 v[9:12], v[17:18], off
	s_waitcnt vmcnt(0)
	v_fmac_f32_e32 v5, v3, v9
	v_fmac_f32_e32 v14, v4, v9
	;; [unrolled: 1-line block ×4, first 2 shown]
	v_fma_f32 v13, -v4, v10, v5
	v_fmac_f32_e32 v14, v3, v10
	v_fma_f32 v15, -v4, v12, v8
	v_fmac_f32_e32 v16, v3, v12
	global_store_dwordx4 v[17:18], v[13:16], off
.LBB199_21:
	s_endpgm
	.section	.rodata,"a",@progbits
	.p2align	6, 0x0
	.amdhsa_kernel _ZN9rocsparseL19gebsrmvn_2xn_kernelILj128ELj11ELj16E21rocsparse_complex_numIfEEEvi20rocsparse_direction_NS_24const_host_device_scalarIT2_EEPKiS8_PKS5_SA_S6_PS5_21rocsparse_index_base_b
		.amdhsa_group_segment_fixed_size 0
		.amdhsa_private_segment_fixed_size 0
		.amdhsa_kernarg_size 72
		.amdhsa_user_sgpr_count 6
		.amdhsa_user_sgpr_private_segment_buffer 1
		.amdhsa_user_sgpr_dispatch_ptr 0
		.amdhsa_user_sgpr_queue_ptr 0
		.amdhsa_user_sgpr_kernarg_segment_ptr 1
		.amdhsa_user_sgpr_dispatch_id 0
		.amdhsa_user_sgpr_flat_scratch_init 0
		.amdhsa_user_sgpr_private_segment_size 0
		.amdhsa_wavefront_size32 1
		.amdhsa_uses_dynamic_stack 0
		.amdhsa_system_sgpr_private_segment_wavefront_offset 0
		.amdhsa_system_sgpr_workgroup_id_x 1
		.amdhsa_system_sgpr_workgroup_id_y 0
		.amdhsa_system_sgpr_workgroup_id_z 0
		.amdhsa_system_sgpr_workgroup_info 0
		.amdhsa_system_vgpr_workitem_id 0
		.amdhsa_next_free_vgpr 68
		.amdhsa_next_free_sgpr 16
		.amdhsa_reserve_vcc 1
		.amdhsa_reserve_flat_scratch 0
		.amdhsa_float_round_mode_32 0
		.amdhsa_float_round_mode_16_64 0
		.amdhsa_float_denorm_mode_32 3
		.amdhsa_float_denorm_mode_16_64 3
		.amdhsa_dx10_clamp 1
		.amdhsa_ieee_mode 1
		.amdhsa_fp16_overflow 0
		.amdhsa_workgroup_processor_mode 1
		.amdhsa_memory_ordered 1
		.amdhsa_forward_progress 1
		.amdhsa_shared_vgpr_count 0
		.amdhsa_exception_fp_ieee_invalid_op 0
		.amdhsa_exception_fp_denorm_src 0
		.amdhsa_exception_fp_ieee_div_zero 0
		.amdhsa_exception_fp_ieee_overflow 0
		.amdhsa_exception_fp_ieee_underflow 0
		.amdhsa_exception_fp_ieee_inexact 0
		.amdhsa_exception_int_div_zero 0
	.end_amdhsa_kernel
	.section	.text._ZN9rocsparseL19gebsrmvn_2xn_kernelILj128ELj11ELj16E21rocsparse_complex_numIfEEEvi20rocsparse_direction_NS_24const_host_device_scalarIT2_EEPKiS8_PKS5_SA_S6_PS5_21rocsparse_index_base_b,"axG",@progbits,_ZN9rocsparseL19gebsrmvn_2xn_kernelILj128ELj11ELj16E21rocsparse_complex_numIfEEEvi20rocsparse_direction_NS_24const_host_device_scalarIT2_EEPKiS8_PKS5_SA_S6_PS5_21rocsparse_index_base_b,comdat
.Lfunc_end199:
	.size	_ZN9rocsparseL19gebsrmvn_2xn_kernelILj128ELj11ELj16E21rocsparse_complex_numIfEEEvi20rocsparse_direction_NS_24const_host_device_scalarIT2_EEPKiS8_PKS5_SA_S6_PS5_21rocsparse_index_base_b, .Lfunc_end199-_ZN9rocsparseL19gebsrmvn_2xn_kernelILj128ELj11ELj16E21rocsparse_complex_numIfEEEvi20rocsparse_direction_NS_24const_host_device_scalarIT2_EEPKiS8_PKS5_SA_S6_PS5_21rocsparse_index_base_b
                                        ; -- End function
	.set _ZN9rocsparseL19gebsrmvn_2xn_kernelILj128ELj11ELj16E21rocsparse_complex_numIfEEEvi20rocsparse_direction_NS_24const_host_device_scalarIT2_EEPKiS8_PKS5_SA_S6_PS5_21rocsparse_index_base_b.num_vgpr, 68
	.set _ZN9rocsparseL19gebsrmvn_2xn_kernelILj128ELj11ELj16E21rocsparse_complex_numIfEEEvi20rocsparse_direction_NS_24const_host_device_scalarIT2_EEPKiS8_PKS5_SA_S6_PS5_21rocsparse_index_base_b.num_agpr, 0
	.set _ZN9rocsparseL19gebsrmvn_2xn_kernelILj128ELj11ELj16E21rocsparse_complex_numIfEEEvi20rocsparse_direction_NS_24const_host_device_scalarIT2_EEPKiS8_PKS5_SA_S6_PS5_21rocsparse_index_base_b.numbered_sgpr, 16
	.set _ZN9rocsparseL19gebsrmvn_2xn_kernelILj128ELj11ELj16E21rocsparse_complex_numIfEEEvi20rocsparse_direction_NS_24const_host_device_scalarIT2_EEPKiS8_PKS5_SA_S6_PS5_21rocsparse_index_base_b.num_named_barrier, 0
	.set _ZN9rocsparseL19gebsrmvn_2xn_kernelILj128ELj11ELj16E21rocsparse_complex_numIfEEEvi20rocsparse_direction_NS_24const_host_device_scalarIT2_EEPKiS8_PKS5_SA_S6_PS5_21rocsparse_index_base_b.private_seg_size, 0
	.set _ZN9rocsparseL19gebsrmvn_2xn_kernelILj128ELj11ELj16E21rocsparse_complex_numIfEEEvi20rocsparse_direction_NS_24const_host_device_scalarIT2_EEPKiS8_PKS5_SA_S6_PS5_21rocsparse_index_base_b.uses_vcc, 1
	.set _ZN9rocsparseL19gebsrmvn_2xn_kernelILj128ELj11ELj16E21rocsparse_complex_numIfEEEvi20rocsparse_direction_NS_24const_host_device_scalarIT2_EEPKiS8_PKS5_SA_S6_PS5_21rocsparse_index_base_b.uses_flat_scratch, 0
	.set _ZN9rocsparseL19gebsrmvn_2xn_kernelILj128ELj11ELj16E21rocsparse_complex_numIfEEEvi20rocsparse_direction_NS_24const_host_device_scalarIT2_EEPKiS8_PKS5_SA_S6_PS5_21rocsparse_index_base_b.has_dyn_sized_stack, 0
	.set _ZN9rocsparseL19gebsrmvn_2xn_kernelILj128ELj11ELj16E21rocsparse_complex_numIfEEEvi20rocsparse_direction_NS_24const_host_device_scalarIT2_EEPKiS8_PKS5_SA_S6_PS5_21rocsparse_index_base_b.has_recursion, 0
	.set _ZN9rocsparseL19gebsrmvn_2xn_kernelILj128ELj11ELj16E21rocsparse_complex_numIfEEEvi20rocsparse_direction_NS_24const_host_device_scalarIT2_EEPKiS8_PKS5_SA_S6_PS5_21rocsparse_index_base_b.has_indirect_call, 0
	.section	.AMDGPU.csdata,"",@progbits
; Kernel info:
; codeLenInByte = 4168
; TotalNumSgprs: 18
; NumVgprs: 68
; ScratchSize: 0
; MemoryBound: 0
; FloatMode: 240
; IeeeMode: 1
; LDSByteSize: 0 bytes/workgroup (compile time only)
; SGPRBlocks: 0
; VGPRBlocks: 8
; NumSGPRsForWavesPerEU: 18
; NumVGPRsForWavesPerEU: 68
; Occupancy: 12
; WaveLimiterHint : 1
; COMPUTE_PGM_RSRC2:SCRATCH_EN: 0
; COMPUTE_PGM_RSRC2:USER_SGPR: 6
; COMPUTE_PGM_RSRC2:TRAP_HANDLER: 0
; COMPUTE_PGM_RSRC2:TGID_X_EN: 1
; COMPUTE_PGM_RSRC2:TGID_Y_EN: 0
; COMPUTE_PGM_RSRC2:TGID_Z_EN: 0
; COMPUTE_PGM_RSRC2:TIDIG_COMP_CNT: 0
	.section	.text._ZN9rocsparseL19gebsrmvn_2xn_kernelILj128ELj11ELj32E21rocsparse_complex_numIfEEEvi20rocsparse_direction_NS_24const_host_device_scalarIT2_EEPKiS8_PKS5_SA_S6_PS5_21rocsparse_index_base_b,"axG",@progbits,_ZN9rocsparseL19gebsrmvn_2xn_kernelILj128ELj11ELj32E21rocsparse_complex_numIfEEEvi20rocsparse_direction_NS_24const_host_device_scalarIT2_EEPKiS8_PKS5_SA_S6_PS5_21rocsparse_index_base_b,comdat
	.globl	_ZN9rocsparseL19gebsrmvn_2xn_kernelILj128ELj11ELj32E21rocsparse_complex_numIfEEEvi20rocsparse_direction_NS_24const_host_device_scalarIT2_EEPKiS8_PKS5_SA_S6_PS5_21rocsparse_index_base_b ; -- Begin function _ZN9rocsparseL19gebsrmvn_2xn_kernelILj128ELj11ELj32E21rocsparse_complex_numIfEEEvi20rocsparse_direction_NS_24const_host_device_scalarIT2_EEPKiS8_PKS5_SA_S6_PS5_21rocsparse_index_base_b
	.p2align	8
	.type	_ZN9rocsparseL19gebsrmvn_2xn_kernelILj128ELj11ELj32E21rocsparse_complex_numIfEEEvi20rocsparse_direction_NS_24const_host_device_scalarIT2_EEPKiS8_PKS5_SA_S6_PS5_21rocsparse_index_base_b,@function
_ZN9rocsparseL19gebsrmvn_2xn_kernelILj128ELj11ELj32E21rocsparse_complex_numIfEEEvi20rocsparse_direction_NS_24const_host_device_scalarIT2_EEPKiS8_PKS5_SA_S6_PS5_21rocsparse_index_base_b: ; @_ZN9rocsparseL19gebsrmvn_2xn_kernelILj128ELj11ELj32E21rocsparse_complex_numIfEEEvi20rocsparse_direction_NS_24const_host_device_scalarIT2_EEPKiS8_PKS5_SA_S6_PS5_21rocsparse_index_base_b
; %bb.0:
	s_clause 0x2
	s_load_dwordx2 s[2:3], s[4:5], 0x40
	s_load_dwordx2 s[0:1], s[4:5], 0x8
	s_load_dwordx2 s[8:9], s[4:5], 0x30
	s_add_u32 s7, s4, 8
	s_addc_u32 s10, s5, 0
	s_add_u32 s11, s4, 48
	s_addc_u32 s12, s5, 0
	s_waitcnt lgkmcnt(0)
	s_bitcmp1_b32 s3, 0
	s_cselect_b32 s0, s7, s0
	s_cselect_b32 s1, s10, s1
	v_mov_b32_e32 v1, s0
	v_mov_b32_e32 v2, s1
	s_cselect_b32 s0, s11, s8
	s_cselect_b32 s1, s12, s9
	v_mov_b32_e32 v3, s0
	v_mov_b32_e32 v4, s1
	flat_load_dwordx2 v[1:2], v[1:2]
	flat_load_dwordx2 v[3:4], v[3:4]
	s_waitcnt vmcnt(1) lgkmcnt(1)
	v_cmp_eq_f32_e32 vcc_lo, 0, v1
	v_cmp_eq_f32_e64 s0, 0, v2
	s_and_b32 s3, vcc_lo, s0
	s_mov_b32 s0, -1
	s_and_saveexec_b32 s1, s3
	s_cbranch_execz .LBB200_2
; %bb.1:
	s_waitcnt vmcnt(0) lgkmcnt(0)
	v_cmp_neq_f32_e32 vcc_lo, 1.0, v3
	v_cmp_neq_f32_e64 s0, 0, v4
	s_or_b32 s0, vcc_lo, s0
	s_orn2_b32 s0, s0, exec_lo
.LBB200_2:
	s_or_b32 exec_lo, exec_lo, s1
	s_and_saveexec_b32 s1, s0
	s_cbranch_execz .LBB200_21
; %bb.3:
	s_load_dwordx2 s[0:1], s[4:5], 0x0
	v_lshrrev_b32_e32 v5, 5, v0
	v_lshl_or_b32 v5, s6, 2, v5
	s_waitcnt lgkmcnt(0)
	v_cmp_gt_i32_e32 vcc_lo, s0, v5
	s_and_b32 exec_lo, exec_lo, vcc_lo
	s_cbranch_execz .LBB200_21
; %bb.4:
	s_load_dwordx8 s[8:15], s[4:5], 0x10
	v_ashrrev_i32_e32 v6, 31, v5
	v_and_b32_e32 v0, 31, v0
	s_cmp_lg_u32 s1, 0
	v_lshlrev_b64 v[6:7], 2, v[5:6]
	s_waitcnt lgkmcnt(0)
	v_add_co_u32 v6, vcc_lo, s8, v6
	v_add_co_ci_u32_e64 v7, null, s9, v7, vcc_lo
	global_load_dwordx2 v[6:7], v[6:7], off
	s_waitcnt vmcnt(0)
	v_subrev_nc_u32_e32 v6, s2, v6
	v_subrev_nc_u32_e32 v16, s2, v7
	v_add_nc_u32_e32 v6, v6, v0
	v_cmp_lt_i32_e64 s0, v6, v16
	s_cbranch_scc0 .LBB200_10
; %bb.5:
	v_mov_b32_e32 v14, 0
	v_mov_b32_e32 v17, 0
	v_mov_b32_e32 v18, 0
	v_mov_b32_e32 v15, 0
	s_and_saveexec_b32 s3, s0
	s_cbranch_execz .LBB200_9
; %bb.6:
	v_mad_u64_u32 v[7:8], null, v6, 22, 20
	v_mov_b32_e32 v10, 0
	v_mov_b32_e32 v11, v6
	;; [unrolled: 1-line block ×6, first 2 shown]
	s_mov_b32 s6, 0
.LBB200_7:                              ; =>This Inner Loop Header: Depth=1
	v_ashrrev_i32_e32 v12, 31, v11
	v_subrev_nc_u32_e32 v9, 20, v7
	v_mov_b32_e32 v8, v10
	v_mov_b32_e32 v13, v10
	v_lshlrev_b64 v[23:24], 2, v[11:12]
	v_lshlrev_b64 v[19:20], 3, v[9:10]
	v_subrev_nc_u32_e32 v9, 18, v7
	v_lshlrev_b64 v[21:22], 3, v[7:8]
	v_add_nc_u32_e32 v11, 32, v11
	v_add_co_u32 v23, s1, s10, v23
	v_add_co_ci_u32_e64 v24, null, s11, v24, s1
	v_lshlrev_b64 v[8:9], 3, v[9:10]
	v_add_co_u32 v47, vcc_lo, s12, v21
	global_load_dword v12, v[23:24], off
	v_add_co_u32 v19, s1, s12, v19
	v_add_co_ci_u32_e64 v48, null, s13, v22, vcc_lo
	v_add_co_u32 v8, vcc_lo, s12, v8
	v_add_co_ci_u32_e64 v20, null, s13, v20, s1
	v_add_co_ci_u32_e64 v9, null, s13, v9, vcc_lo
	s_clause 0x1
	global_load_dwordx4 v[19:22], v[19:20], off
	global_load_dwordx4 v[23:26], v[8:9], off
	s_waitcnt vmcnt(2)
	v_subrev_nc_u32_e32 v8, s2, v12
	v_mul_lo_u32 v12, v8, 11
	v_lshlrev_b64 v[27:28], 3, v[12:13]
	v_add_nc_u32_e32 v9, 1, v12
	v_lshlrev_b64 v[29:30], 3, v[9:10]
	v_add_co_u32 v27, vcc_lo, s14, v27
	v_add_co_ci_u32_e64 v28, null, s15, v28, vcc_lo
	v_add_nc_u32_e32 v9, -16, v7
	global_load_dwordx2 v[49:50], v[27:28], off
	v_add_co_u32 v27, vcc_lo, s14, v29
	v_add_co_ci_u32_e64 v28, null, s15, v30, vcc_lo
	v_lshlrev_b64 v[31:32], 3, v[9:10]
	v_add_nc_u32_e32 v9, 2, v12
	global_load_dwordx2 v[51:52], v[27:28], off
	v_lshlrev_b64 v[29:30], 3, v[9:10]
	v_add_co_u32 v27, vcc_lo, s12, v31
	v_add_co_ci_u32_e64 v28, null, s13, v32, vcc_lo
	v_add_nc_u32_e32 v9, -14, v7
	v_add_co_u32 v33, vcc_lo, s14, v29
	v_add_co_ci_u32_e64 v34, null, s15, v30, vcc_lo
	global_load_dwordx4 v[27:30], v[27:28], off
	v_lshlrev_b64 v[31:32], 3, v[9:10]
	v_add_nc_u32_e32 v9, 3, v12
	global_load_dwordx2 v[53:54], v[33:34], off
	v_lshlrev_b64 v[35:36], 3, v[9:10]
	v_add_nc_u32_e32 v9, -12, v7
	v_add_co_u32 v31, vcc_lo, s12, v31
	v_add_co_ci_u32_e64 v32, null, s13, v32, vcc_lo
	v_lshlrev_b64 v[37:38], 3, v[9:10]
	v_add_nc_u32_e32 v9, 4, v12
	v_add_co_u32 v35, vcc_lo, s14, v35
	v_add_co_ci_u32_e64 v36, null, s15, v36, vcc_lo
	v_lshlrev_b64 v[39:40], 3, v[9:10]
	v_add_nc_u32_e32 v9, -10, v7
	global_load_dwordx2 v[55:56], v[35:36], off
	global_load_dwordx4 v[31:34], v[31:32], off
	v_add_co_u32 v35, vcc_lo, s12, v37
	v_lshlrev_b64 v[41:42], 3, v[9:10]
	v_add_nc_u32_e32 v9, 5, v12
	v_add_co_ci_u32_e64 v36, null, s13, v38, vcc_lo
	v_add_co_u32 v39, vcc_lo, s14, v39
	v_add_co_ci_u32_e64 v40, null, s15, v40, vcc_lo
	v_lshlrev_b64 v[43:44], 3, v[9:10]
	v_add_nc_u32_e32 v9, -8, v7
	global_load_dwordx4 v[35:38], v[35:36], off
	global_load_dwordx2 v[57:58], v[39:40], off
	v_add_co_u32 v39, vcc_lo, s12, v41
	v_lshlrev_b64 v[45:46], 3, v[9:10]
	v_add_nc_u32_e32 v9, 6, v12
	v_add_co_ci_u32_e64 v40, null, s13, v42, vcc_lo
	v_add_co_u32 v43, vcc_lo, s14, v43
	v_add_co_ci_u32_e64 v44, null, s15, v44, vcc_lo
	v_lshlrev_b64 v[59:60], 3, v[9:10]
	v_add_nc_u32_e32 v9, -6, v7
	global_load_dwordx4 v[39:42], v[39:40], off
	global_load_dwordx2 v[61:62], v[43:44], off
	v_add_co_u32 v43, vcc_lo, s12, v45
	v_lshlrev_b64 v[63:64], 3, v[9:10]
	v_add_nc_u32_e32 v9, 7, v12
	v_add_co_ci_u32_e64 v44, null, s13, v46, vcc_lo
	v_add_co_u32 v59, vcc_lo, s14, v59
	v_add_co_ci_u32_e64 v60, null, s15, v60, vcc_lo
	global_load_dwordx4 v[43:46], v[43:44], off
	global_load_dwordx2 v[59:60], v[59:60], off
	s_waitcnt vmcnt(11)
	v_fmac_f32_e32 v17, v19, v49
	v_fmac_f32_e32 v18, v21, v49
	v_fmac_f32_e32 v14, v20, v49
	v_fmac_f32_e32 v15, v22, v49
	v_fma_f32 v8, -v20, v50, v17
	v_fma_f32 v13, -v22, v50, v18
	v_lshlrev_b64 v[17:18], 3, v[9:10]
	v_fmac_f32_e32 v14, v19, v50
	v_add_nc_u32_e32 v9, -4, v7
	v_fmac_f32_e32 v15, v21, v50
	v_add_co_u32 v19, vcc_lo, s12, v63
	v_add_co_ci_u32_e64 v20, null, s13, v64, vcc_lo
	v_lshlrev_b64 v[21:22], 3, v[9:10]
	v_add_nc_u32_e32 v9, 8, v12
	v_add_co_u32 v49, vcc_lo, s14, v17
	s_waitcnt vmcnt(10)
	v_fmac_f32_e32 v8, v23, v51
	v_fmac_f32_e32 v14, v24, v51
	v_add_co_ci_u32_e64 v50, null, s15, v18, vcc_lo
	v_fmac_f32_e32 v13, v25, v51
	v_fmac_f32_e32 v15, v26, v51
	v_fma_f32 v8, -v24, v52, v8
	v_fmac_f32_e32 v14, v23, v52
	v_lshlrev_b64 v[23:24], 3, v[9:10]
	v_add_nc_u32_e32 v9, -2, v7
	global_load_dwordx4 v[17:20], v[19:20], off
	v_fma_f32 v67, -v26, v52, v13
	v_fmac_f32_e32 v15, v25, v52
	global_load_dwordx2 v[51:52], v[49:50], off
	v_add_co_u32 v21, vcc_lo, s12, v21
	v_lshlrev_b64 v[25:26], 3, v[9:10]
	v_add_nc_u32_e32 v9, 9, v12
	v_add_co_ci_u32_e64 v22, null, s13, v22, vcc_lo
	v_add_co_u32 v49, vcc_lo, s14, v23
	v_add_co_ci_u32_e64 v50, null, s15, v24, vcc_lo
	v_lshlrev_b64 v[63:64], 3, v[9:10]
	s_waitcnt vmcnt(10)
	v_fmac_f32_e32 v15, v30, v53
	global_load_dwordx4 v[21:24], v[21:22], off
	global_load_dwordx2 v[65:66], v[49:50], off
	v_fmac_f32_e32 v67, v29, v53
	v_add_nc_u32_e32 v9, 10, v12
	v_add_co_u32 v12, vcc_lo, s12, v25
	v_fmac_f32_e32 v8, v27, v53
	v_add_co_ci_u32_e64 v13, null, s13, v26, vcc_lo
	v_fmac_f32_e32 v15, v29, v54
	v_add_co_u32 v29, vcc_lo, s14, v63
	v_fmac_f32_e32 v14, v28, v53
	v_fma_f32 v67, -v30, v54, v67
	v_add_co_ci_u32_e64 v30, null, s15, v64, vcc_lo
	v_fma_f32 v53, -v28, v54, v8
	v_lshlrev_b64 v[8:9], 3, v[9:10]
	v_fmac_f32_e32 v14, v27, v54
	global_load_dwordx4 v[25:28], v[12:13], off
	global_load_dwordx2 v[12:13], v[29:30], off
	s_waitcnt vmcnt(12)
	v_fmac_f32_e32 v67, v33, v55
	v_fmac_f32_e32 v53, v31, v55
	;; [unrolled: 1-line block ×3, first 2 shown]
	v_add_co_u32 v8, vcc_lo, s14, v8
	v_add_co_ci_u32_e64 v9, null, s15, v9, vcc_lo
	global_load_dwordx4 v[47:50], v[47:48], off
	global_load_dwordx2 v[8:9], v[8:9], off
	v_fmac_f32_e32 v14, v32, v55
	v_fma_f32 v29, -v32, v56, v53
	v_fma_f32 v30, -v34, v56, v67
	v_fmac_f32_e32 v15, v33, v56
	v_cmp_ge_i32_e32 vcc_lo, v11, v16
	v_fmac_f32_e32 v14, v31, v56
	s_waitcnt vmcnt(12)
	v_fmac_f32_e32 v29, v35, v57
	v_fmac_f32_e32 v30, v37, v57
	;; [unrolled: 1-line block ×3, first 2 shown]
	v_add_nc_u32_e32 v7, 0x2c0, v7
	v_fmac_f32_e32 v14, v36, v57
	v_fma_f32 v29, -v36, v58, v29
	v_fma_f32 v30, -v38, v58, v30
	v_fmac_f32_e32 v15, v37, v58
	s_or_b32 s6, vcc_lo, s6
	v_fmac_f32_e32 v14, v35, v58
	s_waitcnt vmcnt(10)
	v_fmac_f32_e32 v29, v39, v61
	v_fmac_f32_e32 v30, v41, v61
	;; [unrolled: 1-line block ×4, first 2 shown]
	v_fma_f32 v29, -v40, v62, v29
	v_fma_f32 v30, -v42, v62, v30
	v_fmac_f32_e32 v15, v41, v62
	v_fmac_f32_e32 v14, v39, v62
	s_waitcnt vmcnt(8)
	v_fmac_f32_e32 v29, v43, v59
	v_fmac_f32_e32 v30, v45, v59
	;; [unrolled: 1-line block ×4, first 2 shown]
	v_fma_f32 v29, -v44, v60, v29
	v_fma_f32 v30, -v46, v60, v30
	v_fmac_f32_e32 v15, v45, v60
	v_fmac_f32_e32 v14, v43, v60
	s_waitcnt vmcnt(6)
	v_fmac_f32_e32 v29, v17, v51
	v_fmac_f32_e32 v14, v18, v51
	v_fmac_f32_e32 v30, v19, v51
	v_fmac_f32_e32 v15, v20, v51
	v_fma_f32 v18, -v18, v52, v29
	v_fmac_f32_e32 v14, v17, v52
	v_fma_f32 v17, -v20, v52, v30
	v_fmac_f32_e32 v15, v19, v52
	s_waitcnt vmcnt(4)
	v_fmac_f32_e32 v18, v21, v65
	v_fmac_f32_e32 v14, v22, v65
	v_fmac_f32_e32 v17, v23, v65
	v_fmac_f32_e32 v15, v24, v65
	v_fma_f32 v18, -v22, v66, v18
	v_fmac_f32_e32 v14, v21, v66
	v_fma_f32 v17, -v24, v66, v17
	v_fmac_f32_e32 v15, v23, v66
	s_waitcnt vmcnt(2)
	v_fmac_f32_e32 v18, v25, v12
	v_fmac_f32_e32 v14, v26, v12
	v_fmac_f32_e32 v17, v27, v12
	v_fmac_f32_e32 v15, v28, v12
	v_fma_f32 v12, -v26, v13, v18
	v_fmac_f32_e32 v14, v25, v13
	v_fma_f32 v18, -v28, v13, v17
	v_fmac_f32_e32 v15, v27, v13
	s_waitcnt vmcnt(0)
	v_fmac_f32_e32 v12, v47, v8
	v_fmac_f32_e32 v14, v48, v8
	v_fmac_f32_e32 v18, v49, v8
	v_fmac_f32_e32 v15, v50, v8
	v_fma_f32 v17, -v48, v9, v12
	v_fmac_f32_e32 v14, v47, v9
	v_fma_f32 v18, -v50, v9, v18
	v_fmac_f32_e32 v15, v49, v9
	s_andn2_b32 exec_lo, exec_lo, s6
	s_cbranch_execnz .LBB200_7
; %bb.8:
	s_or_b32 exec_lo, exec_lo, s6
.LBB200_9:
	s_or_b32 exec_lo, exec_lo, s3
	s_cbranch_execz .LBB200_11
	s_branch .LBB200_16
.LBB200_10:
                                        ; implicit-def: $vgpr14
                                        ; implicit-def: $vgpr17
                                        ; implicit-def: $vgpr18
                                        ; implicit-def: $vgpr15
.LBB200_11:
	v_mov_b32_e32 v14, 0
	v_mov_b32_e32 v17, 0
	;; [unrolled: 1-line block ×4, first 2 shown]
	s_and_saveexec_b32 s1, s0
	s_cbranch_execz .LBB200_15
; %bb.12:
	v_mad_u64_u32 v[8:9], null, v6, 22, 21
	v_mov_b32_e32 v11, 0
	v_mov_b32_e32 v14, 0
	;; [unrolled: 1-line block ×5, first 2 shown]
	s_mov_b32 s0, 0
.LBB200_13:                             ; =>This Inner Loop Header: Depth=1
	v_ashrrev_i32_e32 v7, 31, v6
	v_subrev_nc_u32_e32 v10, 21, v8
	v_add_nc_u32_e32 v19, -10, v8
	v_mov_b32_e32 v20, v11
	v_mov_b32_e32 v9, v11
	v_lshlrev_b64 v[21:22], 2, v[6:7]
	v_lshlrev_b64 v[23:24], 3, v[10:11]
	v_mov_b32_e32 v13, v11
	v_lshlrev_b64 v[19:20], 3, v[19:20]
	v_lshlrev_b64 v[9:10], 3, v[8:9]
	v_add_nc_u32_e32 v6, 32, v6
	v_add_co_u32 v21, vcc_lo, s10, v21
	v_add_co_ci_u32_e64 v22, null, s11, v22, vcc_lo
	v_add_co_u32 v23, vcc_lo, s12, v23
	v_add_co_ci_u32_e64 v24, null, s13, v24, vcc_lo
	global_load_dword v7, v[21:22], off
	v_add_co_u32 v19, vcc_lo, s12, v19
	v_add_co_ci_u32_e64 v20, null, s13, v20, vcc_lo
	v_add_co_u32 v25, vcc_lo, s12, v9
	v_add_co_ci_u32_e64 v26, null, s13, v10, vcc_lo
	s_waitcnt vmcnt(0)
	v_subrev_nc_u32_e32 v7, s2, v7
	v_mul_lo_u32 v12, v7, 11
	v_add_nc_u32_e32 v10, 1, v12
	v_lshlrev_b64 v[21:22], 3, v[12:13]
	v_lshlrev_b64 v[27:28], 3, v[10:11]
	v_add_nc_u32_e32 v10, -9, v8
	v_add_co_u32 v21, vcc_lo, s14, v21
	v_add_co_ci_u32_e64 v22, null, s15, v22, vcc_lo
	v_lshlrev_b64 v[29:30], 3, v[10:11]
	v_subrev_nc_u32_e32 v10, 19, v8
	v_add_co_u32 v27, vcc_lo, s14, v27
	v_add_co_ci_u32_e64 v28, null, s15, v28, vcc_lo
	v_lshlrev_b64 v[31:32], 3, v[10:11]
	v_add_nc_u32_e32 v10, 2, v12
	v_add_co_u32 v29, vcc_lo, s12, v29
	v_add_co_ci_u32_e64 v30, null, s13, v30, vcc_lo
	v_lshlrev_b64 v[33:34], 3, v[10:11]
	v_add_nc_u32_e32 v10, -8, v8
	v_add_co_u32 v31, vcc_lo, s12, v31
	v_add_co_ci_u32_e64 v32, null, s13, v32, vcc_lo
	v_lshlrev_b64 v[35:36], 3, v[10:11]
	v_subrev_nc_u32_e32 v10, 18, v8
	v_add_co_u32 v33, vcc_lo, s14, v33
	v_add_co_ci_u32_e64 v34, null, s15, v34, vcc_lo
	v_lshlrev_b64 v[37:38], 3, v[10:11]
	v_add_nc_u32_e32 v10, 3, v12
	v_add_co_u32 v35, vcc_lo, s12, v35
	v_add_co_ci_u32_e64 v36, null, s13, v36, vcc_lo
	;; [unrolled: 12-line block ×3, first 2 shown]
	v_lshlrev_b64 v[45:46], 3, v[10:11]
	v_add_nc_u32_e32 v10, -6, v8
	v_add_co_u32 v43, vcc_lo, s12, v43
	v_add_co_ci_u32_e64 v44, null, s13, v44, vcc_lo
	v_lshlrev_b64 v[47:48], 3, v[10:11]
	v_add_nc_u32_e32 v10, -16, v8
	v_add_co_u32 v45, vcc_lo, s14, v45
	v_add_co_ci_u32_e64 v46, null, s15, v46, vcc_lo
	v_lshlrev_b64 v[49:50], 3, v[10:11]
	v_add_nc_u32_e32 v10, 5, v12
	v_add_co_u32 v47, vcc_lo, s12, v47
	v_add_co_ci_u32_e64 v48, null, s13, v48, vcc_lo
	v_lshlrev_b64 v[51:52], 3, v[10:11]
	v_add_nc_u32_e32 v10, -5, v8
	v_add_co_u32 v49, vcc_lo, s12, v49
	v_add_co_ci_u32_e64 v50, null, s13, v50, vcc_lo
	v_lshlrev_b64 v[53:54], 3, v[10:11]
	v_add_nc_u32_e32 v10, -15, v8
	v_add_co_u32 v51, vcc_lo, s14, v51
	v_add_co_ci_u32_e64 v52, null, s15, v52, vcc_lo
	v_lshlrev_b64 v[55:56], 3, v[10:11]
	v_add_nc_u32_e32 v10, 6, v12
	v_add_co_u32 v53, vcc_lo, s12, v53
	v_add_co_ci_u32_e64 v54, null, s13, v54, vcc_lo
	v_lshlrev_b64 v[57:58], 3, v[10:11]
	v_add_nc_u32_e32 v10, -4, v8
	v_add_co_u32 v55, vcc_lo, s12, v55
	v_add_co_ci_u32_e64 v56, null, s13, v56, vcc_lo
	v_lshlrev_b64 v[59:60], 3, v[10:11]
	v_add_nc_u32_e32 v10, -14, v8
	v_add_co_u32 v57, vcc_lo, s14, v57
	v_add_co_ci_u32_e64 v58, null, s15, v58, vcc_lo
	v_lshlrev_b64 v[61:62], 3, v[10:11]
	v_add_nc_u32_e32 v10, 7, v12
	v_add_co_u32 v59, vcc_lo, s12, v59
	v_add_co_ci_u32_e64 v60, null, s13, v60, vcc_lo
	v_lshlrev_b64 v[9:10], 3, v[10:11]
	v_add_co_u32 v61, vcc_lo, s12, v61
	v_add_co_ci_u32_e64 v62, null, s13, v62, vcc_lo
	v_add_co_u32 v63, vcc_lo, s14, v9
	v_add_co_ci_u32_e64 v64, null, s15, v10, vcc_lo
	global_load_dwordx2 v[9:10], v[19:20], off
	global_load_dwordx2 v[65:66], v[21:22], off
	s_waitcnt vmcnt(0)
	v_fmac_f32_e32 v18, v9, v65
	v_fmac_f32_e32 v15, v10, v65
	v_fma_f32 v7, -v10, v66, v18
	global_load_dwordx4 v[18:21], v[23:24], off
	global_load_dwordx2 v[22:23], v[27:28], off
	s_clause 0x1
	global_load_dwordx2 v[27:28], v[29:30], off
	global_load_dwordx2 v[29:30], v[31:32], off
	v_add_nc_u32_e32 v10, -3, v8
	v_fmac_f32_e32 v15, v9, v66
	s_waitcnt vmcnt(3)
	v_fmac_f32_e32 v14, v19, v65
	v_fmac_f32_e32 v17, v18, v65
	s_waitcnt vmcnt(1)
	v_fmac_f32_e32 v7, v27, v22
	v_fmac_f32_e32 v15, v28, v22
	;; [unrolled: 1-line block ×3, first 2 shown]
	v_fma_f32 v9, -v19, v66, v17
	v_lshlrev_b64 v[17:18], 3, v[10:11]
	v_add_nc_u32_e32 v10, -13, v8
	v_fma_f32 v7, -v28, v23, v7
	v_fmac_f32_e32 v14, v21, v22
	v_fmac_f32_e32 v9, v20, v22
	;; [unrolled: 1-line block ×3, first 2 shown]
	v_add_co_u32 v17, vcc_lo, s12, v17
	v_fmac_f32_e32 v14, v20, v23
	v_lshlrev_b64 v[19:20], 3, v[10:11]
	v_add_nc_u32_e32 v10, 8, v12
	v_add_co_ci_u32_e64 v18, null, s13, v18, vcc_lo
	v_fma_f32 v13, -v21, v23, v9
	v_lshlrev_b64 v[31:32], 3, v[10:11]
	v_add_co_u32 v19, vcc_lo, s12, v19
	v_add_co_ci_u32_e64 v20, null, s13, v20, vcc_lo
	v_add_nc_u32_e32 v10, -2, v8
	v_add_co_u32 v23, vcc_lo, s14, v31
	v_add_co_ci_u32_e64 v24, null, s15, v32, vcc_lo
	global_load_dwordx2 v[31:32], v[33:34], off
	s_clause 0x1
	global_load_dwordx2 v[33:34], v[35:36], off
	global_load_dwordx2 v[35:36], v[37:38], off
	v_lshlrev_b64 v[21:22], 3, v[10:11]
	v_add_nc_u32_e32 v10, -12, v8
	v_lshlrev_b64 v[9:10], 3, v[10:11]
	v_add_co_u32 v21, vcc_lo, s12, v21
	v_add_co_ci_u32_e64 v22, null, s13, v22, vcc_lo
	v_add_co_u32 v27, vcc_lo, s12, v9
	v_add_co_ci_u32_e64 v28, null, s13, v10, vcc_lo
	v_add_nc_u32_e32 v10, 9, v12
	s_waitcnt vmcnt(2)
	v_fmac_f32_e32 v13, v29, v31
	v_fmac_f32_e32 v14, v30, v31
	s_waitcnt vmcnt(1)
	v_fmac_f32_e32 v7, v33, v31
	v_fmac_f32_e32 v15, v34, v31
	v_fma_f32 v65, -v30, v32, v13
	v_fmac_f32_e32 v14, v29, v32
	v_lshlrev_b64 v[29:30], 3, v[10:11]
	v_add_nc_u32_e32 v10, -1, v8
	v_fma_f32 v7, -v34, v32, v7
	v_fmac_f32_e32 v15, v33, v32
	v_lshlrev_b64 v[31:32], 3, v[10:11]
	v_add_nc_u32_e32 v10, -11, v8
	v_add_co_u32 v29, vcc_lo, s14, v29
	v_add_co_ci_u32_e64 v30, null, s15, v30, vcc_lo
	v_lshlrev_b64 v[33:34], 3, v[10:11]
	v_add_nc_u32_e32 v10, 10, v12
	v_add_co_u32 v12, vcc_lo, s12, v31
	v_add_co_ci_u32_e64 v13, null, s13, v32, vcc_lo
	v_lshlrev_b64 v[9:10], 3, v[10:11]
	v_add_co_u32 v31, vcc_lo, s12, v33
	v_add_co_ci_u32_e64 v32, null, s13, v34, vcc_lo
	v_add_nc_u32_e32 v8, 0x2c0, v8
	v_add_co_u32 v9, vcc_lo, s14, v9
	v_add_co_ci_u32_e64 v10, null, s15, v10, vcc_lo
	global_load_dwordx2 v[33:34], v[39:40], off
	s_clause 0x1
	global_load_dwordx2 v[37:38], v[41:42], off
	global_load_dwordx2 v[39:40], v[43:44], off
	global_load_dwordx2 v[41:42], v[45:46], off
	s_clause 0x1
	global_load_dwordx2 v[43:44], v[47:48], off
	global_load_dwordx2 v[45:46], v[49:50], off
	;; [unrolled: 4-line block ×7, first 2 shown]
	global_load_dwordx2 v[31:32], v[31:32], off
	global_load_dwordx2 v[9:10], v[9:10], off
	v_cmp_ge_i32_e32 vcc_lo, v6, v16
	s_or_b32 s0, vcc_lo, s0
	s_waitcnt vmcnt(22)
	v_fmac_f32_e32 v65, v35, v33
	v_fmac_f32_e32 v14, v36, v33
	s_waitcnt vmcnt(21)
	v_fmac_f32_e32 v7, v37, v33
	v_fmac_f32_e32 v15, v38, v33
	v_fma_f32 v33, -v36, v34, v65
	v_fmac_f32_e32 v14, v35, v34
	v_fma_f32 v7, -v38, v34, v7
	v_fmac_f32_e32 v15, v37, v34
	s_waitcnt vmcnt(19)
	v_fmac_f32_e32 v33, v39, v41
	v_fmac_f32_e32 v14, v40, v41
	s_waitcnt vmcnt(18)
	v_fmac_f32_e32 v7, v43, v41
	v_fmac_f32_e32 v15, v44, v41
	v_fma_f32 v33, -v40, v42, v33
	v_fmac_f32_e32 v14, v39, v42
	v_fma_f32 v7, -v44, v42, v7
	v_fmac_f32_e32 v15, v43, v42
	;; [unrolled: 10-line block ×7, first 2 shown]
	s_waitcnt vmcnt(0)
	v_fmac_f32_e32 v17, v31, v9
	v_fmac_f32_e32 v14, v32, v9
	;; [unrolled: 1-line block ×4, first 2 shown]
	v_fma_f32 v17, -v32, v10, v17
	v_fmac_f32_e32 v14, v31, v10
	v_fma_f32 v18, -v26, v10, v7
	v_fmac_f32_e32 v15, v25, v10
	s_andn2_b32 exec_lo, exec_lo, s0
	s_cbranch_execnz .LBB200_13
; %bb.14:
	s_or_b32 exec_lo, exec_lo, s0
.LBB200_15:
	s_or_b32 exec_lo, exec_lo, s1
.LBB200_16:
	v_mbcnt_lo_u32_b32 v6, -1, 0
	v_xor_b32_e32 v7, 16, v6
	v_xor_b32_e32 v11, 8, v6
	v_cmp_gt_i32_e32 vcc_lo, 32, v7
	v_cndmask_b32_e32 v7, v6, v7, vcc_lo
	v_cmp_gt_i32_e32 vcc_lo, 32, v11
	v_lshlrev_b32_e32 v7, 2, v7
	v_cndmask_b32_e32 v11, v6, v11, vcc_lo
	ds_bpermute_b32 v8, v7, v17
	ds_bpermute_b32 v9, v7, v14
	ds_bpermute_b32 v10, v7, v18
	ds_bpermute_b32 v7, v7, v15
	v_lshlrev_b32_e32 v11, 2, v11
	s_waitcnt lgkmcnt(3)
	v_add_f32_e32 v8, v17, v8
	s_waitcnt lgkmcnt(2)
	v_add_f32_e32 v9, v14, v9
	;; [unrolled: 2-line block ×4, first 2 shown]
	v_xor_b32_e32 v15, 4, v6
	ds_bpermute_b32 v12, v11, v8
	ds_bpermute_b32 v13, v11, v9
	;; [unrolled: 1-line block ×4, first 2 shown]
	v_cmp_gt_i32_e32 vcc_lo, 32, v15
	v_cndmask_b32_e32 v15, v6, v15, vcc_lo
	v_lshlrev_b32_e32 v15, 2, v15
	s_waitcnt lgkmcnt(3)
	v_add_f32_e32 v8, v8, v12
	s_waitcnt lgkmcnt(2)
	v_add_f32_e32 v9, v9, v13
	;; [unrolled: 2-line block ×4, first 2 shown]
	ds_bpermute_b32 v11, v15, v8
	ds_bpermute_b32 v12, v15, v9
	;; [unrolled: 1-line block ×4, first 2 shown]
	v_xor_b32_e32 v15, 2, v6
	v_cmp_gt_i32_e32 vcc_lo, 32, v15
	v_cndmask_b32_e32 v15, v6, v15, vcc_lo
	v_lshlrev_b32_e32 v15, 2, v15
	s_waitcnt lgkmcnt(3)
	v_add_f32_e32 v8, v8, v11
	s_waitcnt lgkmcnt(2)
	v_add_f32_e32 v9, v9, v12
	;; [unrolled: 2-line block ×4, first 2 shown]
	ds_bpermute_b32 v11, v15, v8
	ds_bpermute_b32 v12, v15, v9
	;; [unrolled: 1-line block ×4, first 2 shown]
	v_xor_b32_e32 v15, 1, v6
	v_cmp_gt_i32_e32 vcc_lo, 32, v15
	v_cndmask_b32_e32 v6, v6, v15, vcc_lo
	v_cmp_eq_u32_e32 vcc_lo, 31, v0
	v_lshlrev_b32_e32 v15, 2, v6
	s_waitcnt lgkmcnt(3)
	v_add_f32_e32 v8, v8, v11
	s_waitcnt lgkmcnt(2)
	v_add_f32_e32 v9, v9, v12
	;; [unrolled: 2-line block ×4, first 2 shown]
	ds_bpermute_b32 v12, v15, v8
	ds_bpermute_b32 v13, v15, v9
	;; [unrolled: 1-line block ×4, first 2 shown]
	s_and_b32 exec_lo, exec_lo, vcc_lo
	s_cbranch_execz .LBB200_21
; %bb.17:
	s_load_dwordx2 s[2:3], s[4:5], 0x38
	v_cmp_eq_f32_e32 vcc_lo, 0, v3
	v_cmp_eq_f32_e64 s0, 0, v4
	s_waitcnt lgkmcnt(0)
	v_add_f32_e32 v0, v8, v12
	v_add_f32_e32 v8, v9, v13
	;; [unrolled: 1-line block ×4, first 2 shown]
	s_and_b32 s0, vcc_lo, s0
	s_and_saveexec_b32 s1, s0
	s_xor_b32 s0, exec_lo, s1
	s_cbranch_execz .LBB200_19
; %bb.18:
	v_lshlrev_b32_e32 v3, 1, v5
	v_mul_f32_e64 v9, v8, -v2
	v_mul_f32_e32 v10, v1, v8
	v_mul_f32_e64 v11, v7, -v2
	v_mul_f32_e32 v12, v1, v7
	v_ashrrev_i32_e32 v4, 31, v3
	v_fmac_f32_e32 v9, v1, v0
	v_fmac_f32_e32 v10, v2, v0
	;; [unrolled: 1-line block ×4, first 2 shown]
	v_lshlrev_b64 v[3:4], 3, v[3:4]
                                        ; implicit-def: $vgpr5
                                        ; implicit-def: $vgpr8
                                        ; implicit-def: $vgpr7
                                        ; implicit-def: $vgpr6
	v_add_co_u32 v0, vcc_lo, s2, v3
	v_add_co_ci_u32_e64 v1, null, s3, v4, vcc_lo
                                        ; implicit-def: $vgpr3_vgpr4
	global_store_dwordx4 v[0:1], v[9:12], off
                                        ; implicit-def: $vgpr1_vgpr2
                                        ; implicit-def: $vgpr0
.LBB200_19:
	s_andn2_saveexec_b32 s0, s0
	s_cbranch_execz .LBB200_21
; %bb.20:
	v_lshlrev_b32_e32 v9, 1, v5
	v_mul_f32_e64 v5, v8, -v2
	v_mul_f32_e32 v14, v1, v8
	v_mul_f32_e64 v8, v7, -v2
	v_mul_f32_e32 v16, v1, v7
	v_ashrrev_i32_e32 v10, 31, v9
	v_fmac_f32_e32 v5, v1, v0
	v_fmac_f32_e32 v14, v2, v0
	;; [unrolled: 1-line block ×4, first 2 shown]
	v_lshlrev_b64 v[9:10], 3, v[9:10]
	v_add_co_u32 v17, vcc_lo, s2, v9
	v_add_co_ci_u32_e64 v18, null, s3, v10, vcc_lo
	global_load_dwordx4 v[9:12], v[17:18], off
	s_waitcnt vmcnt(0)
	v_fmac_f32_e32 v5, v3, v9
	v_fmac_f32_e32 v14, v4, v9
	;; [unrolled: 1-line block ×4, first 2 shown]
	v_fma_f32 v13, -v4, v10, v5
	v_fmac_f32_e32 v14, v3, v10
	v_fma_f32 v15, -v4, v12, v8
	v_fmac_f32_e32 v16, v3, v12
	global_store_dwordx4 v[17:18], v[13:16], off
.LBB200_21:
	s_endpgm
	.section	.rodata,"a",@progbits
	.p2align	6, 0x0
	.amdhsa_kernel _ZN9rocsparseL19gebsrmvn_2xn_kernelILj128ELj11ELj32E21rocsparse_complex_numIfEEEvi20rocsparse_direction_NS_24const_host_device_scalarIT2_EEPKiS8_PKS5_SA_S6_PS5_21rocsparse_index_base_b
		.amdhsa_group_segment_fixed_size 0
		.amdhsa_private_segment_fixed_size 0
		.amdhsa_kernarg_size 72
		.amdhsa_user_sgpr_count 6
		.amdhsa_user_sgpr_private_segment_buffer 1
		.amdhsa_user_sgpr_dispatch_ptr 0
		.amdhsa_user_sgpr_queue_ptr 0
		.amdhsa_user_sgpr_kernarg_segment_ptr 1
		.amdhsa_user_sgpr_dispatch_id 0
		.amdhsa_user_sgpr_flat_scratch_init 0
		.amdhsa_user_sgpr_private_segment_size 0
		.amdhsa_wavefront_size32 1
		.amdhsa_uses_dynamic_stack 0
		.amdhsa_system_sgpr_private_segment_wavefront_offset 0
		.amdhsa_system_sgpr_workgroup_id_x 1
		.amdhsa_system_sgpr_workgroup_id_y 0
		.amdhsa_system_sgpr_workgroup_id_z 0
		.amdhsa_system_sgpr_workgroup_info 0
		.amdhsa_system_vgpr_workitem_id 0
		.amdhsa_next_free_vgpr 68
		.amdhsa_next_free_sgpr 16
		.amdhsa_reserve_vcc 1
		.amdhsa_reserve_flat_scratch 0
		.amdhsa_float_round_mode_32 0
		.amdhsa_float_round_mode_16_64 0
		.amdhsa_float_denorm_mode_32 3
		.amdhsa_float_denorm_mode_16_64 3
		.amdhsa_dx10_clamp 1
		.amdhsa_ieee_mode 1
		.amdhsa_fp16_overflow 0
		.amdhsa_workgroup_processor_mode 1
		.amdhsa_memory_ordered 1
		.amdhsa_forward_progress 1
		.amdhsa_shared_vgpr_count 0
		.amdhsa_exception_fp_ieee_invalid_op 0
		.amdhsa_exception_fp_denorm_src 0
		.amdhsa_exception_fp_ieee_div_zero 0
		.amdhsa_exception_fp_ieee_overflow 0
		.amdhsa_exception_fp_ieee_underflow 0
		.amdhsa_exception_fp_ieee_inexact 0
		.amdhsa_exception_int_div_zero 0
	.end_amdhsa_kernel
	.section	.text._ZN9rocsparseL19gebsrmvn_2xn_kernelILj128ELj11ELj32E21rocsparse_complex_numIfEEEvi20rocsparse_direction_NS_24const_host_device_scalarIT2_EEPKiS8_PKS5_SA_S6_PS5_21rocsparse_index_base_b,"axG",@progbits,_ZN9rocsparseL19gebsrmvn_2xn_kernelILj128ELj11ELj32E21rocsparse_complex_numIfEEEvi20rocsparse_direction_NS_24const_host_device_scalarIT2_EEPKiS8_PKS5_SA_S6_PS5_21rocsparse_index_base_b,comdat
.Lfunc_end200:
	.size	_ZN9rocsparseL19gebsrmvn_2xn_kernelILj128ELj11ELj32E21rocsparse_complex_numIfEEEvi20rocsparse_direction_NS_24const_host_device_scalarIT2_EEPKiS8_PKS5_SA_S6_PS5_21rocsparse_index_base_b, .Lfunc_end200-_ZN9rocsparseL19gebsrmvn_2xn_kernelILj128ELj11ELj32E21rocsparse_complex_numIfEEEvi20rocsparse_direction_NS_24const_host_device_scalarIT2_EEPKiS8_PKS5_SA_S6_PS5_21rocsparse_index_base_b
                                        ; -- End function
	.set _ZN9rocsparseL19gebsrmvn_2xn_kernelILj128ELj11ELj32E21rocsparse_complex_numIfEEEvi20rocsparse_direction_NS_24const_host_device_scalarIT2_EEPKiS8_PKS5_SA_S6_PS5_21rocsparse_index_base_b.num_vgpr, 68
	.set _ZN9rocsparseL19gebsrmvn_2xn_kernelILj128ELj11ELj32E21rocsparse_complex_numIfEEEvi20rocsparse_direction_NS_24const_host_device_scalarIT2_EEPKiS8_PKS5_SA_S6_PS5_21rocsparse_index_base_b.num_agpr, 0
	.set _ZN9rocsparseL19gebsrmvn_2xn_kernelILj128ELj11ELj32E21rocsparse_complex_numIfEEEvi20rocsparse_direction_NS_24const_host_device_scalarIT2_EEPKiS8_PKS5_SA_S6_PS5_21rocsparse_index_base_b.numbered_sgpr, 16
	.set _ZN9rocsparseL19gebsrmvn_2xn_kernelILj128ELj11ELj32E21rocsparse_complex_numIfEEEvi20rocsparse_direction_NS_24const_host_device_scalarIT2_EEPKiS8_PKS5_SA_S6_PS5_21rocsparse_index_base_b.num_named_barrier, 0
	.set _ZN9rocsparseL19gebsrmvn_2xn_kernelILj128ELj11ELj32E21rocsparse_complex_numIfEEEvi20rocsparse_direction_NS_24const_host_device_scalarIT2_EEPKiS8_PKS5_SA_S6_PS5_21rocsparse_index_base_b.private_seg_size, 0
	.set _ZN9rocsparseL19gebsrmvn_2xn_kernelILj128ELj11ELj32E21rocsparse_complex_numIfEEEvi20rocsparse_direction_NS_24const_host_device_scalarIT2_EEPKiS8_PKS5_SA_S6_PS5_21rocsparse_index_base_b.uses_vcc, 1
	.set _ZN9rocsparseL19gebsrmvn_2xn_kernelILj128ELj11ELj32E21rocsparse_complex_numIfEEEvi20rocsparse_direction_NS_24const_host_device_scalarIT2_EEPKiS8_PKS5_SA_S6_PS5_21rocsparse_index_base_b.uses_flat_scratch, 0
	.set _ZN9rocsparseL19gebsrmvn_2xn_kernelILj128ELj11ELj32E21rocsparse_complex_numIfEEEvi20rocsparse_direction_NS_24const_host_device_scalarIT2_EEPKiS8_PKS5_SA_S6_PS5_21rocsparse_index_base_b.has_dyn_sized_stack, 0
	.set _ZN9rocsparseL19gebsrmvn_2xn_kernelILj128ELj11ELj32E21rocsparse_complex_numIfEEEvi20rocsparse_direction_NS_24const_host_device_scalarIT2_EEPKiS8_PKS5_SA_S6_PS5_21rocsparse_index_base_b.has_recursion, 0
	.set _ZN9rocsparseL19gebsrmvn_2xn_kernelILj128ELj11ELj32E21rocsparse_complex_numIfEEEvi20rocsparse_direction_NS_24const_host_device_scalarIT2_EEPKiS8_PKS5_SA_S6_PS5_21rocsparse_index_base_b.has_indirect_call, 0
	.section	.AMDGPU.csdata,"",@progbits
; Kernel info:
; codeLenInByte = 4248
; TotalNumSgprs: 18
; NumVgprs: 68
; ScratchSize: 0
; MemoryBound: 0
; FloatMode: 240
; IeeeMode: 1
; LDSByteSize: 0 bytes/workgroup (compile time only)
; SGPRBlocks: 0
; VGPRBlocks: 8
; NumSGPRsForWavesPerEU: 18
; NumVGPRsForWavesPerEU: 68
; Occupancy: 12
; WaveLimiterHint : 1
; COMPUTE_PGM_RSRC2:SCRATCH_EN: 0
; COMPUTE_PGM_RSRC2:USER_SGPR: 6
; COMPUTE_PGM_RSRC2:TRAP_HANDLER: 0
; COMPUTE_PGM_RSRC2:TGID_X_EN: 1
; COMPUTE_PGM_RSRC2:TGID_Y_EN: 0
; COMPUTE_PGM_RSRC2:TGID_Z_EN: 0
; COMPUTE_PGM_RSRC2:TIDIG_COMP_CNT: 0
	.section	.text._ZN9rocsparseL19gebsrmvn_2xn_kernelILj128ELj11ELj64E21rocsparse_complex_numIfEEEvi20rocsparse_direction_NS_24const_host_device_scalarIT2_EEPKiS8_PKS5_SA_S6_PS5_21rocsparse_index_base_b,"axG",@progbits,_ZN9rocsparseL19gebsrmvn_2xn_kernelILj128ELj11ELj64E21rocsparse_complex_numIfEEEvi20rocsparse_direction_NS_24const_host_device_scalarIT2_EEPKiS8_PKS5_SA_S6_PS5_21rocsparse_index_base_b,comdat
	.globl	_ZN9rocsparseL19gebsrmvn_2xn_kernelILj128ELj11ELj64E21rocsparse_complex_numIfEEEvi20rocsparse_direction_NS_24const_host_device_scalarIT2_EEPKiS8_PKS5_SA_S6_PS5_21rocsparse_index_base_b ; -- Begin function _ZN9rocsparseL19gebsrmvn_2xn_kernelILj128ELj11ELj64E21rocsparse_complex_numIfEEEvi20rocsparse_direction_NS_24const_host_device_scalarIT2_EEPKiS8_PKS5_SA_S6_PS5_21rocsparse_index_base_b
	.p2align	8
	.type	_ZN9rocsparseL19gebsrmvn_2xn_kernelILj128ELj11ELj64E21rocsparse_complex_numIfEEEvi20rocsparse_direction_NS_24const_host_device_scalarIT2_EEPKiS8_PKS5_SA_S6_PS5_21rocsparse_index_base_b,@function
_ZN9rocsparseL19gebsrmvn_2xn_kernelILj128ELj11ELj64E21rocsparse_complex_numIfEEEvi20rocsparse_direction_NS_24const_host_device_scalarIT2_EEPKiS8_PKS5_SA_S6_PS5_21rocsparse_index_base_b: ; @_ZN9rocsparseL19gebsrmvn_2xn_kernelILj128ELj11ELj64E21rocsparse_complex_numIfEEEvi20rocsparse_direction_NS_24const_host_device_scalarIT2_EEPKiS8_PKS5_SA_S6_PS5_21rocsparse_index_base_b
; %bb.0:
	s_clause 0x2
	s_load_dwordx2 s[2:3], s[4:5], 0x40
	s_load_dwordx2 s[0:1], s[4:5], 0x8
	;; [unrolled: 1-line block ×3, first 2 shown]
	s_add_u32 s7, s4, 8
	s_addc_u32 s10, s5, 0
	s_add_u32 s11, s4, 48
	s_addc_u32 s12, s5, 0
	s_waitcnt lgkmcnt(0)
	s_bitcmp1_b32 s3, 0
	s_cselect_b32 s0, s7, s0
	s_cselect_b32 s1, s10, s1
	v_mov_b32_e32 v1, s0
	v_mov_b32_e32 v2, s1
	s_cselect_b32 s0, s11, s8
	s_cselect_b32 s1, s12, s9
	v_mov_b32_e32 v3, s0
	v_mov_b32_e32 v4, s1
	flat_load_dwordx2 v[1:2], v[1:2]
	flat_load_dwordx2 v[3:4], v[3:4]
	s_waitcnt vmcnt(1) lgkmcnt(1)
	v_cmp_eq_f32_e32 vcc_lo, 0, v1
	v_cmp_eq_f32_e64 s0, 0, v2
	s_and_b32 s3, vcc_lo, s0
	s_mov_b32 s0, -1
	s_and_saveexec_b32 s1, s3
	s_cbranch_execz .LBB201_2
; %bb.1:
	s_waitcnt vmcnt(0) lgkmcnt(0)
	v_cmp_neq_f32_e32 vcc_lo, 1.0, v3
	v_cmp_neq_f32_e64 s0, 0, v4
	s_or_b32 s0, vcc_lo, s0
	s_orn2_b32 s0, s0, exec_lo
.LBB201_2:
	s_or_b32 exec_lo, exec_lo, s1
	s_and_saveexec_b32 s1, s0
	s_cbranch_execz .LBB201_21
; %bb.3:
	s_load_dwordx2 s[0:1], s[4:5], 0x0
	v_lshrrev_b32_e32 v5, 6, v0
	v_lshl_or_b32 v5, s6, 1, v5
	s_waitcnt lgkmcnt(0)
	v_cmp_gt_i32_e32 vcc_lo, s0, v5
	s_and_b32 exec_lo, exec_lo, vcc_lo
	s_cbranch_execz .LBB201_21
; %bb.4:
	s_load_dwordx8 s[8:15], s[4:5], 0x10
	v_ashrrev_i32_e32 v6, 31, v5
	v_and_b32_e32 v0, 63, v0
	s_cmp_lg_u32 s1, 0
	v_lshlrev_b64 v[6:7], 2, v[5:6]
	s_waitcnt lgkmcnt(0)
	v_add_co_u32 v6, vcc_lo, s8, v6
	v_add_co_ci_u32_e64 v7, null, s9, v7, vcc_lo
	global_load_dwordx2 v[6:7], v[6:7], off
	s_waitcnt vmcnt(0)
	v_subrev_nc_u32_e32 v6, s2, v6
	v_subrev_nc_u32_e32 v16, s2, v7
	v_add_nc_u32_e32 v6, v6, v0
	v_cmp_lt_i32_e64 s0, v6, v16
	s_cbranch_scc0 .LBB201_10
; %bb.5:
	v_mov_b32_e32 v14, 0
	v_mov_b32_e32 v17, 0
	;; [unrolled: 1-line block ×4, first 2 shown]
	s_and_saveexec_b32 s3, s0
	s_cbranch_execz .LBB201_9
; %bb.6:
	v_mad_u64_u32 v[7:8], null, v6, 22, 20
	v_mov_b32_e32 v10, 0
	v_mov_b32_e32 v11, v6
	;; [unrolled: 1-line block ×6, first 2 shown]
	s_mov_b32 s6, 0
.LBB201_7:                              ; =>This Inner Loop Header: Depth=1
	v_ashrrev_i32_e32 v12, 31, v11
	v_subrev_nc_u32_e32 v9, 20, v7
	v_mov_b32_e32 v8, v10
	v_mov_b32_e32 v13, v10
	v_lshlrev_b64 v[23:24], 2, v[11:12]
	v_lshlrev_b64 v[19:20], 3, v[9:10]
	v_subrev_nc_u32_e32 v9, 18, v7
	v_lshlrev_b64 v[21:22], 3, v[7:8]
	v_add_nc_u32_e32 v11, 64, v11
	v_add_co_u32 v23, s1, s10, v23
	v_add_co_ci_u32_e64 v24, null, s11, v24, s1
	v_lshlrev_b64 v[8:9], 3, v[9:10]
	v_add_co_u32 v47, vcc_lo, s12, v21
	global_load_dword v12, v[23:24], off
	v_add_co_u32 v19, s1, s12, v19
	v_add_co_ci_u32_e64 v48, null, s13, v22, vcc_lo
	v_add_co_u32 v8, vcc_lo, s12, v8
	v_add_co_ci_u32_e64 v20, null, s13, v20, s1
	v_add_co_ci_u32_e64 v9, null, s13, v9, vcc_lo
	s_clause 0x1
	global_load_dwordx4 v[19:22], v[19:20], off
	global_load_dwordx4 v[23:26], v[8:9], off
	s_waitcnt vmcnt(2)
	v_subrev_nc_u32_e32 v8, s2, v12
	v_mul_lo_u32 v12, v8, 11
	v_lshlrev_b64 v[27:28], 3, v[12:13]
	v_add_nc_u32_e32 v9, 1, v12
	v_lshlrev_b64 v[29:30], 3, v[9:10]
	v_add_co_u32 v27, vcc_lo, s14, v27
	v_add_co_ci_u32_e64 v28, null, s15, v28, vcc_lo
	v_add_nc_u32_e32 v9, -16, v7
	global_load_dwordx2 v[49:50], v[27:28], off
	v_add_co_u32 v27, vcc_lo, s14, v29
	v_add_co_ci_u32_e64 v28, null, s15, v30, vcc_lo
	v_lshlrev_b64 v[31:32], 3, v[9:10]
	v_add_nc_u32_e32 v9, 2, v12
	global_load_dwordx2 v[51:52], v[27:28], off
	v_lshlrev_b64 v[29:30], 3, v[9:10]
	v_add_co_u32 v27, vcc_lo, s12, v31
	v_add_co_ci_u32_e64 v28, null, s13, v32, vcc_lo
	v_add_nc_u32_e32 v9, -14, v7
	v_add_co_u32 v33, vcc_lo, s14, v29
	v_add_co_ci_u32_e64 v34, null, s15, v30, vcc_lo
	global_load_dwordx4 v[27:30], v[27:28], off
	v_lshlrev_b64 v[31:32], 3, v[9:10]
	v_add_nc_u32_e32 v9, 3, v12
	global_load_dwordx2 v[53:54], v[33:34], off
	v_lshlrev_b64 v[35:36], 3, v[9:10]
	v_add_nc_u32_e32 v9, -12, v7
	v_add_co_u32 v31, vcc_lo, s12, v31
	v_add_co_ci_u32_e64 v32, null, s13, v32, vcc_lo
	v_lshlrev_b64 v[37:38], 3, v[9:10]
	v_add_nc_u32_e32 v9, 4, v12
	v_add_co_u32 v35, vcc_lo, s14, v35
	v_add_co_ci_u32_e64 v36, null, s15, v36, vcc_lo
	v_lshlrev_b64 v[39:40], 3, v[9:10]
	v_add_nc_u32_e32 v9, -10, v7
	global_load_dwordx2 v[55:56], v[35:36], off
	global_load_dwordx4 v[31:34], v[31:32], off
	v_add_co_u32 v35, vcc_lo, s12, v37
	v_lshlrev_b64 v[41:42], 3, v[9:10]
	v_add_nc_u32_e32 v9, 5, v12
	v_add_co_ci_u32_e64 v36, null, s13, v38, vcc_lo
	v_add_co_u32 v39, vcc_lo, s14, v39
	v_add_co_ci_u32_e64 v40, null, s15, v40, vcc_lo
	v_lshlrev_b64 v[43:44], 3, v[9:10]
	v_add_nc_u32_e32 v9, -8, v7
	global_load_dwordx4 v[35:38], v[35:36], off
	global_load_dwordx2 v[57:58], v[39:40], off
	v_add_co_u32 v39, vcc_lo, s12, v41
	v_lshlrev_b64 v[45:46], 3, v[9:10]
	v_add_nc_u32_e32 v9, 6, v12
	v_add_co_ci_u32_e64 v40, null, s13, v42, vcc_lo
	v_add_co_u32 v43, vcc_lo, s14, v43
	v_add_co_ci_u32_e64 v44, null, s15, v44, vcc_lo
	v_lshlrev_b64 v[59:60], 3, v[9:10]
	v_add_nc_u32_e32 v9, -6, v7
	global_load_dwordx4 v[39:42], v[39:40], off
	global_load_dwordx2 v[61:62], v[43:44], off
	v_add_co_u32 v43, vcc_lo, s12, v45
	v_lshlrev_b64 v[63:64], 3, v[9:10]
	v_add_nc_u32_e32 v9, 7, v12
	v_add_co_ci_u32_e64 v44, null, s13, v46, vcc_lo
	v_add_co_u32 v59, vcc_lo, s14, v59
	v_add_co_ci_u32_e64 v60, null, s15, v60, vcc_lo
	global_load_dwordx4 v[43:46], v[43:44], off
	global_load_dwordx2 v[59:60], v[59:60], off
	s_waitcnt vmcnt(11)
	v_fmac_f32_e32 v17, v19, v49
	v_fmac_f32_e32 v18, v21, v49
	;; [unrolled: 1-line block ×4, first 2 shown]
	v_fma_f32 v8, -v20, v50, v17
	v_fma_f32 v13, -v22, v50, v18
	v_lshlrev_b64 v[17:18], 3, v[9:10]
	v_fmac_f32_e32 v14, v19, v50
	v_add_nc_u32_e32 v9, -4, v7
	v_fmac_f32_e32 v15, v21, v50
	v_add_co_u32 v19, vcc_lo, s12, v63
	v_add_co_ci_u32_e64 v20, null, s13, v64, vcc_lo
	v_lshlrev_b64 v[21:22], 3, v[9:10]
	v_add_nc_u32_e32 v9, 8, v12
	v_add_co_u32 v49, vcc_lo, s14, v17
	s_waitcnt vmcnt(10)
	v_fmac_f32_e32 v8, v23, v51
	v_fmac_f32_e32 v14, v24, v51
	v_add_co_ci_u32_e64 v50, null, s15, v18, vcc_lo
	v_fmac_f32_e32 v13, v25, v51
	v_fmac_f32_e32 v15, v26, v51
	v_fma_f32 v8, -v24, v52, v8
	v_fmac_f32_e32 v14, v23, v52
	v_lshlrev_b64 v[23:24], 3, v[9:10]
	v_add_nc_u32_e32 v9, -2, v7
	global_load_dwordx4 v[17:20], v[19:20], off
	v_fma_f32 v67, -v26, v52, v13
	v_fmac_f32_e32 v15, v25, v52
	global_load_dwordx2 v[51:52], v[49:50], off
	v_add_co_u32 v21, vcc_lo, s12, v21
	v_lshlrev_b64 v[25:26], 3, v[9:10]
	v_add_nc_u32_e32 v9, 9, v12
	v_add_co_ci_u32_e64 v22, null, s13, v22, vcc_lo
	v_add_co_u32 v49, vcc_lo, s14, v23
	v_add_co_ci_u32_e64 v50, null, s15, v24, vcc_lo
	v_lshlrev_b64 v[63:64], 3, v[9:10]
	s_waitcnt vmcnt(10)
	v_fmac_f32_e32 v15, v30, v53
	global_load_dwordx4 v[21:24], v[21:22], off
	global_load_dwordx2 v[65:66], v[49:50], off
	v_fmac_f32_e32 v67, v29, v53
	v_add_nc_u32_e32 v9, 10, v12
	v_add_co_u32 v12, vcc_lo, s12, v25
	v_fmac_f32_e32 v8, v27, v53
	v_add_co_ci_u32_e64 v13, null, s13, v26, vcc_lo
	v_fmac_f32_e32 v15, v29, v54
	v_add_co_u32 v29, vcc_lo, s14, v63
	v_fmac_f32_e32 v14, v28, v53
	v_fma_f32 v67, -v30, v54, v67
	v_add_co_ci_u32_e64 v30, null, s15, v64, vcc_lo
	v_fma_f32 v53, -v28, v54, v8
	v_lshlrev_b64 v[8:9], 3, v[9:10]
	v_fmac_f32_e32 v14, v27, v54
	global_load_dwordx4 v[25:28], v[12:13], off
	global_load_dwordx2 v[12:13], v[29:30], off
	s_waitcnt vmcnt(12)
	v_fmac_f32_e32 v67, v33, v55
	v_fmac_f32_e32 v53, v31, v55
	;; [unrolled: 1-line block ×3, first 2 shown]
	v_add_co_u32 v8, vcc_lo, s14, v8
	v_add_co_ci_u32_e64 v9, null, s15, v9, vcc_lo
	global_load_dwordx4 v[47:50], v[47:48], off
	global_load_dwordx2 v[8:9], v[8:9], off
	v_fmac_f32_e32 v14, v32, v55
	v_fma_f32 v29, -v32, v56, v53
	v_fma_f32 v30, -v34, v56, v67
	v_fmac_f32_e32 v15, v33, v56
	v_cmp_ge_i32_e32 vcc_lo, v11, v16
	v_fmac_f32_e32 v14, v31, v56
	s_waitcnt vmcnt(12)
	v_fmac_f32_e32 v29, v35, v57
	v_fmac_f32_e32 v30, v37, v57
	;; [unrolled: 1-line block ×3, first 2 shown]
	v_add_nc_u32_e32 v7, 0x580, v7
	v_fmac_f32_e32 v14, v36, v57
	v_fma_f32 v29, -v36, v58, v29
	v_fma_f32 v30, -v38, v58, v30
	v_fmac_f32_e32 v15, v37, v58
	s_or_b32 s6, vcc_lo, s6
	v_fmac_f32_e32 v14, v35, v58
	s_waitcnt vmcnt(10)
	v_fmac_f32_e32 v29, v39, v61
	v_fmac_f32_e32 v30, v41, v61
	;; [unrolled: 1-line block ×4, first 2 shown]
	v_fma_f32 v29, -v40, v62, v29
	v_fma_f32 v30, -v42, v62, v30
	v_fmac_f32_e32 v15, v41, v62
	v_fmac_f32_e32 v14, v39, v62
	s_waitcnt vmcnt(8)
	v_fmac_f32_e32 v29, v43, v59
	v_fmac_f32_e32 v30, v45, v59
	;; [unrolled: 1-line block ×4, first 2 shown]
	v_fma_f32 v29, -v44, v60, v29
	v_fma_f32 v30, -v46, v60, v30
	v_fmac_f32_e32 v15, v45, v60
	v_fmac_f32_e32 v14, v43, v60
	s_waitcnt vmcnt(6)
	v_fmac_f32_e32 v29, v17, v51
	v_fmac_f32_e32 v14, v18, v51
	v_fmac_f32_e32 v30, v19, v51
	v_fmac_f32_e32 v15, v20, v51
	v_fma_f32 v18, -v18, v52, v29
	v_fmac_f32_e32 v14, v17, v52
	v_fma_f32 v17, -v20, v52, v30
	v_fmac_f32_e32 v15, v19, v52
	s_waitcnt vmcnt(4)
	v_fmac_f32_e32 v18, v21, v65
	v_fmac_f32_e32 v14, v22, v65
	v_fmac_f32_e32 v17, v23, v65
	v_fmac_f32_e32 v15, v24, v65
	v_fma_f32 v18, -v22, v66, v18
	v_fmac_f32_e32 v14, v21, v66
	v_fma_f32 v17, -v24, v66, v17
	;; [unrolled: 9-line block ×4, first 2 shown]
	v_fmac_f32_e32 v15, v49, v9
	s_andn2_b32 exec_lo, exec_lo, s6
	s_cbranch_execnz .LBB201_7
; %bb.8:
	s_or_b32 exec_lo, exec_lo, s6
.LBB201_9:
	s_or_b32 exec_lo, exec_lo, s3
	s_cbranch_execz .LBB201_11
	s_branch .LBB201_16
.LBB201_10:
                                        ; implicit-def: $vgpr14
                                        ; implicit-def: $vgpr17
                                        ; implicit-def: $vgpr18
                                        ; implicit-def: $vgpr15
.LBB201_11:
	v_mov_b32_e32 v14, 0
	v_mov_b32_e32 v17, 0
	;; [unrolled: 1-line block ×4, first 2 shown]
	s_and_saveexec_b32 s1, s0
	s_cbranch_execz .LBB201_15
; %bb.12:
	v_mad_u64_u32 v[8:9], null, v6, 22, 21
	v_mov_b32_e32 v11, 0
	v_mov_b32_e32 v14, 0
	;; [unrolled: 1-line block ×5, first 2 shown]
	s_mov_b32 s0, 0
.LBB201_13:                             ; =>This Inner Loop Header: Depth=1
	v_ashrrev_i32_e32 v7, 31, v6
	v_subrev_nc_u32_e32 v10, 21, v8
	v_add_nc_u32_e32 v19, -10, v8
	v_mov_b32_e32 v20, v11
	v_mov_b32_e32 v9, v11
	v_lshlrev_b64 v[21:22], 2, v[6:7]
	v_lshlrev_b64 v[23:24], 3, v[10:11]
	v_mov_b32_e32 v13, v11
	v_lshlrev_b64 v[19:20], 3, v[19:20]
	v_lshlrev_b64 v[9:10], 3, v[8:9]
	v_add_nc_u32_e32 v6, 64, v6
	v_add_co_u32 v21, vcc_lo, s10, v21
	v_add_co_ci_u32_e64 v22, null, s11, v22, vcc_lo
	v_add_co_u32 v23, vcc_lo, s12, v23
	v_add_co_ci_u32_e64 v24, null, s13, v24, vcc_lo
	global_load_dword v7, v[21:22], off
	v_add_co_u32 v19, vcc_lo, s12, v19
	v_add_co_ci_u32_e64 v20, null, s13, v20, vcc_lo
	v_add_co_u32 v25, vcc_lo, s12, v9
	v_add_co_ci_u32_e64 v26, null, s13, v10, vcc_lo
	s_waitcnt vmcnt(0)
	v_subrev_nc_u32_e32 v7, s2, v7
	v_mul_lo_u32 v12, v7, 11
	v_add_nc_u32_e32 v10, 1, v12
	v_lshlrev_b64 v[21:22], 3, v[12:13]
	v_lshlrev_b64 v[27:28], 3, v[10:11]
	v_add_nc_u32_e32 v10, -9, v8
	v_add_co_u32 v21, vcc_lo, s14, v21
	v_add_co_ci_u32_e64 v22, null, s15, v22, vcc_lo
	v_lshlrev_b64 v[29:30], 3, v[10:11]
	v_subrev_nc_u32_e32 v10, 19, v8
	v_add_co_u32 v27, vcc_lo, s14, v27
	v_add_co_ci_u32_e64 v28, null, s15, v28, vcc_lo
	v_lshlrev_b64 v[31:32], 3, v[10:11]
	v_add_nc_u32_e32 v10, 2, v12
	v_add_co_u32 v29, vcc_lo, s12, v29
	v_add_co_ci_u32_e64 v30, null, s13, v30, vcc_lo
	v_lshlrev_b64 v[33:34], 3, v[10:11]
	v_add_nc_u32_e32 v10, -8, v8
	v_add_co_u32 v31, vcc_lo, s12, v31
	v_add_co_ci_u32_e64 v32, null, s13, v32, vcc_lo
	v_lshlrev_b64 v[35:36], 3, v[10:11]
	v_subrev_nc_u32_e32 v10, 18, v8
	v_add_co_u32 v33, vcc_lo, s14, v33
	v_add_co_ci_u32_e64 v34, null, s15, v34, vcc_lo
	v_lshlrev_b64 v[37:38], 3, v[10:11]
	v_add_nc_u32_e32 v10, 3, v12
	v_add_co_u32 v35, vcc_lo, s12, v35
	v_add_co_ci_u32_e64 v36, null, s13, v36, vcc_lo
	;; [unrolled: 12-line block ×3, first 2 shown]
	v_lshlrev_b64 v[45:46], 3, v[10:11]
	v_add_nc_u32_e32 v10, -6, v8
	v_add_co_u32 v43, vcc_lo, s12, v43
	v_add_co_ci_u32_e64 v44, null, s13, v44, vcc_lo
	v_lshlrev_b64 v[47:48], 3, v[10:11]
	v_add_nc_u32_e32 v10, -16, v8
	v_add_co_u32 v45, vcc_lo, s14, v45
	v_add_co_ci_u32_e64 v46, null, s15, v46, vcc_lo
	v_lshlrev_b64 v[49:50], 3, v[10:11]
	v_add_nc_u32_e32 v10, 5, v12
	v_add_co_u32 v47, vcc_lo, s12, v47
	v_add_co_ci_u32_e64 v48, null, s13, v48, vcc_lo
	v_lshlrev_b64 v[51:52], 3, v[10:11]
	v_add_nc_u32_e32 v10, -5, v8
	v_add_co_u32 v49, vcc_lo, s12, v49
	v_add_co_ci_u32_e64 v50, null, s13, v50, vcc_lo
	v_lshlrev_b64 v[53:54], 3, v[10:11]
	v_add_nc_u32_e32 v10, -15, v8
	v_add_co_u32 v51, vcc_lo, s14, v51
	v_add_co_ci_u32_e64 v52, null, s15, v52, vcc_lo
	v_lshlrev_b64 v[55:56], 3, v[10:11]
	v_add_nc_u32_e32 v10, 6, v12
	v_add_co_u32 v53, vcc_lo, s12, v53
	v_add_co_ci_u32_e64 v54, null, s13, v54, vcc_lo
	;; [unrolled: 12-line block ×3, first 2 shown]
	v_lshlrev_b64 v[9:10], 3, v[10:11]
	v_add_co_u32 v61, vcc_lo, s12, v61
	v_add_co_ci_u32_e64 v62, null, s13, v62, vcc_lo
	v_add_co_u32 v63, vcc_lo, s14, v9
	v_add_co_ci_u32_e64 v64, null, s15, v10, vcc_lo
	global_load_dwordx2 v[9:10], v[19:20], off
	global_load_dwordx2 v[65:66], v[21:22], off
	s_waitcnt vmcnt(0)
	v_fmac_f32_e32 v18, v9, v65
	v_fmac_f32_e32 v15, v10, v65
	v_fma_f32 v7, -v10, v66, v18
	global_load_dwordx4 v[18:21], v[23:24], off
	global_load_dwordx2 v[22:23], v[27:28], off
	s_clause 0x1
	global_load_dwordx2 v[27:28], v[29:30], off
	global_load_dwordx2 v[29:30], v[31:32], off
	v_add_nc_u32_e32 v10, -3, v8
	v_fmac_f32_e32 v15, v9, v66
	s_waitcnt vmcnt(3)
	v_fmac_f32_e32 v14, v19, v65
	v_fmac_f32_e32 v17, v18, v65
	s_waitcnt vmcnt(1)
	v_fmac_f32_e32 v7, v27, v22
	v_fmac_f32_e32 v15, v28, v22
	;; [unrolled: 1-line block ×3, first 2 shown]
	v_fma_f32 v9, -v19, v66, v17
	v_lshlrev_b64 v[17:18], 3, v[10:11]
	v_add_nc_u32_e32 v10, -13, v8
	v_fma_f32 v7, -v28, v23, v7
	v_fmac_f32_e32 v14, v21, v22
	v_fmac_f32_e32 v9, v20, v22
	;; [unrolled: 1-line block ×3, first 2 shown]
	v_add_co_u32 v17, vcc_lo, s12, v17
	v_fmac_f32_e32 v14, v20, v23
	v_lshlrev_b64 v[19:20], 3, v[10:11]
	v_add_nc_u32_e32 v10, 8, v12
	v_add_co_ci_u32_e64 v18, null, s13, v18, vcc_lo
	v_fma_f32 v13, -v21, v23, v9
	v_lshlrev_b64 v[31:32], 3, v[10:11]
	v_add_co_u32 v19, vcc_lo, s12, v19
	v_add_co_ci_u32_e64 v20, null, s13, v20, vcc_lo
	v_add_nc_u32_e32 v10, -2, v8
	v_add_co_u32 v23, vcc_lo, s14, v31
	v_add_co_ci_u32_e64 v24, null, s15, v32, vcc_lo
	global_load_dwordx2 v[31:32], v[33:34], off
	s_clause 0x1
	global_load_dwordx2 v[33:34], v[35:36], off
	global_load_dwordx2 v[35:36], v[37:38], off
	v_lshlrev_b64 v[21:22], 3, v[10:11]
	v_add_nc_u32_e32 v10, -12, v8
	v_lshlrev_b64 v[9:10], 3, v[10:11]
	v_add_co_u32 v21, vcc_lo, s12, v21
	v_add_co_ci_u32_e64 v22, null, s13, v22, vcc_lo
	v_add_co_u32 v27, vcc_lo, s12, v9
	v_add_co_ci_u32_e64 v28, null, s13, v10, vcc_lo
	v_add_nc_u32_e32 v10, 9, v12
	s_waitcnt vmcnt(2)
	v_fmac_f32_e32 v13, v29, v31
	v_fmac_f32_e32 v14, v30, v31
	s_waitcnt vmcnt(1)
	v_fmac_f32_e32 v7, v33, v31
	v_fmac_f32_e32 v15, v34, v31
	v_fma_f32 v65, -v30, v32, v13
	v_fmac_f32_e32 v14, v29, v32
	v_lshlrev_b64 v[29:30], 3, v[10:11]
	v_add_nc_u32_e32 v10, -1, v8
	v_fma_f32 v7, -v34, v32, v7
	v_fmac_f32_e32 v15, v33, v32
	v_lshlrev_b64 v[31:32], 3, v[10:11]
	v_add_nc_u32_e32 v10, -11, v8
	v_add_co_u32 v29, vcc_lo, s14, v29
	v_add_co_ci_u32_e64 v30, null, s15, v30, vcc_lo
	v_lshlrev_b64 v[33:34], 3, v[10:11]
	v_add_nc_u32_e32 v10, 10, v12
	v_add_co_u32 v12, vcc_lo, s12, v31
	v_add_co_ci_u32_e64 v13, null, s13, v32, vcc_lo
	v_lshlrev_b64 v[9:10], 3, v[10:11]
	v_add_co_u32 v31, vcc_lo, s12, v33
	v_add_co_ci_u32_e64 v32, null, s13, v34, vcc_lo
	v_add_nc_u32_e32 v8, 0x580, v8
	v_add_co_u32 v9, vcc_lo, s14, v9
	v_add_co_ci_u32_e64 v10, null, s15, v10, vcc_lo
	global_load_dwordx2 v[33:34], v[39:40], off
	s_clause 0x1
	global_load_dwordx2 v[37:38], v[41:42], off
	global_load_dwordx2 v[39:40], v[43:44], off
	global_load_dwordx2 v[41:42], v[45:46], off
	s_clause 0x1
	global_load_dwordx2 v[43:44], v[47:48], off
	global_load_dwordx2 v[45:46], v[49:50], off
	;; [unrolled: 4-line block ×7, first 2 shown]
	global_load_dwordx2 v[31:32], v[31:32], off
	global_load_dwordx2 v[9:10], v[9:10], off
	v_cmp_ge_i32_e32 vcc_lo, v6, v16
	s_or_b32 s0, vcc_lo, s0
	s_waitcnt vmcnt(22)
	v_fmac_f32_e32 v65, v35, v33
	v_fmac_f32_e32 v14, v36, v33
	s_waitcnt vmcnt(21)
	v_fmac_f32_e32 v7, v37, v33
	v_fmac_f32_e32 v15, v38, v33
	v_fma_f32 v33, -v36, v34, v65
	v_fmac_f32_e32 v14, v35, v34
	v_fma_f32 v7, -v38, v34, v7
	v_fmac_f32_e32 v15, v37, v34
	s_waitcnt vmcnt(19)
	v_fmac_f32_e32 v33, v39, v41
	v_fmac_f32_e32 v14, v40, v41
	s_waitcnt vmcnt(18)
	v_fmac_f32_e32 v7, v43, v41
	v_fmac_f32_e32 v15, v44, v41
	v_fma_f32 v33, -v40, v42, v33
	v_fmac_f32_e32 v14, v39, v42
	v_fma_f32 v7, -v44, v42, v7
	v_fmac_f32_e32 v15, v43, v42
	;; [unrolled: 10-line block ×7, first 2 shown]
	s_waitcnt vmcnt(0)
	v_fmac_f32_e32 v17, v31, v9
	v_fmac_f32_e32 v14, v32, v9
	;; [unrolled: 1-line block ×4, first 2 shown]
	v_fma_f32 v17, -v32, v10, v17
	v_fmac_f32_e32 v14, v31, v10
	v_fma_f32 v18, -v26, v10, v7
	v_fmac_f32_e32 v15, v25, v10
	s_andn2_b32 exec_lo, exec_lo, s0
	s_cbranch_execnz .LBB201_13
; %bb.14:
	s_or_b32 exec_lo, exec_lo, s0
.LBB201_15:
	s_or_b32 exec_lo, exec_lo, s1
.LBB201_16:
	v_mbcnt_lo_u32_b32 v6, -1, 0
	v_or_b32_e32 v7, 32, v6
	v_xor_b32_e32 v11, 16, v6
	v_cmp_gt_i32_e32 vcc_lo, 32, v7
	v_cndmask_b32_e32 v7, v6, v7, vcc_lo
	v_cmp_gt_i32_e32 vcc_lo, 32, v11
	v_lshlrev_b32_e32 v7, 2, v7
	v_cndmask_b32_e32 v11, v6, v11, vcc_lo
	ds_bpermute_b32 v8, v7, v17
	ds_bpermute_b32 v9, v7, v14
	;; [unrolled: 1-line block ×4, first 2 shown]
	v_lshlrev_b32_e32 v11, 2, v11
	s_waitcnt lgkmcnt(3)
	v_add_f32_e32 v8, v17, v8
	s_waitcnt lgkmcnt(2)
	v_add_f32_e32 v9, v14, v9
	;; [unrolled: 2-line block ×4, first 2 shown]
	v_xor_b32_e32 v15, 8, v6
	ds_bpermute_b32 v12, v11, v8
	ds_bpermute_b32 v13, v11, v9
	;; [unrolled: 1-line block ×4, first 2 shown]
	v_cmp_gt_i32_e32 vcc_lo, 32, v15
	v_cndmask_b32_e32 v15, v6, v15, vcc_lo
	v_lshlrev_b32_e32 v15, 2, v15
	s_waitcnt lgkmcnt(3)
	v_add_f32_e32 v8, v8, v12
	s_waitcnt lgkmcnt(2)
	v_add_f32_e32 v9, v9, v13
	s_waitcnt lgkmcnt(1)
	v_add_f32_e32 v10, v10, v14
	s_waitcnt lgkmcnt(0)
	v_add_f32_e32 v7, v7, v11
	ds_bpermute_b32 v11, v15, v8
	ds_bpermute_b32 v12, v15, v9
	ds_bpermute_b32 v13, v15, v10
	ds_bpermute_b32 v14, v15, v7
	v_xor_b32_e32 v15, 4, v6
	v_cmp_gt_i32_e32 vcc_lo, 32, v15
	v_cndmask_b32_e32 v15, v6, v15, vcc_lo
	v_lshlrev_b32_e32 v15, 2, v15
	s_waitcnt lgkmcnt(3)
	v_add_f32_e32 v8, v8, v11
	s_waitcnt lgkmcnt(2)
	v_add_f32_e32 v9, v9, v12
	s_waitcnt lgkmcnt(1)
	v_add_f32_e32 v10, v10, v13
	s_waitcnt lgkmcnt(0)
	v_add_f32_e32 v7, v7, v14
	ds_bpermute_b32 v11, v15, v8
	ds_bpermute_b32 v12, v15, v9
	ds_bpermute_b32 v13, v15, v10
	ds_bpermute_b32 v14, v15, v7
	v_xor_b32_e32 v15, 2, v6
	;; [unrolled: 16-line block ×3, first 2 shown]
	v_cmp_gt_i32_e32 vcc_lo, 32, v15
	v_cndmask_b32_e32 v6, v6, v15, vcc_lo
	v_cmp_eq_u32_e32 vcc_lo, 63, v0
	v_lshlrev_b32_e32 v15, 2, v6
	s_waitcnt lgkmcnt(3)
	v_add_f32_e32 v8, v8, v11
	s_waitcnt lgkmcnt(2)
	v_add_f32_e32 v9, v9, v12
	;; [unrolled: 2-line block ×4, first 2 shown]
	ds_bpermute_b32 v12, v15, v8
	ds_bpermute_b32 v13, v15, v9
	;; [unrolled: 1-line block ×4, first 2 shown]
	s_and_b32 exec_lo, exec_lo, vcc_lo
	s_cbranch_execz .LBB201_21
; %bb.17:
	s_load_dwordx2 s[2:3], s[4:5], 0x38
	v_cmp_eq_f32_e32 vcc_lo, 0, v3
	v_cmp_eq_f32_e64 s0, 0, v4
	s_waitcnt lgkmcnt(0)
	v_add_f32_e32 v0, v8, v12
	v_add_f32_e32 v8, v9, v13
	;; [unrolled: 1-line block ×4, first 2 shown]
	s_and_b32 s0, vcc_lo, s0
	s_and_saveexec_b32 s1, s0
	s_xor_b32 s0, exec_lo, s1
	s_cbranch_execz .LBB201_19
; %bb.18:
	v_lshlrev_b32_e32 v3, 1, v5
	v_mul_f32_e64 v9, v8, -v2
	v_mul_f32_e32 v10, v1, v8
	v_mul_f32_e64 v11, v7, -v2
	v_mul_f32_e32 v12, v1, v7
	v_ashrrev_i32_e32 v4, 31, v3
	v_fmac_f32_e32 v9, v1, v0
	v_fmac_f32_e32 v10, v2, v0
	;; [unrolled: 1-line block ×4, first 2 shown]
	v_lshlrev_b64 v[3:4], 3, v[3:4]
                                        ; implicit-def: $vgpr5
                                        ; implicit-def: $vgpr8
                                        ; implicit-def: $vgpr7
                                        ; implicit-def: $vgpr6
	v_add_co_u32 v0, vcc_lo, s2, v3
	v_add_co_ci_u32_e64 v1, null, s3, v4, vcc_lo
                                        ; implicit-def: $vgpr3_vgpr4
	global_store_dwordx4 v[0:1], v[9:12], off
                                        ; implicit-def: $vgpr1_vgpr2
                                        ; implicit-def: $vgpr0
.LBB201_19:
	s_andn2_saveexec_b32 s0, s0
	s_cbranch_execz .LBB201_21
; %bb.20:
	v_lshlrev_b32_e32 v9, 1, v5
	v_mul_f32_e64 v5, v8, -v2
	v_mul_f32_e32 v14, v1, v8
	v_mul_f32_e64 v8, v7, -v2
	v_mul_f32_e32 v16, v1, v7
	v_ashrrev_i32_e32 v10, 31, v9
	v_fmac_f32_e32 v5, v1, v0
	v_fmac_f32_e32 v14, v2, v0
	v_fmac_f32_e32 v8, v1, v6
	v_fmac_f32_e32 v16, v2, v6
	v_lshlrev_b64 v[9:10], 3, v[9:10]
	v_add_co_u32 v17, vcc_lo, s2, v9
	v_add_co_ci_u32_e64 v18, null, s3, v10, vcc_lo
	global_load_dwordx4 v[9:12], v[17:18], off
	s_waitcnt vmcnt(0)
	v_fmac_f32_e32 v5, v3, v9
	v_fmac_f32_e32 v14, v4, v9
	;; [unrolled: 1-line block ×4, first 2 shown]
	v_fma_f32 v13, -v4, v10, v5
	v_fmac_f32_e32 v14, v3, v10
	v_fma_f32 v15, -v4, v12, v8
	v_fmac_f32_e32 v16, v3, v12
	global_store_dwordx4 v[17:18], v[13:16], off
.LBB201_21:
	s_endpgm
	.section	.rodata,"a",@progbits
	.p2align	6, 0x0
	.amdhsa_kernel _ZN9rocsparseL19gebsrmvn_2xn_kernelILj128ELj11ELj64E21rocsparse_complex_numIfEEEvi20rocsparse_direction_NS_24const_host_device_scalarIT2_EEPKiS8_PKS5_SA_S6_PS5_21rocsparse_index_base_b
		.amdhsa_group_segment_fixed_size 0
		.amdhsa_private_segment_fixed_size 0
		.amdhsa_kernarg_size 72
		.amdhsa_user_sgpr_count 6
		.amdhsa_user_sgpr_private_segment_buffer 1
		.amdhsa_user_sgpr_dispatch_ptr 0
		.amdhsa_user_sgpr_queue_ptr 0
		.amdhsa_user_sgpr_kernarg_segment_ptr 1
		.amdhsa_user_sgpr_dispatch_id 0
		.amdhsa_user_sgpr_flat_scratch_init 0
		.amdhsa_user_sgpr_private_segment_size 0
		.amdhsa_wavefront_size32 1
		.amdhsa_uses_dynamic_stack 0
		.amdhsa_system_sgpr_private_segment_wavefront_offset 0
		.amdhsa_system_sgpr_workgroup_id_x 1
		.amdhsa_system_sgpr_workgroup_id_y 0
		.amdhsa_system_sgpr_workgroup_id_z 0
		.amdhsa_system_sgpr_workgroup_info 0
		.amdhsa_system_vgpr_workitem_id 0
		.amdhsa_next_free_vgpr 68
		.amdhsa_next_free_sgpr 16
		.amdhsa_reserve_vcc 1
		.amdhsa_reserve_flat_scratch 0
		.amdhsa_float_round_mode_32 0
		.amdhsa_float_round_mode_16_64 0
		.amdhsa_float_denorm_mode_32 3
		.amdhsa_float_denorm_mode_16_64 3
		.amdhsa_dx10_clamp 1
		.amdhsa_ieee_mode 1
		.amdhsa_fp16_overflow 0
		.amdhsa_workgroup_processor_mode 1
		.amdhsa_memory_ordered 1
		.amdhsa_forward_progress 1
		.amdhsa_shared_vgpr_count 0
		.amdhsa_exception_fp_ieee_invalid_op 0
		.amdhsa_exception_fp_denorm_src 0
		.amdhsa_exception_fp_ieee_div_zero 0
		.amdhsa_exception_fp_ieee_overflow 0
		.amdhsa_exception_fp_ieee_underflow 0
		.amdhsa_exception_fp_ieee_inexact 0
		.amdhsa_exception_int_div_zero 0
	.end_amdhsa_kernel
	.section	.text._ZN9rocsparseL19gebsrmvn_2xn_kernelILj128ELj11ELj64E21rocsparse_complex_numIfEEEvi20rocsparse_direction_NS_24const_host_device_scalarIT2_EEPKiS8_PKS5_SA_S6_PS5_21rocsparse_index_base_b,"axG",@progbits,_ZN9rocsparseL19gebsrmvn_2xn_kernelILj128ELj11ELj64E21rocsparse_complex_numIfEEEvi20rocsparse_direction_NS_24const_host_device_scalarIT2_EEPKiS8_PKS5_SA_S6_PS5_21rocsparse_index_base_b,comdat
.Lfunc_end201:
	.size	_ZN9rocsparseL19gebsrmvn_2xn_kernelILj128ELj11ELj64E21rocsparse_complex_numIfEEEvi20rocsparse_direction_NS_24const_host_device_scalarIT2_EEPKiS8_PKS5_SA_S6_PS5_21rocsparse_index_base_b, .Lfunc_end201-_ZN9rocsparseL19gebsrmvn_2xn_kernelILj128ELj11ELj64E21rocsparse_complex_numIfEEEvi20rocsparse_direction_NS_24const_host_device_scalarIT2_EEPKiS8_PKS5_SA_S6_PS5_21rocsparse_index_base_b
                                        ; -- End function
	.set _ZN9rocsparseL19gebsrmvn_2xn_kernelILj128ELj11ELj64E21rocsparse_complex_numIfEEEvi20rocsparse_direction_NS_24const_host_device_scalarIT2_EEPKiS8_PKS5_SA_S6_PS5_21rocsparse_index_base_b.num_vgpr, 68
	.set _ZN9rocsparseL19gebsrmvn_2xn_kernelILj128ELj11ELj64E21rocsparse_complex_numIfEEEvi20rocsparse_direction_NS_24const_host_device_scalarIT2_EEPKiS8_PKS5_SA_S6_PS5_21rocsparse_index_base_b.num_agpr, 0
	.set _ZN9rocsparseL19gebsrmvn_2xn_kernelILj128ELj11ELj64E21rocsparse_complex_numIfEEEvi20rocsparse_direction_NS_24const_host_device_scalarIT2_EEPKiS8_PKS5_SA_S6_PS5_21rocsparse_index_base_b.numbered_sgpr, 16
	.set _ZN9rocsparseL19gebsrmvn_2xn_kernelILj128ELj11ELj64E21rocsparse_complex_numIfEEEvi20rocsparse_direction_NS_24const_host_device_scalarIT2_EEPKiS8_PKS5_SA_S6_PS5_21rocsparse_index_base_b.num_named_barrier, 0
	.set _ZN9rocsparseL19gebsrmvn_2xn_kernelILj128ELj11ELj64E21rocsparse_complex_numIfEEEvi20rocsparse_direction_NS_24const_host_device_scalarIT2_EEPKiS8_PKS5_SA_S6_PS5_21rocsparse_index_base_b.private_seg_size, 0
	.set _ZN9rocsparseL19gebsrmvn_2xn_kernelILj128ELj11ELj64E21rocsparse_complex_numIfEEEvi20rocsparse_direction_NS_24const_host_device_scalarIT2_EEPKiS8_PKS5_SA_S6_PS5_21rocsparse_index_base_b.uses_vcc, 1
	.set _ZN9rocsparseL19gebsrmvn_2xn_kernelILj128ELj11ELj64E21rocsparse_complex_numIfEEEvi20rocsparse_direction_NS_24const_host_device_scalarIT2_EEPKiS8_PKS5_SA_S6_PS5_21rocsparse_index_base_b.uses_flat_scratch, 0
	.set _ZN9rocsparseL19gebsrmvn_2xn_kernelILj128ELj11ELj64E21rocsparse_complex_numIfEEEvi20rocsparse_direction_NS_24const_host_device_scalarIT2_EEPKiS8_PKS5_SA_S6_PS5_21rocsparse_index_base_b.has_dyn_sized_stack, 0
	.set _ZN9rocsparseL19gebsrmvn_2xn_kernelILj128ELj11ELj64E21rocsparse_complex_numIfEEEvi20rocsparse_direction_NS_24const_host_device_scalarIT2_EEPKiS8_PKS5_SA_S6_PS5_21rocsparse_index_base_b.has_recursion, 0
	.set _ZN9rocsparseL19gebsrmvn_2xn_kernelILj128ELj11ELj64E21rocsparse_complex_numIfEEEvi20rocsparse_direction_NS_24const_host_device_scalarIT2_EEPKiS8_PKS5_SA_S6_PS5_21rocsparse_index_base_b.has_indirect_call, 0
	.section	.AMDGPU.csdata,"",@progbits
; Kernel info:
; codeLenInByte = 4328
; TotalNumSgprs: 18
; NumVgprs: 68
; ScratchSize: 0
; MemoryBound: 0
; FloatMode: 240
; IeeeMode: 1
; LDSByteSize: 0 bytes/workgroup (compile time only)
; SGPRBlocks: 0
; VGPRBlocks: 8
; NumSGPRsForWavesPerEU: 18
; NumVGPRsForWavesPerEU: 68
; Occupancy: 12
; WaveLimiterHint : 1
; COMPUTE_PGM_RSRC2:SCRATCH_EN: 0
; COMPUTE_PGM_RSRC2:USER_SGPR: 6
; COMPUTE_PGM_RSRC2:TRAP_HANDLER: 0
; COMPUTE_PGM_RSRC2:TGID_X_EN: 1
; COMPUTE_PGM_RSRC2:TGID_Y_EN: 0
; COMPUTE_PGM_RSRC2:TGID_Z_EN: 0
; COMPUTE_PGM_RSRC2:TIDIG_COMP_CNT: 0
	.section	.text._ZN9rocsparseL19gebsrmvn_2xn_kernelILj128ELj12ELj4E21rocsparse_complex_numIfEEEvi20rocsparse_direction_NS_24const_host_device_scalarIT2_EEPKiS8_PKS5_SA_S6_PS5_21rocsparse_index_base_b,"axG",@progbits,_ZN9rocsparseL19gebsrmvn_2xn_kernelILj128ELj12ELj4E21rocsparse_complex_numIfEEEvi20rocsparse_direction_NS_24const_host_device_scalarIT2_EEPKiS8_PKS5_SA_S6_PS5_21rocsparse_index_base_b,comdat
	.globl	_ZN9rocsparseL19gebsrmvn_2xn_kernelILj128ELj12ELj4E21rocsparse_complex_numIfEEEvi20rocsparse_direction_NS_24const_host_device_scalarIT2_EEPKiS8_PKS5_SA_S6_PS5_21rocsparse_index_base_b ; -- Begin function _ZN9rocsparseL19gebsrmvn_2xn_kernelILj128ELj12ELj4E21rocsparse_complex_numIfEEEvi20rocsparse_direction_NS_24const_host_device_scalarIT2_EEPKiS8_PKS5_SA_S6_PS5_21rocsparse_index_base_b
	.p2align	8
	.type	_ZN9rocsparseL19gebsrmvn_2xn_kernelILj128ELj12ELj4E21rocsparse_complex_numIfEEEvi20rocsparse_direction_NS_24const_host_device_scalarIT2_EEPKiS8_PKS5_SA_S6_PS5_21rocsparse_index_base_b,@function
_ZN9rocsparseL19gebsrmvn_2xn_kernelILj128ELj12ELj4E21rocsparse_complex_numIfEEEvi20rocsparse_direction_NS_24const_host_device_scalarIT2_EEPKiS8_PKS5_SA_S6_PS5_21rocsparse_index_base_b: ; @_ZN9rocsparseL19gebsrmvn_2xn_kernelILj128ELj12ELj4E21rocsparse_complex_numIfEEEvi20rocsparse_direction_NS_24const_host_device_scalarIT2_EEPKiS8_PKS5_SA_S6_PS5_21rocsparse_index_base_b
; %bb.0:
	s_clause 0x2
	s_load_dwordx2 s[2:3], s[4:5], 0x40
	s_load_dwordx2 s[0:1], s[4:5], 0x8
	;; [unrolled: 1-line block ×3, first 2 shown]
	s_add_u32 s7, s4, 8
	s_addc_u32 s10, s5, 0
	s_add_u32 s11, s4, 48
	s_addc_u32 s12, s5, 0
	s_waitcnt lgkmcnt(0)
	s_bitcmp1_b32 s3, 0
	s_cselect_b32 s0, s7, s0
	s_cselect_b32 s1, s10, s1
	v_mov_b32_e32 v1, s0
	v_mov_b32_e32 v2, s1
	s_cselect_b32 s0, s11, s8
	s_cselect_b32 s1, s12, s9
	v_mov_b32_e32 v3, s0
	v_mov_b32_e32 v4, s1
	flat_load_dwordx2 v[1:2], v[1:2]
	flat_load_dwordx2 v[3:4], v[3:4]
	s_waitcnt vmcnt(1) lgkmcnt(1)
	v_cmp_eq_f32_e32 vcc_lo, 0, v1
	v_cmp_eq_f32_e64 s0, 0, v2
	s_and_b32 s3, vcc_lo, s0
	s_mov_b32 s0, -1
	s_and_saveexec_b32 s1, s3
	s_cbranch_execz .LBB202_2
; %bb.1:
	s_waitcnt vmcnt(0) lgkmcnt(0)
	v_cmp_neq_f32_e32 vcc_lo, 1.0, v3
	v_cmp_neq_f32_e64 s0, 0, v4
	s_or_b32 s0, vcc_lo, s0
	s_orn2_b32 s0, s0, exec_lo
.LBB202_2:
	s_or_b32 exec_lo, exec_lo, s1
	s_and_saveexec_b32 s1, s0
	s_cbranch_execz .LBB202_21
; %bb.3:
	s_load_dwordx2 s[0:1], s[4:5], 0x0
	v_lshrrev_b32_e32 v5, 2, v0
	v_lshl_or_b32 v5, s6, 5, v5
	s_waitcnt lgkmcnt(0)
	v_cmp_gt_i32_e32 vcc_lo, s0, v5
	s_and_b32 exec_lo, exec_lo, vcc_lo
	s_cbranch_execz .LBB202_21
; %bb.4:
	s_load_dwordx8 s[8:15], s[4:5], 0x10
	v_ashrrev_i32_e32 v6, 31, v5
	v_and_b32_e32 v0, 3, v0
	s_cmp_lg_u32 s1, 0
	v_lshlrev_b64 v[6:7], 2, v[5:6]
	s_waitcnt lgkmcnt(0)
	v_add_co_u32 v6, vcc_lo, s8, v6
	v_add_co_ci_u32_e64 v7, null, s9, v7, vcc_lo
	global_load_dwordx2 v[6:7], v[6:7], off
	s_waitcnt vmcnt(0)
	v_subrev_nc_u32_e32 v6, s2, v6
	v_subrev_nc_u32_e32 v15, s2, v7
	v_add_nc_u32_e32 v6, v6, v0
	v_cmp_lt_i32_e64 s0, v6, v15
	s_cbranch_scc0 .LBB202_10
; %bb.5:
	v_mov_b32_e32 v13, 0
	v_mov_b32_e32 v17, 0
	;; [unrolled: 1-line block ×4, first 2 shown]
	s_and_saveexec_b32 s3, s0
	s_cbranch_execz .LBB202_9
; %bb.6:
	v_mad_u64_u32 v[7:8], null, v6, 24, 22
	v_mov_b32_e32 v10, 0
	v_mov_b32_e32 v11, v6
	;; [unrolled: 1-line block ×6, first 2 shown]
	s_mov_b32 s6, 0
.LBB202_7:                              ; =>This Inner Loop Header: Depth=1
	v_ashrrev_i32_e32 v12, 31, v11
	v_mov_b32_e32 v59, v10
	v_lshlrev_b64 v[8:9], 2, v[11:12]
	v_add_nc_u32_e32 v11, 4, v11
	v_add_co_u32 v8, vcc_lo, s10, v8
	v_add_co_ci_u32_e64 v9, null, s11, v9, vcc_lo
	global_load_dword v12, v[8:9], off
	v_subrev_nc_u32_e32 v9, 22, v7
	v_mov_b32_e32 v8, v10
	v_lshlrev_b64 v[18:19], 3, v[9:10]
	v_add_nc_u32_e32 v9, -14, v7
	v_lshlrev_b64 v[73:74], 3, v[7:8]
	v_lshlrev_b64 v[8:9], 3, v[9:10]
	v_add_co_u32 v34, vcc_lo, s12, v18
	v_add_co_ci_u32_e64 v35, null, s13, v19, vcc_lo
	v_add_co_u32 v75, vcc_lo, s12, v73
	s_clause 0x1
	global_load_dwordx4 v[18:21], v[34:35], off offset:16
	global_load_dwordx4 v[22:25], v[34:35], off
	s_waitcnt vmcnt(2)
	v_subrev_nc_u32_e32 v12, s2, v12
	v_mul_lo_u32 v58, v12, 12
	v_lshlrev_b64 v[26:27], 3, v[58:59]
	v_add_co_u32 v42, s1, s14, v26
	v_add_co_ci_u32_e64 v43, null, s15, v27, s1
	v_add_co_u32 v8, s1, s12, v8
	v_add_co_ci_u32_e64 v9, null, s13, v9, s1
	global_load_dwordx4 v[26:29], v[42:43], off
	s_clause 0x2
	global_load_dwordx4 v[30:33], v[34:35], off offset:48
	global_load_dwordx4 v[34:37], v[34:35], off offset:32
	global_load_dwordx4 v[38:41], v[8:9], off
	global_load_dwordx4 v[42:45], v[42:43], off offset:16
	v_add_nc_u32_e32 v9, 4, v58
	v_lshlrev_b64 v[46:47], 3, v[9:10]
	v_add_nc_u32_e32 v9, -12, v7
	v_add_co_u32 v50, s1, s14, v46
	v_add_co_ci_u32_e64 v51, null, s15, v47, s1
	v_lshlrev_b64 v[54:55], 3, v[9:10]
	v_add_nc_u32_e32 v9, -10, v7
	s_clause 0x1
	global_load_dwordx4 v[46:49], v[50:51], off offset:16
	global_load_dwordx4 v[50:53], v[50:51], off
	v_lshlrev_b64 v[56:57], 3, v[9:10]
	v_add_co_u32 v54, s1, s12, v54
	v_add_co_ci_u32_e64 v55, null, s13, v55, s1
	v_add_nc_u32_e32 v9, -8, v7
	v_add_co_u32 v59, s1, s12, v56
	v_add_co_ci_u32_e64 v60, null, s13, v57, s1
	global_load_dwordx4 v[54:57], v[54:55], off
	v_lshlrev_b64 v[62:63], 3, v[9:10]
	v_add_nc_u32_e32 v9, -6, v7
	v_lshlrev_b64 v[64:65], 3, v[9:10]
	v_add_nc_u32_e32 v9, 8, v58
	global_load_dwordx4 v[58:61], v[59:60], off
	v_add_co_u32 v62, s1, s12, v62
	v_add_co_ci_u32_e64 v63, null, s13, v63, s1
	v_lshlrev_b64 v[66:67], 3, v[9:10]
	v_add_co_u32 v68, s1, s12, v64
	v_add_co_ci_u32_e64 v69, null, s13, v65, s1
	global_load_dwordx4 v[62:65], v[62:63], off
	v_add_nc_u32_e32 v9, -4, v7
	v_add_co_u32 v76, s1, s14, v66
	v_add_co_ci_u32_e64 v77, null, s15, v67, s1
	v_lshlrev_b64 v[70:71], 3, v[9:10]
	global_load_dwordx4 v[66:69], v[68:69], off
	v_add_nc_u32_e32 v9, -2, v7
	v_add_nc_u32_e32 v7, 0x60, v7
	v_lshlrev_b64 v[8:9], 3, v[9:10]
	s_waitcnt vmcnt(10)
	v_fmac_f32_e32 v17, v22, v26
	v_fmac_f32_e32 v13, v23, v26
	;; [unrolled: 1-line block ×4, first 2 shown]
	v_fma_f32 v12, -v23, v27, v17
	v_fmac_f32_e32 v13, v22, v27
	v_fma_f32 v26, -v25, v27, v16
	v_fmac_f32_e32 v14, v24, v27
	global_load_dwordx4 v[22:25], v[76:77], off
	v_add_co_u32 v16, s1, s12, v70
	v_add_co_ci_u32_e64 v17, null, s13, v71, s1
	v_add_co_u32 v8, s1, s12, v8
	v_fmac_f32_e32 v12, v18, v28
	global_load_dwordx4 v[70:73], v[16:17], off
	v_fmac_f32_e32 v13, v19, v28
	v_fmac_f32_e32 v26, v20, v28
	;; [unrolled: 1-line block ×3, first 2 shown]
	v_add_co_ci_u32_e64 v9, null, s13, v9, s1
	v_fma_f32 v12, -v19, v29, v12
	v_fmac_f32_e32 v13, v18, v29
	v_fma_f32 v21, -v21, v29, v26
	v_fmac_f32_e32 v14, v20, v29
	global_load_dwordx4 v[16:19], v[76:77], off offset:16
	global_load_dwordx4 v[26:29], v[8:9], off
	v_add_co_ci_u32_e64 v76, null, s13, v74, vcc_lo
	s_waitcnt vmcnt(10)
	v_fmac_f32_e32 v12, v34, v42
	v_fmac_f32_e32 v13, v35, v42
	;; [unrolled: 1-line block ×3, first 2 shown]
	global_load_dwordx4 v[74:77], v[75:76], off
	v_fmac_f32_e32 v14, v37, v42
	v_fma_f32 v8, -v35, v43, v12
	v_fmac_f32_e32 v13, v34, v43
	v_fma_f32 v9, -v37, v43, v21
	v_cmp_ge_i32_e32 vcc_lo, v11, v15
	v_fmac_f32_e32 v14, v36, v43
	v_fmac_f32_e32 v8, v30, v44
	;; [unrolled: 1-line block ×4, first 2 shown]
	s_or_b32 s6, vcc_lo, s6
	v_fmac_f32_e32 v14, v33, v44
	v_fma_f32 v8, -v31, v45, v8
	v_fmac_f32_e32 v13, v30, v45
	v_fma_f32 v9, -v33, v45, v9
	v_fmac_f32_e32 v14, v32, v45
	s_waitcnt vmcnt(9)
	v_fmac_f32_e32 v8, v38, v50
	v_fmac_f32_e32 v13, v39, v50
	v_fmac_f32_e32 v9, v40, v50
	v_fmac_f32_e32 v14, v41, v50
	v_fma_f32 v8, -v39, v51, v8
	v_fmac_f32_e32 v13, v38, v51
	v_fma_f32 v9, -v41, v51, v9
	v_fmac_f32_e32 v14, v40, v51
	s_waitcnt vmcnt(8)
	v_fmac_f32_e32 v8, v54, v52
	v_fmac_f32_e32 v13, v55, v52
	v_fmac_f32_e32 v9, v56, v52
	;; [unrolled: 9-line block ×8, first 2 shown]
	v_fmac_f32_e32 v14, v77, v18
	v_fma_f32 v17, -v75, v19, v8
	v_fmac_f32_e32 v13, v74, v19
	v_fma_f32 v16, -v77, v19, v9
	v_fmac_f32_e32 v14, v76, v19
	s_andn2_b32 exec_lo, exec_lo, s6
	s_cbranch_execnz .LBB202_7
; %bb.8:
	s_or_b32 exec_lo, exec_lo, s6
.LBB202_9:
	s_or_b32 exec_lo, exec_lo, s3
	s_cbranch_execz .LBB202_11
	s_branch .LBB202_16
.LBB202_10:
                                        ; implicit-def: $vgpr13
                                        ; implicit-def: $vgpr17
                                        ; implicit-def: $vgpr16
                                        ; implicit-def: $vgpr14
.LBB202_11:
	v_mov_b32_e32 v13, 0
	v_mov_b32_e32 v17, 0
	;; [unrolled: 1-line block ×4, first 2 shown]
	s_and_saveexec_b32 s1, s0
	s_cbranch_execz .LBB202_15
; %bb.12:
	v_mad_u64_u32 v[8:9], null, v6, 24, 23
	v_mov_b32_e32 v11, 0
	v_mov_b32_e32 v13, 0
	;; [unrolled: 1-line block ×5, first 2 shown]
	s_mov_b32 s0, 0
.LBB202_13:                             ; =>This Inner Loop Header: Depth=1
	v_ashrrev_i32_e32 v7, 31, v6
	v_subrev_nc_u32_e32 v10, 23, v8
	v_add_nc_u32_e32 v18, -11, v8
	v_mov_b32_e32 v19, v11
	v_mov_b32_e32 v9, v11
	v_lshlrev_b64 v[22:23], 2, v[6:7]
	v_lshlrev_b64 v[20:21], 3, v[10:11]
	v_add_nc_u32_e32 v10, -10, v8
	v_lshlrev_b64 v[18:19], 3, v[18:19]
	v_lshlrev_b64 v[24:25], 3, v[8:9]
	v_mov_b32_e32 v39, v11
	v_add_co_u32 v22, vcc_lo, s10, v22
	v_add_co_ci_u32_e64 v23, null, s11, v23, vcc_lo
	v_add_co_u32 v30, vcc_lo, s12, v20
	v_add_co_ci_u32_e64 v31, null, s13, v21, vcc_lo
	v_add_co_u32 v34, vcc_lo, s12, v18
	v_add_co_ci_u32_e64 v35, null, s13, v19, vcc_lo
	v_add_co_u32 v42, vcc_lo, s12, v24
	v_add_co_ci_u32_e64 v43, null, s13, v25, vcc_lo
	global_load_dword v7, v[22:23], off
	s_clause 0x1
	global_load_dwordx4 v[18:21], v[30:31], off offset:48
	global_load_dwordx4 v[22:25], v[30:31], off offset:32
	v_lshlrev_b64 v[26:27], 3, v[10:11]
	v_add_nc_u32_e32 v10, -9, v8
	v_add_nc_u32_e32 v6, 4, v6
	v_lshlrev_b64 v[36:37], 3, v[10:11]
	v_add_nc_u32_e32 v10, -8, v8
	v_add_co_u32 v40, vcc_lo, s12, v26
	v_add_co_ci_u32_e64 v41, null, s13, v27, vcc_lo
	v_lshlrev_b64 v[9:10], 3, v[10:11]
	s_clause 0x2
	global_load_dwordx4 v[26:29], v[30:31], off offset:16
	global_load_dwordx4 v[30:33], v[30:31], off
	global_load_dwordx2 v[44:45], v[34:35], off
	v_add_co_u32 v34, vcc_lo, s12, v36
	v_add_co_ci_u32_e64 v35, null, s13, v37, vcc_lo
	v_add_co_u32 v9, vcc_lo, s12, v9
	v_add_co_ci_u32_e64 v10, null, s13, v10, vcc_lo
	s_clause 0x2
	global_load_dwordx2 v[46:47], v[40:41], off
	global_load_dwordx2 v[48:49], v[34:35], off
	;; [unrolled: 1-line block ×3, first 2 shown]
	s_waitcnt vmcnt(8)
	v_subrev_nc_u32_e32 v7, s2, v7
	v_mul_lo_u32 v38, v7, 12
	v_lshlrev_b64 v[34:35], 3, v[38:39]
	v_add_nc_u32_e32 v10, 4, v38
	v_add_co_u32 v52, vcc_lo, s14, v34
	v_add_co_ci_u32_e64 v53, null, s15, v35, vcc_lo
	v_lshlrev_b64 v[39:40], 3, v[10:11]
	v_add_nc_u32_e32 v10, -7, v8
	global_load_dwordx4 v[34:37], v[52:53], off
	v_lshlrev_b64 v[54:55], 3, v[10:11]
	v_add_nc_u32_e32 v10, -6, v8
	v_add_co_u32 v56, vcc_lo, s14, v39
	v_add_co_ci_u32_e64 v57, null, s15, v40, vcc_lo
	v_lshlrev_b64 v[39:40], 3, v[10:11]
	v_add_nc_u32_e32 v10, -5, v8
	v_add_co_u32 v54, vcc_lo, s12, v54
	v_add_co_ci_u32_e64 v55, null, s13, v55, vcc_lo
	;; [unrolled: 4-line block ×4, first 2 shown]
	v_add_co_u32 v64, vcc_lo, s12, v39
	v_lshlrev_b64 v[62:63], 3, v[10:11]
	v_add_nc_u32_e32 v10, 8, v38
	v_add_co_ci_u32_e64 v65, null, s13, v40, vcc_lo
	global_load_dwordx4 v[38:41], v[52:53], off offset:16
	v_lshlrev_b64 v[9:10], 3, v[10:11]
	v_add_co_u32 v62, vcc_lo, s12, v62
	v_add_co_ci_u32_e64 v63, null, s13, v63, vcc_lo
	v_add_co_u32 v66, vcc_lo, s14, v9
	v_add_co_ci_u32_e64 v67, null, s15, v10, vcc_lo
	v_add_nc_u32_e32 v10, -3, v8
	s_waitcnt vmcnt(1)
	v_fmac_f32_e32 v17, v30, v34
	v_fmac_f32_e32 v16, v44, v34
	;; [unrolled: 1-line block ×4, first 2 shown]
	v_fma_f32 v7, -v31, v35, v17
	v_fma_f32 v9, -v45, v35, v16
	v_lshlrev_b64 v[16:17], 3, v[10:11]
	v_add_nc_u32_e32 v10, -14, v8
	v_fmac_f32_e32 v13, v30, v35
	v_fmac_f32_e32 v14, v44, v35
	;; [unrolled: 1-line block ×4, first 2 shown]
	v_lshlrev_b64 v[34:35], 3, v[10:11]
	v_fmac_f32_e32 v13, v33, v36
	v_fmac_f32_e32 v14, v47, v36
	v_add_co_u32 v16, vcc_lo, s12, v16
	v_add_co_ci_u32_e64 v17, null, s13, v17, vcc_lo
	v_add_co_u32 v44, vcc_lo, s12, v34
	v_fma_f32 v7, -v33, v37, v7
	v_fmac_f32_e32 v13, v32, v37
	global_load_dwordx4 v[30:33], v[56:57], off offset:16
	v_fma_f32 v12, -v47, v37, v9
	v_fmac_f32_e32 v14, v46, v37
	v_add_co_ci_u32_e64 v45, null, s13, v35, vcc_lo
	global_load_dwordx4 v[34:37], v[56:57], off
	s_clause 0x4
	global_load_dwordx2 v[52:53], v[54:55], off
	global_load_dwordx2 v[54:55], v[60:61], off
	;; [unrolled: 1-line block ×5, first 2 shown]
	v_add_nc_u32_e32 v10, -2, v8
	s_clause 0x1
	global_load_dwordx2 v[16:17], v[16:17], off
	global_load_dwordx2 v[44:45], v[44:45], off
	s_waitcnt vmcnt(9)
	v_fmac_f32_e32 v7, v26, v38
	v_fmac_f32_e32 v13, v27, v38
	v_lshlrev_b64 v[9:10], 3, v[10:11]
	v_fmac_f32_e32 v12, v48, v38
	v_fmac_f32_e32 v14, v49, v38
	v_fma_f32 v7, -v27, v39, v7
	v_fmac_f32_e32 v13, v26, v39
	v_add_co_u32 v46, vcc_lo, s12, v9
	v_fmac_f32_e32 v7, v28, v40
	v_fmac_f32_e32 v13, v29, v40
	v_add_co_ci_u32_e64 v47, null, s13, v10, vcc_lo
	v_add_nc_u32_e32 v10, -13, v8
	v_fma_f32 v9, -v49, v39, v12
	v_fmac_f32_e32 v14, v48, v39
	v_fma_f32 v7, -v29, v41, v7
	v_fmac_f32_e32 v13, v28, v41
	global_load_dwordx4 v[26:29], v[66:67], off
	v_lshlrev_b64 v[38:39], 3, v[10:11]
	v_add_nc_u32_e32 v10, -1, v8
	v_fmac_f32_e32 v9, v50, v40
	v_fmac_f32_e32 v14, v51, v40
	global_load_dwordx2 v[46:47], v[46:47], off
	v_add_co_u32 v48, vcc_lo, s12, v38
	v_fma_f32 v12, -v51, v41, v9
	v_fmac_f32_e32 v14, v50, v41
	v_lshlrev_b64 v[40:41], 3, v[10:11]
	v_add_nc_u32_e32 v10, -12, v8
	v_add_co_ci_u32_e64 v49, null, s13, v39, vcc_lo
	v_add_nc_u32_e32 v8, 0x60, v8
	v_lshlrev_b64 v[9:10], 3, v[10:11]
	v_add_co_u32 v50, vcc_lo, s12, v40
	v_add_co_ci_u32_e64 v51, null, s13, v41, vcc_lo
	v_add_co_u32 v9, vcc_lo, s12, v9
	v_add_co_ci_u32_e64 v10, null, s13, v10, vcc_lo
	global_load_dwordx4 v[38:41], v[66:67], off offset:16
	s_clause 0x3
	global_load_dwordx2 v[48:49], v[48:49], off
	global_load_dwordx2 v[50:51], v[50:51], off
	;; [unrolled: 1-line block ×4, first 2 shown]
	v_cmp_ge_i32_e32 vcc_lo, v6, v15
	s_or_b32 s0, vcc_lo, s0
	s_waitcnt vmcnt(14)
	v_fmac_f32_e32 v7, v22, v34
	v_fmac_f32_e32 v13, v23, v34
	s_waitcnt vmcnt(13)
	v_fmac_f32_e32 v12, v52, v34
	v_fmac_f32_e32 v14, v53, v34
	v_fma_f32 v7, -v23, v35, v7
	v_fmac_f32_e32 v13, v22, v35
	v_fma_f32 v12, -v53, v35, v12
	v_fmac_f32_e32 v14, v52, v35
	v_fmac_f32_e32 v7, v24, v36
	v_fmac_f32_e32 v13, v25, v36
	s_waitcnt vmcnt(12)
	v_fmac_f32_e32 v12, v54, v36
	v_fmac_f32_e32 v14, v55, v36
	v_fma_f32 v7, -v25, v37, v7
	v_fmac_f32_e32 v13, v24, v37
	v_fma_f32 v12, -v55, v37, v12
	v_fmac_f32_e32 v14, v54, v37
	;; [unrolled: 9-line block ×4, first 2 shown]
	s_waitcnt vmcnt(6)
	v_fmac_f32_e32 v7, v60, v26
	v_fmac_f32_e32 v13, v61, v26
	;; [unrolled: 1-line block ×4, first 2 shown]
	v_fma_f32 v7, -v61, v27, v7
	v_fmac_f32_e32 v13, v60, v27
	v_fma_f32 v12, -v17, v27, v12
	v_fmac_f32_e32 v14, v16, v27
	v_fmac_f32_e32 v7, v44, v28
	;; [unrolled: 1-line block ×3, first 2 shown]
	s_waitcnt vmcnt(5)
	v_fmac_f32_e32 v12, v46, v28
	v_fmac_f32_e32 v14, v47, v28
	v_fma_f32 v7, -v45, v29, v7
	v_fmac_f32_e32 v13, v44, v29
	v_fma_f32 v12, -v47, v29, v12
	v_fmac_f32_e32 v14, v46, v29
	s_waitcnt vmcnt(3)
	v_fmac_f32_e32 v7, v48, v38
	v_fmac_f32_e32 v13, v49, v38
	s_waitcnt vmcnt(2)
	v_fmac_f32_e32 v12, v50, v38
	v_fmac_f32_e32 v14, v51, v38
	v_fma_f32 v7, -v49, v39, v7
	v_fmac_f32_e32 v13, v48, v39
	v_fma_f32 v12, -v51, v39, v12
	v_fmac_f32_e32 v14, v50, v39
	s_waitcnt vmcnt(1)
	v_fmac_f32_e32 v7, v9, v40
	v_fmac_f32_e32 v13, v10, v40
	s_waitcnt vmcnt(0)
	v_fmac_f32_e32 v12, v42, v40
	v_fmac_f32_e32 v14, v43, v40
	v_fma_f32 v17, -v10, v41, v7
	v_fmac_f32_e32 v13, v9, v41
	v_fma_f32 v16, -v43, v41, v12
	v_fmac_f32_e32 v14, v42, v41
	s_andn2_b32 exec_lo, exec_lo, s0
	s_cbranch_execnz .LBB202_13
; %bb.14:
	s_or_b32 exec_lo, exec_lo, s0
.LBB202_15:
	s_or_b32 exec_lo, exec_lo, s1
.LBB202_16:
	v_mbcnt_lo_u32_b32 v6, -1, 0
	v_xor_b32_e32 v7, 2, v6
	v_xor_b32_e32 v11, 1, v6
	v_cmp_gt_i32_e32 vcc_lo, 32, v7
	v_cndmask_b32_e32 v7, v6, v7, vcc_lo
	v_cmp_gt_i32_e32 vcc_lo, 32, v11
	v_lshlrev_b32_e32 v7, 2, v7
	v_cndmask_b32_e32 v6, v6, v11, vcc_lo
	v_cmp_eq_u32_e32 vcc_lo, 3, v0
	ds_bpermute_b32 v8, v7, v17
	ds_bpermute_b32 v9, v7, v13
	;; [unrolled: 1-line block ×4, first 2 shown]
	v_lshlrev_b32_e32 v11, 2, v6
	s_waitcnt lgkmcnt(3)
	v_add_f32_e32 v8, v17, v8
	s_waitcnt lgkmcnt(2)
	v_add_f32_e32 v9, v13, v9
	;; [unrolled: 2-line block ×4, first 2 shown]
	ds_bpermute_b32 v12, v11, v8
	ds_bpermute_b32 v13, v11, v9
	;; [unrolled: 1-line block ×4, first 2 shown]
	s_and_b32 exec_lo, exec_lo, vcc_lo
	s_cbranch_execz .LBB202_21
; %bb.17:
	s_load_dwordx2 s[2:3], s[4:5], 0x38
	v_cmp_eq_f32_e32 vcc_lo, 0, v3
	v_cmp_eq_f32_e64 s0, 0, v4
	s_waitcnt lgkmcnt(0)
	v_add_f32_e32 v0, v8, v12
	v_add_f32_e32 v8, v9, v13
	;; [unrolled: 1-line block ×4, first 2 shown]
	s_and_b32 s0, vcc_lo, s0
	s_and_saveexec_b32 s1, s0
	s_xor_b32 s0, exec_lo, s1
	s_cbranch_execz .LBB202_19
; %bb.18:
	v_lshlrev_b32_e32 v3, 1, v5
	v_mul_f32_e64 v9, v8, -v2
	v_mul_f32_e32 v10, v1, v8
	v_mul_f32_e64 v11, v7, -v2
	v_mul_f32_e32 v12, v1, v7
	v_ashrrev_i32_e32 v4, 31, v3
	v_fmac_f32_e32 v9, v1, v0
	v_fmac_f32_e32 v10, v2, v0
	;; [unrolled: 1-line block ×4, first 2 shown]
	v_lshlrev_b64 v[3:4], 3, v[3:4]
                                        ; implicit-def: $vgpr5
                                        ; implicit-def: $vgpr8
                                        ; implicit-def: $vgpr7
                                        ; implicit-def: $vgpr6
	v_add_co_u32 v0, vcc_lo, s2, v3
	v_add_co_ci_u32_e64 v1, null, s3, v4, vcc_lo
                                        ; implicit-def: $vgpr3_vgpr4
	global_store_dwordx4 v[0:1], v[9:12], off
                                        ; implicit-def: $vgpr1_vgpr2
                                        ; implicit-def: $vgpr0
.LBB202_19:
	s_andn2_saveexec_b32 s0, s0
	s_cbranch_execz .LBB202_21
; %bb.20:
	v_lshlrev_b32_e32 v9, 1, v5
	v_mul_f32_e64 v5, v8, -v2
	v_mul_f32_e32 v14, v1, v8
	v_mul_f32_e64 v8, v7, -v2
	v_mul_f32_e32 v16, v1, v7
	v_ashrrev_i32_e32 v10, 31, v9
	v_fmac_f32_e32 v5, v1, v0
	v_fmac_f32_e32 v14, v2, v0
	;; [unrolled: 1-line block ×4, first 2 shown]
	v_lshlrev_b64 v[9:10], 3, v[9:10]
	v_add_co_u32 v17, vcc_lo, s2, v9
	v_add_co_ci_u32_e64 v18, null, s3, v10, vcc_lo
	global_load_dwordx4 v[9:12], v[17:18], off
	s_waitcnt vmcnt(0)
	v_fmac_f32_e32 v5, v3, v9
	v_fmac_f32_e32 v14, v4, v9
	;; [unrolled: 1-line block ×4, first 2 shown]
	v_fma_f32 v13, -v4, v10, v5
	v_fmac_f32_e32 v14, v3, v10
	v_fma_f32 v15, -v4, v12, v8
	v_fmac_f32_e32 v16, v3, v12
	global_store_dwordx4 v[17:18], v[13:16], off
.LBB202_21:
	s_endpgm
	.section	.rodata,"a",@progbits
	.p2align	6, 0x0
	.amdhsa_kernel _ZN9rocsparseL19gebsrmvn_2xn_kernelILj128ELj12ELj4E21rocsparse_complex_numIfEEEvi20rocsparse_direction_NS_24const_host_device_scalarIT2_EEPKiS8_PKS5_SA_S6_PS5_21rocsparse_index_base_b
		.amdhsa_group_segment_fixed_size 0
		.amdhsa_private_segment_fixed_size 0
		.amdhsa_kernarg_size 72
		.amdhsa_user_sgpr_count 6
		.amdhsa_user_sgpr_private_segment_buffer 1
		.amdhsa_user_sgpr_dispatch_ptr 0
		.amdhsa_user_sgpr_queue_ptr 0
		.amdhsa_user_sgpr_kernarg_segment_ptr 1
		.amdhsa_user_sgpr_dispatch_id 0
		.amdhsa_user_sgpr_flat_scratch_init 0
		.amdhsa_user_sgpr_private_segment_size 0
		.amdhsa_wavefront_size32 1
		.amdhsa_uses_dynamic_stack 0
		.amdhsa_system_sgpr_private_segment_wavefront_offset 0
		.amdhsa_system_sgpr_workgroup_id_x 1
		.amdhsa_system_sgpr_workgroup_id_y 0
		.amdhsa_system_sgpr_workgroup_id_z 0
		.amdhsa_system_sgpr_workgroup_info 0
		.amdhsa_system_vgpr_workitem_id 0
		.amdhsa_next_free_vgpr 78
		.amdhsa_next_free_sgpr 16
		.amdhsa_reserve_vcc 1
		.amdhsa_reserve_flat_scratch 0
		.amdhsa_float_round_mode_32 0
		.amdhsa_float_round_mode_16_64 0
		.amdhsa_float_denorm_mode_32 3
		.amdhsa_float_denorm_mode_16_64 3
		.amdhsa_dx10_clamp 1
		.amdhsa_ieee_mode 1
		.amdhsa_fp16_overflow 0
		.amdhsa_workgroup_processor_mode 1
		.amdhsa_memory_ordered 1
		.amdhsa_forward_progress 1
		.amdhsa_shared_vgpr_count 0
		.amdhsa_exception_fp_ieee_invalid_op 0
		.amdhsa_exception_fp_denorm_src 0
		.amdhsa_exception_fp_ieee_div_zero 0
		.amdhsa_exception_fp_ieee_overflow 0
		.amdhsa_exception_fp_ieee_underflow 0
		.amdhsa_exception_fp_ieee_inexact 0
		.amdhsa_exception_int_div_zero 0
	.end_amdhsa_kernel
	.section	.text._ZN9rocsparseL19gebsrmvn_2xn_kernelILj128ELj12ELj4E21rocsparse_complex_numIfEEEvi20rocsparse_direction_NS_24const_host_device_scalarIT2_EEPKiS8_PKS5_SA_S6_PS5_21rocsparse_index_base_b,"axG",@progbits,_ZN9rocsparseL19gebsrmvn_2xn_kernelILj128ELj12ELj4E21rocsparse_complex_numIfEEEvi20rocsparse_direction_NS_24const_host_device_scalarIT2_EEPKiS8_PKS5_SA_S6_PS5_21rocsparse_index_base_b,comdat
.Lfunc_end202:
	.size	_ZN9rocsparseL19gebsrmvn_2xn_kernelILj128ELj12ELj4E21rocsparse_complex_numIfEEEvi20rocsparse_direction_NS_24const_host_device_scalarIT2_EEPKiS8_PKS5_SA_S6_PS5_21rocsparse_index_base_b, .Lfunc_end202-_ZN9rocsparseL19gebsrmvn_2xn_kernelILj128ELj12ELj4E21rocsparse_complex_numIfEEEvi20rocsparse_direction_NS_24const_host_device_scalarIT2_EEPKiS8_PKS5_SA_S6_PS5_21rocsparse_index_base_b
                                        ; -- End function
	.set _ZN9rocsparseL19gebsrmvn_2xn_kernelILj128ELj12ELj4E21rocsparse_complex_numIfEEEvi20rocsparse_direction_NS_24const_host_device_scalarIT2_EEPKiS8_PKS5_SA_S6_PS5_21rocsparse_index_base_b.num_vgpr, 78
	.set _ZN9rocsparseL19gebsrmvn_2xn_kernelILj128ELj12ELj4E21rocsparse_complex_numIfEEEvi20rocsparse_direction_NS_24const_host_device_scalarIT2_EEPKiS8_PKS5_SA_S6_PS5_21rocsparse_index_base_b.num_agpr, 0
	.set _ZN9rocsparseL19gebsrmvn_2xn_kernelILj128ELj12ELj4E21rocsparse_complex_numIfEEEvi20rocsparse_direction_NS_24const_host_device_scalarIT2_EEPKiS8_PKS5_SA_S6_PS5_21rocsparse_index_base_b.numbered_sgpr, 16
	.set _ZN9rocsparseL19gebsrmvn_2xn_kernelILj128ELj12ELj4E21rocsparse_complex_numIfEEEvi20rocsparse_direction_NS_24const_host_device_scalarIT2_EEPKiS8_PKS5_SA_S6_PS5_21rocsparse_index_base_b.num_named_barrier, 0
	.set _ZN9rocsparseL19gebsrmvn_2xn_kernelILj128ELj12ELj4E21rocsparse_complex_numIfEEEvi20rocsparse_direction_NS_24const_host_device_scalarIT2_EEPKiS8_PKS5_SA_S6_PS5_21rocsparse_index_base_b.private_seg_size, 0
	.set _ZN9rocsparseL19gebsrmvn_2xn_kernelILj128ELj12ELj4E21rocsparse_complex_numIfEEEvi20rocsparse_direction_NS_24const_host_device_scalarIT2_EEPKiS8_PKS5_SA_S6_PS5_21rocsparse_index_base_b.uses_vcc, 1
	.set _ZN9rocsparseL19gebsrmvn_2xn_kernelILj128ELj12ELj4E21rocsparse_complex_numIfEEEvi20rocsparse_direction_NS_24const_host_device_scalarIT2_EEPKiS8_PKS5_SA_S6_PS5_21rocsparse_index_base_b.uses_flat_scratch, 0
	.set _ZN9rocsparseL19gebsrmvn_2xn_kernelILj128ELj12ELj4E21rocsparse_complex_numIfEEEvi20rocsparse_direction_NS_24const_host_device_scalarIT2_EEPKiS8_PKS5_SA_S6_PS5_21rocsparse_index_base_b.has_dyn_sized_stack, 0
	.set _ZN9rocsparseL19gebsrmvn_2xn_kernelILj128ELj12ELj4E21rocsparse_complex_numIfEEEvi20rocsparse_direction_NS_24const_host_device_scalarIT2_EEPKiS8_PKS5_SA_S6_PS5_21rocsparse_index_base_b.has_recursion, 0
	.set _ZN9rocsparseL19gebsrmvn_2xn_kernelILj128ELj12ELj4E21rocsparse_complex_numIfEEEvi20rocsparse_direction_NS_24const_host_device_scalarIT2_EEPKiS8_PKS5_SA_S6_PS5_21rocsparse_index_base_b.has_indirect_call, 0
	.section	.AMDGPU.csdata,"",@progbits
; Kernel info:
; codeLenInByte = 3356
; TotalNumSgprs: 18
; NumVgprs: 78
; ScratchSize: 0
; MemoryBound: 0
; FloatMode: 240
; IeeeMode: 1
; LDSByteSize: 0 bytes/workgroup (compile time only)
; SGPRBlocks: 0
; VGPRBlocks: 9
; NumSGPRsForWavesPerEU: 18
; NumVGPRsForWavesPerEU: 78
; Occupancy: 12
; WaveLimiterHint : 1
; COMPUTE_PGM_RSRC2:SCRATCH_EN: 0
; COMPUTE_PGM_RSRC2:USER_SGPR: 6
; COMPUTE_PGM_RSRC2:TRAP_HANDLER: 0
; COMPUTE_PGM_RSRC2:TGID_X_EN: 1
; COMPUTE_PGM_RSRC2:TGID_Y_EN: 0
; COMPUTE_PGM_RSRC2:TGID_Z_EN: 0
; COMPUTE_PGM_RSRC2:TIDIG_COMP_CNT: 0
	.section	.text._ZN9rocsparseL19gebsrmvn_2xn_kernelILj128ELj12ELj8E21rocsparse_complex_numIfEEEvi20rocsparse_direction_NS_24const_host_device_scalarIT2_EEPKiS8_PKS5_SA_S6_PS5_21rocsparse_index_base_b,"axG",@progbits,_ZN9rocsparseL19gebsrmvn_2xn_kernelILj128ELj12ELj8E21rocsparse_complex_numIfEEEvi20rocsparse_direction_NS_24const_host_device_scalarIT2_EEPKiS8_PKS5_SA_S6_PS5_21rocsparse_index_base_b,comdat
	.globl	_ZN9rocsparseL19gebsrmvn_2xn_kernelILj128ELj12ELj8E21rocsparse_complex_numIfEEEvi20rocsparse_direction_NS_24const_host_device_scalarIT2_EEPKiS8_PKS5_SA_S6_PS5_21rocsparse_index_base_b ; -- Begin function _ZN9rocsparseL19gebsrmvn_2xn_kernelILj128ELj12ELj8E21rocsparse_complex_numIfEEEvi20rocsparse_direction_NS_24const_host_device_scalarIT2_EEPKiS8_PKS5_SA_S6_PS5_21rocsparse_index_base_b
	.p2align	8
	.type	_ZN9rocsparseL19gebsrmvn_2xn_kernelILj128ELj12ELj8E21rocsparse_complex_numIfEEEvi20rocsparse_direction_NS_24const_host_device_scalarIT2_EEPKiS8_PKS5_SA_S6_PS5_21rocsparse_index_base_b,@function
_ZN9rocsparseL19gebsrmvn_2xn_kernelILj128ELj12ELj8E21rocsparse_complex_numIfEEEvi20rocsparse_direction_NS_24const_host_device_scalarIT2_EEPKiS8_PKS5_SA_S6_PS5_21rocsparse_index_base_b: ; @_ZN9rocsparseL19gebsrmvn_2xn_kernelILj128ELj12ELj8E21rocsparse_complex_numIfEEEvi20rocsparse_direction_NS_24const_host_device_scalarIT2_EEPKiS8_PKS5_SA_S6_PS5_21rocsparse_index_base_b
; %bb.0:
	s_clause 0x2
	s_load_dwordx2 s[2:3], s[4:5], 0x40
	s_load_dwordx2 s[0:1], s[4:5], 0x8
	;; [unrolled: 1-line block ×3, first 2 shown]
	s_add_u32 s7, s4, 8
	s_addc_u32 s10, s5, 0
	s_add_u32 s11, s4, 48
	s_addc_u32 s12, s5, 0
	s_waitcnt lgkmcnt(0)
	s_bitcmp1_b32 s3, 0
	s_cselect_b32 s0, s7, s0
	s_cselect_b32 s1, s10, s1
	v_mov_b32_e32 v1, s0
	v_mov_b32_e32 v2, s1
	s_cselect_b32 s0, s11, s8
	s_cselect_b32 s1, s12, s9
	v_mov_b32_e32 v3, s0
	v_mov_b32_e32 v4, s1
	flat_load_dwordx2 v[1:2], v[1:2]
	flat_load_dwordx2 v[3:4], v[3:4]
	s_waitcnt vmcnt(1) lgkmcnt(1)
	v_cmp_eq_f32_e32 vcc_lo, 0, v1
	v_cmp_eq_f32_e64 s0, 0, v2
	s_and_b32 s3, vcc_lo, s0
	s_mov_b32 s0, -1
	s_and_saveexec_b32 s1, s3
	s_cbranch_execz .LBB203_2
; %bb.1:
	s_waitcnt vmcnt(0) lgkmcnt(0)
	v_cmp_neq_f32_e32 vcc_lo, 1.0, v3
	v_cmp_neq_f32_e64 s0, 0, v4
	s_or_b32 s0, vcc_lo, s0
	s_orn2_b32 s0, s0, exec_lo
.LBB203_2:
	s_or_b32 exec_lo, exec_lo, s1
	s_and_saveexec_b32 s1, s0
	s_cbranch_execz .LBB203_21
; %bb.3:
	s_load_dwordx2 s[0:1], s[4:5], 0x0
	v_lshrrev_b32_e32 v5, 3, v0
	v_lshl_or_b32 v5, s6, 4, v5
	s_waitcnt lgkmcnt(0)
	v_cmp_gt_i32_e32 vcc_lo, s0, v5
	s_and_b32 exec_lo, exec_lo, vcc_lo
	s_cbranch_execz .LBB203_21
; %bb.4:
	s_load_dwordx8 s[8:15], s[4:5], 0x10
	v_ashrrev_i32_e32 v6, 31, v5
	v_and_b32_e32 v0, 7, v0
	s_cmp_lg_u32 s1, 0
	v_lshlrev_b64 v[6:7], 2, v[5:6]
	s_waitcnt lgkmcnt(0)
	v_add_co_u32 v6, vcc_lo, s8, v6
	v_add_co_ci_u32_e64 v7, null, s9, v7, vcc_lo
	global_load_dwordx2 v[6:7], v[6:7], off
	s_waitcnt vmcnt(0)
	v_subrev_nc_u32_e32 v6, s2, v6
	v_subrev_nc_u32_e32 v15, s2, v7
	v_add_nc_u32_e32 v6, v6, v0
	v_cmp_lt_i32_e64 s0, v6, v15
	s_cbranch_scc0 .LBB203_10
; %bb.5:
	v_mov_b32_e32 v13, 0
	v_mov_b32_e32 v17, 0
	;; [unrolled: 1-line block ×4, first 2 shown]
	s_and_saveexec_b32 s3, s0
	s_cbranch_execz .LBB203_9
; %bb.6:
	v_mad_u64_u32 v[7:8], null, v6, 24, 22
	v_mov_b32_e32 v10, 0
	v_mov_b32_e32 v11, v6
	;; [unrolled: 1-line block ×6, first 2 shown]
	s_mov_b32 s6, 0
.LBB203_7:                              ; =>This Inner Loop Header: Depth=1
	v_ashrrev_i32_e32 v12, 31, v11
	v_mov_b32_e32 v59, v10
	v_lshlrev_b64 v[8:9], 2, v[11:12]
	v_add_nc_u32_e32 v11, 8, v11
	v_add_co_u32 v8, vcc_lo, s10, v8
	v_add_co_ci_u32_e64 v9, null, s11, v9, vcc_lo
	global_load_dword v12, v[8:9], off
	v_subrev_nc_u32_e32 v9, 22, v7
	v_mov_b32_e32 v8, v10
	v_lshlrev_b64 v[18:19], 3, v[9:10]
	v_add_nc_u32_e32 v9, -14, v7
	v_lshlrev_b64 v[73:74], 3, v[7:8]
	v_lshlrev_b64 v[8:9], 3, v[9:10]
	v_add_co_u32 v34, vcc_lo, s12, v18
	v_add_co_ci_u32_e64 v35, null, s13, v19, vcc_lo
	v_add_co_u32 v75, vcc_lo, s12, v73
	s_clause 0x1
	global_load_dwordx4 v[18:21], v[34:35], off offset:16
	global_load_dwordx4 v[22:25], v[34:35], off
	s_waitcnt vmcnt(2)
	v_subrev_nc_u32_e32 v12, s2, v12
	v_mul_lo_u32 v58, v12, 12
	v_lshlrev_b64 v[26:27], 3, v[58:59]
	v_add_co_u32 v42, s1, s14, v26
	v_add_co_ci_u32_e64 v43, null, s15, v27, s1
	v_add_co_u32 v8, s1, s12, v8
	v_add_co_ci_u32_e64 v9, null, s13, v9, s1
	global_load_dwordx4 v[26:29], v[42:43], off
	s_clause 0x2
	global_load_dwordx4 v[30:33], v[34:35], off offset:48
	global_load_dwordx4 v[34:37], v[34:35], off offset:32
	global_load_dwordx4 v[38:41], v[8:9], off
	global_load_dwordx4 v[42:45], v[42:43], off offset:16
	v_add_nc_u32_e32 v9, 4, v58
	v_lshlrev_b64 v[46:47], 3, v[9:10]
	v_add_nc_u32_e32 v9, -12, v7
	v_add_co_u32 v50, s1, s14, v46
	v_add_co_ci_u32_e64 v51, null, s15, v47, s1
	v_lshlrev_b64 v[54:55], 3, v[9:10]
	v_add_nc_u32_e32 v9, -10, v7
	s_clause 0x1
	global_load_dwordx4 v[46:49], v[50:51], off offset:16
	global_load_dwordx4 v[50:53], v[50:51], off
	v_lshlrev_b64 v[56:57], 3, v[9:10]
	v_add_co_u32 v54, s1, s12, v54
	v_add_co_ci_u32_e64 v55, null, s13, v55, s1
	v_add_nc_u32_e32 v9, -8, v7
	v_add_co_u32 v59, s1, s12, v56
	v_add_co_ci_u32_e64 v60, null, s13, v57, s1
	global_load_dwordx4 v[54:57], v[54:55], off
	v_lshlrev_b64 v[62:63], 3, v[9:10]
	v_add_nc_u32_e32 v9, -6, v7
	v_lshlrev_b64 v[64:65], 3, v[9:10]
	v_add_nc_u32_e32 v9, 8, v58
	global_load_dwordx4 v[58:61], v[59:60], off
	v_add_co_u32 v62, s1, s12, v62
	v_add_co_ci_u32_e64 v63, null, s13, v63, s1
	v_lshlrev_b64 v[66:67], 3, v[9:10]
	v_add_co_u32 v68, s1, s12, v64
	v_add_co_ci_u32_e64 v69, null, s13, v65, s1
	global_load_dwordx4 v[62:65], v[62:63], off
	v_add_nc_u32_e32 v9, -4, v7
	v_add_co_u32 v76, s1, s14, v66
	v_add_co_ci_u32_e64 v77, null, s15, v67, s1
	v_lshlrev_b64 v[70:71], 3, v[9:10]
	global_load_dwordx4 v[66:69], v[68:69], off
	v_add_nc_u32_e32 v9, -2, v7
	v_add_nc_u32_e32 v7, 0xc0, v7
	v_lshlrev_b64 v[8:9], 3, v[9:10]
	s_waitcnt vmcnt(10)
	v_fmac_f32_e32 v17, v22, v26
	v_fmac_f32_e32 v13, v23, v26
	;; [unrolled: 1-line block ×4, first 2 shown]
	v_fma_f32 v12, -v23, v27, v17
	v_fmac_f32_e32 v13, v22, v27
	v_fma_f32 v26, -v25, v27, v16
	v_fmac_f32_e32 v14, v24, v27
	global_load_dwordx4 v[22:25], v[76:77], off
	v_add_co_u32 v16, s1, s12, v70
	v_add_co_ci_u32_e64 v17, null, s13, v71, s1
	v_add_co_u32 v8, s1, s12, v8
	v_fmac_f32_e32 v12, v18, v28
	global_load_dwordx4 v[70:73], v[16:17], off
	v_fmac_f32_e32 v13, v19, v28
	v_fmac_f32_e32 v26, v20, v28
	;; [unrolled: 1-line block ×3, first 2 shown]
	v_add_co_ci_u32_e64 v9, null, s13, v9, s1
	v_fma_f32 v12, -v19, v29, v12
	v_fmac_f32_e32 v13, v18, v29
	v_fma_f32 v21, -v21, v29, v26
	v_fmac_f32_e32 v14, v20, v29
	global_load_dwordx4 v[16:19], v[76:77], off offset:16
	global_load_dwordx4 v[26:29], v[8:9], off
	v_add_co_ci_u32_e64 v76, null, s13, v74, vcc_lo
	s_waitcnt vmcnt(10)
	v_fmac_f32_e32 v12, v34, v42
	v_fmac_f32_e32 v13, v35, v42
	;; [unrolled: 1-line block ×3, first 2 shown]
	global_load_dwordx4 v[74:77], v[75:76], off
	v_fmac_f32_e32 v14, v37, v42
	v_fma_f32 v8, -v35, v43, v12
	v_fmac_f32_e32 v13, v34, v43
	v_fma_f32 v9, -v37, v43, v21
	v_cmp_ge_i32_e32 vcc_lo, v11, v15
	v_fmac_f32_e32 v14, v36, v43
	v_fmac_f32_e32 v8, v30, v44
	;; [unrolled: 1-line block ×4, first 2 shown]
	s_or_b32 s6, vcc_lo, s6
	v_fmac_f32_e32 v14, v33, v44
	v_fma_f32 v8, -v31, v45, v8
	v_fmac_f32_e32 v13, v30, v45
	v_fma_f32 v9, -v33, v45, v9
	v_fmac_f32_e32 v14, v32, v45
	s_waitcnt vmcnt(9)
	v_fmac_f32_e32 v8, v38, v50
	v_fmac_f32_e32 v13, v39, v50
	v_fmac_f32_e32 v9, v40, v50
	v_fmac_f32_e32 v14, v41, v50
	v_fma_f32 v8, -v39, v51, v8
	v_fmac_f32_e32 v13, v38, v51
	v_fma_f32 v9, -v41, v51, v9
	v_fmac_f32_e32 v14, v40, v51
	s_waitcnt vmcnt(8)
	v_fmac_f32_e32 v8, v54, v52
	v_fmac_f32_e32 v13, v55, v52
	v_fmac_f32_e32 v9, v56, v52
	;; [unrolled: 9-line block ×8, first 2 shown]
	v_fmac_f32_e32 v14, v77, v18
	v_fma_f32 v17, -v75, v19, v8
	v_fmac_f32_e32 v13, v74, v19
	v_fma_f32 v16, -v77, v19, v9
	v_fmac_f32_e32 v14, v76, v19
	s_andn2_b32 exec_lo, exec_lo, s6
	s_cbranch_execnz .LBB203_7
; %bb.8:
	s_or_b32 exec_lo, exec_lo, s6
.LBB203_9:
	s_or_b32 exec_lo, exec_lo, s3
	s_cbranch_execz .LBB203_11
	s_branch .LBB203_16
.LBB203_10:
                                        ; implicit-def: $vgpr13
                                        ; implicit-def: $vgpr17
                                        ; implicit-def: $vgpr16
                                        ; implicit-def: $vgpr14
.LBB203_11:
	v_mov_b32_e32 v13, 0
	v_mov_b32_e32 v17, 0
	;; [unrolled: 1-line block ×4, first 2 shown]
	s_and_saveexec_b32 s1, s0
	s_cbranch_execz .LBB203_15
; %bb.12:
	v_mad_u64_u32 v[8:9], null, v6, 24, 23
	v_mov_b32_e32 v11, 0
	v_mov_b32_e32 v13, 0
	;; [unrolled: 1-line block ×5, first 2 shown]
	s_mov_b32 s0, 0
.LBB203_13:                             ; =>This Inner Loop Header: Depth=1
	v_ashrrev_i32_e32 v7, 31, v6
	v_subrev_nc_u32_e32 v10, 23, v8
	v_add_nc_u32_e32 v18, -11, v8
	v_mov_b32_e32 v19, v11
	v_mov_b32_e32 v9, v11
	v_lshlrev_b64 v[22:23], 2, v[6:7]
	v_lshlrev_b64 v[20:21], 3, v[10:11]
	v_add_nc_u32_e32 v10, -10, v8
	v_lshlrev_b64 v[18:19], 3, v[18:19]
	v_lshlrev_b64 v[24:25], 3, v[8:9]
	v_mov_b32_e32 v39, v11
	v_add_co_u32 v22, vcc_lo, s10, v22
	v_add_co_ci_u32_e64 v23, null, s11, v23, vcc_lo
	v_add_co_u32 v30, vcc_lo, s12, v20
	v_add_co_ci_u32_e64 v31, null, s13, v21, vcc_lo
	;; [unrolled: 2-line block ×4, first 2 shown]
	global_load_dword v7, v[22:23], off
	s_clause 0x1
	global_load_dwordx4 v[18:21], v[30:31], off offset:48
	global_load_dwordx4 v[22:25], v[30:31], off offset:32
	v_lshlrev_b64 v[26:27], 3, v[10:11]
	v_add_nc_u32_e32 v10, -9, v8
	v_add_nc_u32_e32 v6, 8, v6
	v_lshlrev_b64 v[36:37], 3, v[10:11]
	v_add_nc_u32_e32 v10, -8, v8
	v_add_co_u32 v40, vcc_lo, s12, v26
	v_add_co_ci_u32_e64 v41, null, s13, v27, vcc_lo
	v_lshlrev_b64 v[9:10], 3, v[10:11]
	s_clause 0x2
	global_load_dwordx4 v[26:29], v[30:31], off offset:16
	global_load_dwordx4 v[30:33], v[30:31], off
	global_load_dwordx2 v[44:45], v[34:35], off
	v_add_co_u32 v34, vcc_lo, s12, v36
	v_add_co_ci_u32_e64 v35, null, s13, v37, vcc_lo
	v_add_co_u32 v9, vcc_lo, s12, v9
	v_add_co_ci_u32_e64 v10, null, s13, v10, vcc_lo
	s_clause 0x2
	global_load_dwordx2 v[46:47], v[40:41], off
	global_load_dwordx2 v[48:49], v[34:35], off
	global_load_dwordx2 v[50:51], v[9:10], off
	s_waitcnt vmcnt(8)
	v_subrev_nc_u32_e32 v7, s2, v7
	v_mul_lo_u32 v38, v7, 12
	v_lshlrev_b64 v[34:35], 3, v[38:39]
	v_add_nc_u32_e32 v10, 4, v38
	v_add_co_u32 v52, vcc_lo, s14, v34
	v_add_co_ci_u32_e64 v53, null, s15, v35, vcc_lo
	v_lshlrev_b64 v[39:40], 3, v[10:11]
	v_add_nc_u32_e32 v10, -7, v8
	global_load_dwordx4 v[34:37], v[52:53], off
	v_lshlrev_b64 v[54:55], 3, v[10:11]
	v_add_nc_u32_e32 v10, -6, v8
	v_add_co_u32 v56, vcc_lo, s14, v39
	v_add_co_ci_u32_e64 v57, null, s15, v40, vcc_lo
	v_lshlrev_b64 v[39:40], 3, v[10:11]
	v_add_nc_u32_e32 v10, -5, v8
	v_add_co_u32 v54, vcc_lo, s12, v54
	v_add_co_ci_u32_e64 v55, null, s13, v55, vcc_lo
	;; [unrolled: 4-line block ×4, first 2 shown]
	v_add_co_u32 v64, vcc_lo, s12, v39
	v_lshlrev_b64 v[62:63], 3, v[10:11]
	v_add_nc_u32_e32 v10, 8, v38
	v_add_co_ci_u32_e64 v65, null, s13, v40, vcc_lo
	global_load_dwordx4 v[38:41], v[52:53], off offset:16
	v_lshlrev_b64 v[9:10], 3, v[10:11]
	v_add_co_u32 v62, vcc_lo, s12, v62
	v_add_co_ci_u32_e64 v63, null, s13, v63, vcc_lo
	v_add_co_u32 v66, vcc_lo, s14, v9
	v_add_co_ci_u32_e64 v67, null, s15, v10, vcc_lo
	v_add_nc_u32_e32 v10, -3, v8
	s_waitcnt vmcnt(1)
	v_fmac_f32_e32 v17, v30, v34
	v_fmac_f32_e32 v16, v44, v34
	;; [unrolled: 1-line block ×4, first 2 shown]
	v_fma_f32 v7, -v31, v35, v17
	v_fma_f32 v9, -v45, v35, v16
	v_lshlrev_b64 v[16:17], 3, v[10:11]
	v_add_nc_u32_e32 v10, -14, v8
	v_fmac_f32_e32 v13, v30, v35
	v_fmac_f32_e32 v14, v44, v35
	;; [unrolled: 1-line block ×4, first 2 shown]
	v_lshlrev_b64 v[34:35], 3, v[10:11]
	v_fmac_f32_e32 v13, v33, v36
	v_fmac_f32_e32 v14, v47, v36
	v_add_co_u32 v16, vcc_lo, s12, v16
	v_add_co_ci_u32_e64 v17, null, s13, v17, vcc_lo
	v_add_co_u32 v44, vcc_lo, s12, v34
	v_fma_f32 v7, -v33, v37, v7
	v_fmac_f32_e32 v13, v32, v37
	global_load_dwordx4 v[30:33], v[56:57], off offset:16
	v_fma_f32 v12, -v47, v37, v9
	v_fmac_f32_e32 v14, v46, v37
	v_add_co_ci_u32_e64 v45, null, s13, v35, vcc_lo
	global_load_dwordx4 v[34:37], v[56:57], off
	s_clause 0x4
	global_load_dwordx2 v[52:53], v[54:55], off
	global_load_dwordx2 v[54:55], v[60:61], off
	;; [unrolled: 1-line block ×5, first 2 shown]
	v_add_nc_u32_e32 v10, -2, v8
	s_clause 0x1
	global_load_dwordx2 v[16:17], v[16:17], off
	global_load_dwordx2 v[44:45], v[44:45], off
	s_waitcnt vmcnt(9)
	v_fmac_f32_e32 v7, v26, v38
	v_fmac_f32_e32 v13, v27, v38
	v_lshlrev_b64 v[9:10], 3, v[10:11]
	v_fmac_f32_e32 v12, v48, v38
	v_fmac_f32_e32 v14, v49, v38
	v_fma_f32 v7, -v27, v39, v7
	v_fmac_f32_e32 v13, v26, v39
	v_add_co_u32 v46, vcc_lo, s12, v9
	v_fmac_f32_e32 v7, v28, v40
	v_fmac_f32_e32 v13, v29, v40
	v_add_co_ci_u32_e64 v47, null, s13, v10, vcc_lo
	v_add_nc_u32_e32 v10, -13, v8
	v_fma_f32 v9, -v49, v39, v12
	v_fmac_f32_e32 v14, v48, v39
	v_fma_f32 v7, -v29, v41, v7
	v_fmac_f32_e32 v13, v28, v41
	global_load_dwordx4 v[26:29], v[66:67], off
	v_lshlrev_b64 v[38:39], 3, v[10:11]
	v_add_nc_u32_e32 v10, -1, v8
	v_fmac_f32_e32 v9, v50, v40
	v_fmac_f32_e32 v14, v51, v40
	global_load_dwordx2 v[46:47], v[46:47], off
	v_add_co_u32 v48, vcc_lo, s12, v38
	v_fma_f32 v12, -v51, v41, v9
	v_fmac_f32_e32 v14, v50, v41
	v_lshlrev_b64 v[40:41], 3, v[10:11]
	v_add_nc_u32_e32 v10, -12, v8
	v_add_co_ci_u32_e64 v49, null, s13, v39, vcc_lo
	v_add_nc_u32_e32 v8, 0xc0, v8
	v_lshlrev_b64 v[9:10], 3, v[10:11]
	v_add_co_u32 v50, vcc_lo, s12, v40
	v_add_co_ci_u32_e64 v51, null, s13, v41, vcc_lo
	v_add_co_u32 v9, vcc_lo, s12, v9
	v_add_co_ci_u32_e64 v10, null, s13, v10, vcc_lo
	global_load_dwordx4 v[38:41], v[66:67], off offset:16
	s_clause 0x3
	global_load_dwordx2 v[48:49], v[48:49], off
	global_load_dwordx2 v[50:51], v[50:51], off
	;; [unrolled: 1-line block ×4, first 2 shown]
	v_cmp_ge_i32_e32 vcc_lo, v6, v15
	s_or_b32 s0, vcc_lo, s0
	s_waitcnt vmcnt(14)
	v_fmac_f32_e32 v7, v22, v34
	v_fmac_f32_e32 v13, v23, v34
	s_waitcnt vmcnt(13)
	v_fmac_f32_e32 v12, v52, v34
	v_fmac_f32_e32 v14, v53, v34
	v_fma_f32 v7, -v23, v35, v7
	v_fmac_f32_e32 v13, v22, v35
	v_fma_f32 v12, -v53, v35, v12
	v_fmac_f32_e32 v14, v52, v35
	v_fmac_f32_e32 v7, v24, v36
	v_fmac_f32_e32 v13, v25, v36
	s_waitcnt vmcnt(12)
	v_fmac_f32_e32 v12, v54, v36
	v_fmac_f32_e32 v14, v55, v36
	v_fma_f32 v7, -v25, v37, v7
	v_fmac_f32_e32 v13, v24, v37
	v_fma_f32 v12, -v55, v37, v12
	v_fmac_f32_e32 v14, v54, v37
	;; [unrolled: 9-line block ×4, first 2 shown]
	s_waitcnt vmcnt(6)
	v_fmac_f32_e32 v7, v60, v26
	v_fmac_f32_e32 v13, v61, v26
	v_fmac_f32_e32 v12, v16, v26
	v_fmac_f32_e32 v14, v17, v26
	v_fma_f32 v7, -v61, v27, v7
	v_fmac_f32_e32 v13, v60, v27
	v_fma_f32 v12, -v17, v27, v12
	v_fmac_f32_e32 v14, v16, v27
	v_fmac_f32_e32 v7, v44, v28
	;; [unrolled: 1-line block ×3, first 2 shown]
	s_waitcnt vmcnt(5)
	v_fmac_f32_e32 v12, v46, v28
	v_fmac_f32_e32 v14, v47, v28
	v_fma_f32 v7, -v45, v29, v7
	v_fmac_f32_e32 v13, v44, v29
	v_fma_f32 v12, -v47, v29, v12
	v_fmac_f32_e32 v14, v46, v29
	s_waitcnt vmcnt(3)
	v_fmac_f32_e32 v7, v48, v38
	v_fmac_f32_e32 v13, v49, v38
	s_waitcnt vmcnt(2)
	v_fmac_f32_e32 v12, v50, v38
	v_fmac_f32_e32 v14, v51, v38
	v_fma_f32 v7, -v49, v39, v7
	v_fmac_f32_e32 v13, v48, v39
	v_fma_f32 v12, -v51, v39, v12
	v_fmac_f32_e32 v14, v50, v39
	s_waitcnt vmcnt(1)
	v_fmac_f32_e32 v7, v9, v40
	v_fmac_f32_e32 v13, v10, v40
	s_waitcnt vmcnt(0)
	v_fmac_f32_e32 v12, v42, v40
	v_fmac_f32_e32 v14, v43, v40
	v_fma_f32 v17, -v10, v41, v7
	v_fmac_f32_e32 v13, v9, v41
	v_fma_f32 v16, -v43, v41, v12
	v_fmac_f32_e32 v14, v42, v41
	s_andn2_b32 exec_lo, exec_lo, s0
	s_cbranch_execnz .LBB203_13
; %bb.14:
	s_or_b32 exec_lo, exec_lo, s0
.LBB203_15:
	s_or_b32 exec_lo, exec_lo, s1
.LBB203_16:
	v_mbcnt_lo_u32_b32 v6, -1, 0
	v_xor_b32_e32 v7, 4, v6
	v_xor_b32_e32 v11, 2, v6
	;; [unrolled: 1-line block ×3, first 2 shown]
	v_cmp_gt_i32_e32 vcc_lo, 32, v7
	v_cndmask_b32_e32 v7, v6, v7, vcc_lo
	v_cmp_gt_i32_e32 vcc_lo, 32, v11
	v_lshlrev_b32_e32 v7, 2, v7
	v_cndmask_b32_e32 v11, v6, v11, vcc_lo
	v_cmp_gt_i32_e32 vcc_lo, 32, v15
	ds_bpermute_b32 v8, v7, v17
	ds_bpermute_b32 v9, v7, v13
	;; [unrolled: 1-line block ×4, first 2 shown]
	v_lshlrev_b32_e32 v11, 2, v11
	v_cndmask_b32_e32 v6, v6, v15, vcc_lo
	v_cmp_eq_u32_e32 vcc_lo, 7, v0
	v_lshlrev_b32_e32 v15, 2, v6
	s_waitcnt lgkmcnt(3)
	v_add_f32_e32 v8, v17, v8
	s_waitcnt lgkmcnt(2)
	v_add_f32_e32 v9, v13, v9
	;; [unrolled: 2-line block ×4, first 2 shown]
	ds_bpermute_b32 v12, v11, v8
	ds_bpermute_b32 v13, v11, v9
	;; [unrolled: 1-line block ×4, first 2 shown]
	s_waitcnt lgkmcnt(3)
	v_add_f32_e32 v8, v8, v12
	s_waitcnt lgkmcnt(2)
	v_add_f32_e32 v9, v9, v13
	;; [unrolled: 2-line block ×4, first 2 shown]
	ds_bpermute_b32 v12, v15, v8
	ds_bpermute_b32 v13, v15, v9
	;; [unrolled: 1-line block ×4, first 2 shown]
	s_and_b32 exec_lo, exec_lo, vcc_lo
	s_cbranch_execz .LBB203_21
; %bb.17:
	s_load_dwordx2 s[2:3], s[4:5], 0x38
	v_cmp_eq_f32_e32 vcc_lo, 0, v3
	v_cmp_eq_f32_e64 s0, 0, v4
	s_waitcnt lgkmcnt(0)
	v_add_f32_e32 v0, v8, v12
	v_add_f32_e32 v8, v9, v13
	;; [unrolled: 1-line block ×4, first 2 shown]
	s_and_b32 s0, vcc_lo, s0
	s_and_saveexec_b32 s1, s0
	s_xor_b32 s0, exec_lo, s1
	s_cbranch_execz .LBB203_19
; %bb.18:
	v_lshlrev_b32_e32 v3, 1, v5
	v_mul_f32_e64 v9, v8, -v2
	v_mul_f32_e32 v10, v1, v8
	v_mul_f32_e64 v11, v7, -v2
	v_mul_f32_e32 v12, v1, v7
	v_ashrrev_i32_e32 v4, 31, v3
	v_fmac_f32_e32 v9, v1, v0
	v_fmac_f32_e32 v10, v2, v0
	;; [unrolled: 1-line block ×4, first 2 shown]
	v_lshlrev_b64 v[3:4], 3, v[3:4]
                                        ; implicit-def: $vgpr5
                                        ; implicit-def: $vgpr8
                                        ; implicit-def: $vgpr7
                                        ; implicit-def: $vgpr6
	v_add_co_u32 v0, vcc_lo, s2, v3
	v_add_co_ci_u32_e64 v1, null, s3, v4, vcc_lo
                                        ; implicit-def: $vgpr3_vgpr4
	global_store_dwordx4 v[0:1], v[9:12], off
                                        ; implicit-def: $vgpr1_vgpr2
                                        ; implicit-def: $vgpr0
.LBB203_19:
	s_andn2_saveexec_b32 s0, s0
	s_cbranch_execz .LBB203_21
; %bb.20:
	v_lshlrev_b32_e32 v9, 1, v5
	v_mul_f32_e64 v5, v8, -v2
	v_mul_f32_e32 v14, v1, v8
	v_mul_f32_e64 v8, v7, -v2
	v_mul_f32_e32 v16, v1, v7
	v_ashrrev_i32_e32 v10, 31, v9
	v_fmac_f32_e32 v5, v1, v0
	v_fmac_f32_e32 v14, v2, v0
	v_fmac_f32_e32 v8, v1, v6
	v_fmac_f32_e32 v16, v2, v6
	v_lshlrev_b64 v[9:10], 3, v[9:10]
	v_add_co_u32 v17, vcc_lo, s2, v9
	v_add_co_ci_u32_e64 v18, null, s3, v10, vcc_lo
	global_load_dwordx4 v[9:12], v[17:18], off
	s_waitcnt vmcnt(0)
	v_fmac_f32_e32 v5, v3, v9
	v_fmac_f32_e32 v14, v4, v9
	;; [unrolled: 1-line block ×4, first 2 shown]
	v_fma_f32 v13, -v4, v10, v5
	v_fmac_f32_e32 v14, v3, v10
	v_fma_f32 v15, -v4, v12, v8
	v_fmac_f32_e32 v16, v3, v12
	global_store_dwordx4 v[17:18], v[13:16], off
.LBB203_21:
	s_endpgm
	.section	.rodata,"a",@progbits
	.p2align	6, 0x0
	.amdhsa_kernel _ZN9rocsparseL19gebsrmvn_2xn_kernelILj128ELj12ELj8E21rocsparse_complex_numIfEEEvi20rocsparse_direction_NS_24const_host_device_scalarIT2_EEPKiS8_PKS5_SA_S6_PS5_21rocsparse_index_base_b
		.amdhsa_group_segment_fixed_size 0
		.amdhsa_private_segment_fixed_size 0
		.amdhsa_kernarg_size 72
		.amdhsa_user_sgpr_count 6
		.amdhsa_user_sgpr_private_segment_buffer 1
		.amdhsa_user_sgpr_dispatch_ptr 0
		.amdhsa_user_sgpr_queue_ptr 0
		.amdhsa_user_sgpr_kernarg_segment_ptr 1
		.amdhsa_user_sgpr_dispatch_id 0
		.amdhsa_user_sgpr_flat_scratch_init 0
		.amdhsa_user_sgpr_private_segment_size 0
		.amdhsa_wavefront_size32 1
		.amdhsa_uses_dynamic_stack 0
		.amdhsa_system_sgpr_private_segment_wavefront_offset 0
		.amdhsa_system_sgpr_workgroup_id_x 1
		.amdhsa_system_sgpr_workgroup_id_y 0
		.amdhsa_system_sgpr_workgroup_id_z 0
		.amdhsa_system_sgpr_workgroup_info 0
		.amdhsa_system_vgpr_workitem_id 0
		.amdhsa_next_free_vgpr 78
		.amdhsa_next_free_sgpr 16
		.amdhsa_reserve_vcc 1
		.amdhsa_reserve_flat_scratch 0
		.amdhsa_float_round_mode_32 0
		.amdhsa_float_round_mode_16_64 0
		.amdhsa_float_denorm_mode_32 3
		.amdhsa_float_denorm_mode_16_64 3
		.amdhsa_dx10_clamp 1
		.amdhsa_ieee_mode 1
		.amdhsa_fp16_overflow 0
		.amdhsa_workgroup_processor_mode 1
		.amdhsa_memory_ordered 1
		.amdhsa_forward_progress 1
		.amdhsa_shared_vgpr_count 0
		.amdhsa_exception_fp_ieee_invalid_op 0
		.amdhsa_exception_fp_denorm_src 0
		.amdhsa_exception_fp_ieee_div_zero 0
		.amdhsa_exception_fp_ieee_overflow 0
		.amdhsa_exception_fp_ieee_underflow 0
		.amdhsa_exception_fp_ieee_inexact 0
		.amdhsa_exception_int_div_zero 0
	.end_amdhsa_kernel
	.section	.text._ZN9rocsparseL19gebsrmvn_2xn_kernelILj128ELj12ELj8E21rocsparse_complex_numIfEEEvi20rocsparse_direction_NS_24const_host_device_scalarIT2_EEPKiS8_PKS5_SA_S6_PS5_21rocsparse_index_base_b,"axG",@progbits,_ZN9rocsparseL19gebsrmvn_2xn_kernelILj128ELj12ELj8E21rocsparse_complex_numIfEEEvi20rocsparse_direction_NS_24const_host_device_scalarIT2_EEPKiS8_PKS5_SA_S6_PS5_21rocsparse_index_base_b,comdat
.Lfunc_end203:
	.size	_ZN9rocsparseL19gebsrmvn_2xn_kernelILj128ELj12ELj8E21rocsparse_complex_numIfEEEvi20rocsparse_direction_NS_24const_host_device_scalarIT2_EEPKiS8_PKS5_SA_S6_PS5_21rocsparse_index_base_b, .Lfunc_end203-_ZN9rocsparseL19gebsrmvn_2xn_kernelILj128ELj12ELj8E21rocsparse_complex_numIfEEEvi20rocsparse_direction_NS_24const_host_device_scalarIT2_EEPKiS8_PKS5_SA_S6_PS5_21rocsparse_index_base_b
                                        ; -- End function
	.set _ZN9rocsparseL19gebsrmvn_2xn_kernelILj128ELj12ELj8E21rocsparse_complex_numIfEEEvi20rocsparse_direction_NS_24const_host_device_scalarIT2_EEPKiS8_PKS5_SA_S6_PS5_21rocsparse_index_base_b.num_vgpr, 78
	.set _ZN9rocsparseL19gebsrmvn_2xn_kernelILj128ELj12ELj8E21rocsparse_complex_numIfEEEvi20rocsparse_direction_NS_24const_host_device_scalarIT2_EEPKiS8_PKS5_SA_S6_PS5_21rocsparse_index_base_b.num_agpr, 0
	.set _ZN9rocsparseL19gebsrmvn_2xn_kernelILj128ELj12ELj8E21rocsparse_complex_numIfEEEvi20rocsparse_direction_NS_24const_host_device_scalarIT2_EEPKiS8_PKS5_SA_S6_PS5_21rocsparse_index_base_b.numbered_sgpr, 16
	.set _ZN9rocsparseL19gebsrmvn_2xn_kernelILj128ELj12ELj8E21rocsparse_complex_numIfEEEvi20rocsparse_direction_NS_24const_host_device_scalarIT2_EEPKiS8_PKS5_SA_S6_PS5_21rocsparse_index_base_b.num_named_barrier, 0
	.set _ZN9rocsparseL19gebsrmvn_2xn_kernelILj128ELj12ELj8E21rocsparse_complex_numIfEEEvi20rocsparse_direction_NS_24const_host_device_scalarIT2_EEPKiS8_PKS5_SA_S6_PS5_21rocsparse_index_base_b.private_seg_size, 0
	.set _ZN9rocsparseL19gebsrmvn_2xn_kernelILj128ELj12ELj8E21rocsparse_complex_numIfEEEvi20rocsparse_direction_NS_24const_host_device_scalarIT2_EEPKiS8_PKS5_SA_S6_PS5_21rocsparse_index_base_b.uses_vcc, 1
	.set _ZN9rocsparseL19gebsrmvn_2xn_kernelILj128ELj12ELj8E21rocsparse_complex_numIfEEEvi20rocsparse_direction_NS_24const_host_device_scalarIT2_EEPKiS8_PKS5_SA_S6_PS5_21rocsparse_index_base_b.uses_flat_scratch, 0
	.set _ZN9rocsparseL19gebsrmvn_2xn_kernelILj128ELj12ELj8E21rocsparse_complex_numIfEEEvi20rocsparse_direction_NS_24const_host_device_scalarIT2_EEPKiS8_PKS5_SA_S6_PS5_21rocsparse_index_base_b.has_dyn_sized_stack, 0
	.set _ZN9rocsparseL19gebsrmvn_2xn_kernelILj128ELj12ELj8E21rocsparse_complex_numIfEEEvi20rocsparse_direction_NS_24const_host_device_scalarIT2_EEPKiS8_PKS5_SA_S6_PS5_21rocsparse_index_base_b.has_recursion, 0
	.set _ZN9rocsparseL19gebsrmvn_2xn_kernelILj128ELj12ELj8E21rocsparse_complex_numIfEEEvi20rocsparse_direction_NS_24const_host_device_scalarIT2_EEPKiS8_PKS5_SA_S6_PS5_21rocsparse_index_base_b.has_indirect_call, 0
	.section	.AMDGPU.csdata,"",@progbits
; Kernel info:
; codeLenInByte = 3436
; TotalNumSgprs: 18
; NumVgprs: 78
; ScratchSize: 0
; MemoryBound: 0
; FloatMode: 240
; IeeeMode: 1
; LDSByteSize: 0 bytes/workgroup (compile time only)
; SGPRBlocks: 0
; VGPRBlocks: 9
; NumSGPRsForWavesPerEU: 18
; NumVGPRsForWavesPerEU: 78
; Occupancy: 12
; WaveLimiterHint : 1
; COMPUTE_PGM_RSRC2:SCRATCH_EN: 0
; COMPUTE_PGM_RSRC2:USER_SGPR: 6
; COMPUTE_PGM_RSRC2:TRAP_HANDLER: 0
; COMPUTE_PGM_RSRC2:TGID_X_EN: 1
; COMPUTE_PGM_RSRC2:TGID_Y_EN: 0
; COMPUTE_PGM_RSRC2:TGID_Z_EN: 0
; COMPUTE_PGM_RSRC2:TIDIG_COMP_CNT: 0
	.section	.text._ZN9rocsparseL19gebsrmvn_2xn_kernelILj128ELj12ELj16E21rocsparse_complex_numIfEEEvi20rocsparse_direction_NS_24const_host_device_scalarIT2_EEPKiS8_PKS5_SA_S6_PS5_21rocsparse_index_base_b,"axG",@progbits,_ZN9rocsparseL19gebsrmvn_2xn_kernelILj128ELj12ELj16E21rocsparse_complex_numIfEEEvi20rocsparse_direction_NS_24const_host_device_scalarIT2_EEPKiS8_PKS5_SA_S6_PS5_21rocsparse_index_base_b,comdat
	.globl	_ZN9rocsparseL19gebsrmvn_2xn_kernelILj128ELj12ELj16E21rocsparse_complex_numIfEEEvi20rocsparse_direction_NS_24const_host_device_scalarIT2_EEPKiS8_PKS5_SA_S6_PS5_21rocsparse_index_base_b ; -- Begin function _ZN9rocsparseL19gebsrmvn_2xn_kernelILj128ELj12ELj16E21rocsparse_complex_numIfEEEvi20rocsparse_direction_NS_24const_host_device_scalarIT2_EEPKiS8_PKS5_SA_S6_PS5_21rocsparse_index_base_b
	.p2align	8
	.type	_ZN9rocsparseL19gebsrmvn_2xn_kernelILj128ELj12ELj16E21rocsparse_complex_numIfEEEvi20rocsparse_direction_NS_24const_host_device_scalarIT2_EEPKiS8_PKS5_SA_S6_PS5_21rocsparse_index_base_b,@function
_ZN9rocsparseL19gebsrmvn_2xn_kernelILj128ELj12ELj16E21rocsparse_complex_numIfEEEvi20rocsparse_direction_NS_24const_host_device_scalarIT2_EEPKiS8_PKS5_SA_S6_PS5_21rocsparse_index_base_b: ; @_ZN9rocsparseL19gebsrmvn_2xn_kernelILj128ELj12ELj16E21rocsparse_complex_numIfEEEvi20rocsparse_direction_NS_24const_host_device_scalarIT2_EEPKiS8_PKS5_SA_S6_PS5_21rocsparse_index_base_b
; %bb.0:
	s_clause 0x2
	s_load_dwordx2 s[2:3], s[4:5], 0x40
	s_load_dwordx2 s[0:1], s[4:5], 0x8
	;; [unrolled: 1-line block ×3, first 2 shown]
	s_add_u32 s7, s4, 8
	s_addc_u32 s10, s5, 0
	s_add_u32 s11, s4, 48
	s_addc_u32 s12, s5, 0
	s_waitcnt lgkmcnt(0)
	s_bitcmp1_b32 s3, 0
	s_cselect_b32 s0, s7, s0
	s_cselect_b32 s1, s10, s1
	v_mov_b32_e32 v1, s0
	v_mov_b32_e32 v2, s1
	s_cselect_b32 s0, s11, s8
	s_cselect_b32 s1, s12, s9
	v_mov_b32_e32 v3, s0
	v_mov_b32_e32 v4, s1
	flat_load_dwordx2 v[1:2], v[1:2]
	flat_load_dwordx2 v[3:4], v[3:4]
	s_waitcnt vmcnt(1) lgkmcnt(1)
	v_cmp_eq_f32_e32 vcc_lo, 0, v1
	v_cmp_eq_f32_e64 s0, 0, v2
	s_and_b32 s3, vcc_lo, s0
	s_mov_b32 s0, -1
	s_and_saveexec_b32 s1, s3
	s_cbranch_execz .LBB204_2
; %bb.1:
	s_waitcnt vmcnt(0) lgkmcnt(0)
	v_cmp_neq_f32_e32 vcc_lo, 1.0, v3
	v_cmp_neq_f32_e64 s0, 0, v4
	s_or_b32 s0, vcc_lo, s0
	s_orn2_b32 s0, s0, exec_lo
.LBB204_2:
	s_or_b32 exec_lo, exec_lo, s1
	s_and_saveexec_b32 s1, s0
	s_cbranch_execz .LBB204_21
; %bb.3:
	s_load_dwordx2 s[0:1], s[4:5], 0x0
	v_lshrrev_b32_e32 v5, 4, v0
	v_lshl_or_b32 v5, s6, 3, v5
	s_waitcnt lgkmcnt(0)
	v_cmp_gt_i32_e32 vcc_lo, s0, v5
	s_and_b32 exec_lo, exec_lo, vcc_lo
	s_cbranch_execz .LBB204_21
; %bb.4:
	s_load_dwordx8 s[8:15], s[4:5], 0x10
	v_ashrrev_i32_e32 v6, 31, v5
	v_and_b32_e32 v0, 15, v0
	s_cmp_lg_u32 s1, 0
	v_lshlrev_b64 v[6:7], 2, v[5:6]
	s_waitcnt lgkmcnt(0)
	v_add_co_u32 v6, vcc_lo, s8, v6
	v_add_co_ci_u32_e64 v7, null, s9, v7, vcc_lo
	global_load_dwordx2 v[6:7], v[6:7], off
	s_waitcnt vmcnt(0)
	v_subrev_nc_u32_e32 v6, s2, v6
	v_subrev_nc_u32_e32 v15, s2, v7
	v_add_nc_u32_e32 v6, v6, v0
	v_cmp_lt_i32_e64 s0, v6, v15
	s_cbranch_scc0 .LBB204_10
; %bb.5:
	v_mov_b32_e32 v13, 0
	v_mov_b32_e32 v17, 0
	;; [unrolled: 1-line block ×4, first 2 shown]
	s_and_saveexec_b32 s3, s0
	s_cbranch_execz .LBB204_9
; %bb.6:
	v_mad_u64_u32 v[7:8], null, v6, 24, 22
	v_mov_b32_e32 v10, 0
	v_mov_b32_e32 v11, v6
	;; [unrolled: 1-line block ×6, first 2 shown]
	s_mov_b32 s6, 0
.LBB204_7:                              ; =>This Inner Loop Header: Depth=1
	v_ashrrev_i32_e32 v12, 31, v11
	v_mov_b32_e32 v59, v10
	v_lshlrev_b64 v[8:9], 2, v[11:12]
	v_add_nc_u32_e32 v11, 16, v11
	v_add_co_u32 v8, vcc_lo, s10, v8
	v_add_co_ci_u32_e64 v9, null, s11, v9, vcc_lo
	global_load_dword v12, v[8:9], off
	v_subrev_nc_u32_e32 v9, 22, v7
	v_mov_b32_e32 v8, v10
	v_lshlrev_b64 v[18:19], 3, v[9:10]
	v_add_nc_u32_e32 v9, -14, v7
	v_lshlrev_b64 v[73:74], 3, v[7:8]
	v_lshlrev_b64 v[8:9], 3, v[9:10]
	v_add_co_u32 v34, vcc_lo, s12, v18
	v_add_co_ci_u32_e64 v35, null, s13, v19, vcc_lo
	v_add_co_u32 v75, vcc_lo, s12, v73
	s_clause 0x1
	global_load_dwordx4 v[18:21], v[34:35], off offset:16
	global_load_dwordx4 v[22:25], v[34:35], off
	s_waitcnt vmcnt(2)
	v_subrev_nc_u32_e32 v12, s2, v12
	v_mul_lo_u32 v58, v12, 12
	v_lshlrev_b64 v[26:27], 3, v[58:59]
	v_add_co_u32 v42, s1, s14, v26
	v_add_co_ci_u32_e64 v43, null, s15, v27, s1
	v_add_co_u32 v8, s1, s12, v8
	v_add_co_ci_u32_e64 v9, null, s13, v9, s1
	global_load_dwordx4 v[26:29], v[42:43], off
	s_clause 0x2
	global_load_dwordx4 v[30:33], v[34:35], off offset:48
	global_load_dwordx4 v[34:37], v[34:35], off offset:32
	global_load_dwordx4 v[38:41], v[8:9], off
	global_load_dwordx4 v[42:45], v[42:43], off offset:16
	v_add_nc_u32_e32 v9, 4, v58
	v_lshlrev_b64 v[46:47], 3, v[9:10]
	v_add_nc_u32_e32 v9, -12, v7
	v_add_co_u32 v50, s1, s14, v46
	v_add_co_ci_u32_e64 v51, null, s15, v47, s1
	v_lshlrev_b64 v[54:55], 3, v[9:10]
	v_add_nc_u32_e32 v9, -10, v7
	s_clause 0x1
	global_load_dwordx4 v[46:49], v[50:51], off offset:16
	global_load_dwordx4 v[50:53], v[50:51], off
	v_lshlrev_b64 v[56:57], 3, v[9:10]
	v_add_co_u32 v54, s1, s12, v54
	v_add_co_ci_u32_e64 v55, null, s13, v55, s1
	v_add_nc_u32_e32 v9, -8, v7
	v_add_co_u32 v59, s1, s12, v56
	v_add_co_ci_u32_e64 v60, null, s13, v57, s1
	global_load_dwordx4 v[54:57], v[54:55], off
	v_lshlrev_b64 v[62:63], 3, v[9:10]
	v_add_nc_u32_e32 v9, -6, v7
	v_lshlrev_b64 v[64:65], 3, v[9:10]
	v_add_nc_u32_e32 v9, 8, v58
	global_load_dwordx4 v[58:61], v[59:60], off
	v_add_co_u32 v62, s1, s12, v62
	v_add_co_ci_u32_e64 v63, null, s13, v63, s1
	v_lshlrev_b64 v[66:67], 3, v[9:10]
	v_add_co_u32 v68, s1, s12, v64
	v_add_co_ci_u32_e64 v69, null, s13, v65, s1
	global_load_dwordx4 v[62:65], v[62:63], off
	v_add_nc_u32_e32 v9, -4, v7
	v_add_co_u32 v76, s1, s14, v66
	v_add_co_ci_u32_e64 v77, null, s15, v67, s1
	v_lshlrev_b64 v[70:71], 3, v[9:10]
	global_load_dwordx4 v[66:69], v[68:69], off
	v_add_nc_u32_e32 v9, -2, v7
	v_add_nc_u32_e32 v7, 0x180, v7
	v_lshlrev_b64 v[8:9], 3, v[9:10]
	s_waitcnt vmcnt(10)
	v_fmac_f32_e32 v17, v22, v26
	v_fmac_f32_e32 v13, v23, v26
	;; [unrolled: 1-line block ×4, first 2 shown]
	v_fma_f32 v12, -v23, v27, v17
	v_fmac_f32_e32 v13, v22, v27
	v_fma_f32 v26, -v25, v27, v16
	v_fmac_f32_e32 v14, v24, v27
	global_load_dwordx4 v[22:25], v[76:77], off
	v_add_co_u32 v16, s1, s12, v70
	v_add_co_ci_u32_e64 v17, null, s13, v71, s1
	v_add_co_u32 v8, s1, s12, v8
	v_fmac_f32_e32 v12, v18, v28
	global_load_dwordx4 v[70:73], v[16:17], off
	v_fmac_f32_e32 v13, v19, v28
	v_fmac_f32_e32 v26, v20, v28
	;; [unrolled: 1-line block ×3, first 2 shown]
	v_add_co_ci_u32_e64 v9, null, s13, v9, s1
	v_fma_f32 v12, -v19, v29, v12
	v_fmac_f32_e32 v13, v18, v29
	v_fma_f32 v21, -v21, v29, v26
	v_fmac_f32_e32 v14, v20, v29
	global_load_dwordx4 v[16:19], v[76:77], off offset:16
	global_load_dwordx4 v[26:29], v[8:9], off
	v_add_co_ci_u32_e64 v76, null, s13, v74, vcc_lo
	s_waitcnt vmcnt(10)
	v_fmac_f32_e32 v12, v34, v42
	v_fmac_f32_e32 v13, v35, v42
	;; [unrolled: 1-line block ×3, first 2 shown]
	global_load_dwordx4 v[74:77], v[75:76], off
	v_fmac_f32_e32 v14, v37, v42
	v_fma_f32 v8, -v35, v43, v12
	v_fmac_f32_e32 v13, v34, v43
	v_fma_f32 v9, -v37, v43, v21
	v_cmp_ge_i32_e32 vcc_lo, v11, v15
	v_fmac_f32_e32 v14, v36, v43
	v_fmac_f32_e32 v8, v30, v44
	;; [unrolled: 1-line block ×4, first 2 shown]
	s_or_b32 s6, vcc_lo, s6
	v_fmac_f32_e32 v14, v33, v44
	v_fma_f32 v8, -v31, v45, v8
	v_fmac_f32_e32 v13, v30, v45
	v_fma_f32 v9, -v33, v45, v9
	v_fmac_f32_e32 v14, v32, v45
	s_waitcnt vmcnt(9)
	v_fmac_f32_e32 v8, v38, v50
	v_fmac_f32_e32 v13, v39, v50
	v_fmac_f32_e32 v9, v40, v50
	v_fmac_f32_e32 v14, v41, v50
	v_fma_f32 v8, -v39, v51, v8
	v_fmac_f32_e32 v13, v38, v51
	v_fma_f32 v9, -v41, v51, v9
	v_fmac_f32_e32 v14, v40, v51
	s_waitcnt vmcnt(8)
	v_fmac_f32_e32 v8, v54, v52
	v_fmac_f32_e32 v13, v55, v52
	v_fmac_f32_e32 v9, v56, v52
	;; [unrolled: 9-line block ×8, first 2 shown]
	v_fmac_f32_e32 v14, v77, v18
	v_fma_f32 v17, -v75, v19, v8
	v_fmac_f32_e32 v13, v74, v19
	v_fma_f32 v16, -v77, v19, v9
	v_fmac_f32_e32 v14, v76, v19
	s_andn2_b32 exec_lo, exec_lo, s6
	s_cbranch_execnz .LBB204_7
; %bb.8:
	s_or_b32 exec_lo, exec_lo, s6
.LBB204_9:
	s_or_b32 exec_lo, exec_lo, s3
	s_cbranch_execz .LBB204_11
	s_branch .LBB204_16
.LBB204_10:
                                        ; implicit-def: $vgpr13
                                        ; implicit-def: $vgpr17
                                        ; implicit-def: $vgpr16
                                        ; implicit-def: $vgpr14
.LBB204_11:
	v_mov_b32_e32 v13, 0
	v_mov_b32_e32 v17, 0
	;; [unrolled: 1-line block ×4, first 2 shown]
	s_and_saveexec_b32 s1, s0
	s_cbranch_execz .LBB204_15
; %bb.12:
	v_mad_u64_u32 v[8:9], null, v6, 24, 23
	v_mov_b32_e32 v11, 0
	v_mov_b32_e32 v13, 0
	;; [unrolled: 1-line block ×5, first 2 shown]
	s_mov_b32 s0, 0
.LBB204_13:                             ; =>This Inner Loop Header: Depth=1
	v_ashrrev_i32_e32 v7, 31, v6
	v_subrev_nc_u32_e32 v10, 23, v8
	v_add_nc_u32_e32 v18, -11, v8
	v_mov_b32_e32 v19, v11
	v_mov_b32_e32 v9, v11
	v_lshlrev_b64 v[22:23], 2, v[6:7]
	v_lshlrev_b64 v[20:21], 3, v[10:11]
	v_add_nc_u32_e32 v10, -10, v8
	v_lshlrev_b64 v[18:19], 3, v[18:19]
	v_lshlrev_b64 v[24:25], 3, v[8:9]
	v_mov_b32_e32 v39, v11
	v_add_co_u32 v22, vcc_lo, s10, v22
	v_add_co_ci_u32_e64 v23, null, s11, v23, vcc_lo
	v_add_co_u32 v30, vcc_lo, s12, v20
	v_add_co_ci_u32_e64 v31, null, s13, v21, vcc_lo
	;; [unrolled: 2-line block ×4, first 2 shown]
	global_load_dword v7, v[22:23], off
	s_clause 0x1
	global_load_dwordx4 v[18:21], v[30:31], off offset:48
	global_load_dwordx4 v[22:25], v[30:31], off offset:32
	v_lshlrev_b64 v[26:27], 3, v[10:11]
	v_add_nc_u32_e32 v10, -9, v8
	v_add_nc_u32_e32 v6, 16, v6
	v_lshlrev_b64 v[36:37], 3, v[10:11]
	v_add_nc_u32_e32 v10, -8, v8
	v_add_co_u32 v40, vcc_lo, s12, v26
	v_add_co_ci_u32_e64 v41, null, s13, v27, vcc_lo
	v_lshlrev_b64 v[9:10], 3, v[10:11]
	s_clause 0x2
	global_load_dwordx4 v[26:29], v[30:31], off offset:16
	global_load_dwordx4 v[30:33], v[30:31], off
	global_load_dwordx2 v[44:45], v[34:35], off
	v_add_co_u32 v34, vcc_lo, s12, v36
	v_add_co_ci_u32_e64 v35, null, s13, v37, vcc_lo
	v_add_co_u32 v9, vcc_lo, s12, v9
	v_add_co_ci_u32_e64 v10, null, s13, v10, vcc_lo
	s_clause 0x2
	global_load_dwordx2 v[46:47], v[40:41], off
	global_load_dwordx2 v[48:49], v[34:35], off
	;; [unrolled: 1-line block ×3, first 2 shown]
	s_waitcnt vmcnt(8)
	v_subrev_nc_u32_e32 v7, s2, v7
	v_mul_lo_u32 v38, v7, 12
	v_lshlrev_b64 v[34:35], 3, v[38:39]
	v_add_nc_u32_e32 v10, 4, v38
	v_add_co_u32 v52, vcc_lo, s14, v34
	v_add_co_ci_u32_e64 v53, null, s15, v35, vcc_lo
	v_lshlrev_b64 v[39:40], 3, v[10:11]
	v_add_nc_u32_e32 v10, -7, v8
	global_load_dwordx4 v[34:37], v[52:53], off
	v_lshlrev_b64 v[54:55], 3, v[10:11]
	v_add_nc_u32_e32 v10, -6, v8
	v_add_co_u32 v56, vcc_lo, s14, v39
	v_add_co_ci_u32_e64 v57, null, s15, v40, vcc_lo
	v_lshlrev_b64 v[39:40], 3, v[10:11]
	v_add_nc_u32_e32 v10, -5, v8
	v_add_co_u32 v54, vcc_lo, s12, v54
	v_add_co_ci_u32_e64 v55, null, s13, v55, vcc_lo
	;; [unrolled: 4-line block ×4, first 2 shown]
	v_add_co_u32 v64, vcc_lo, s12, v39
	v_lshlrev_b64 v[62:63], 3, v[10:11]
	v_add_nc_u32_e32 v10, 8, v38
	v_add_co_ci_u32_e64 v65, null, s13, v40, vcc_lo
	global_load_dwordx4 v[38:41], v[52:53], off offset:16
	v_lshlrev_b64 v[9:10], 3, v[10:11]
	v_add_co_u32 v62, vcc_lo, s12, v62
	v_add_co_ci_u32_e64 v63, null, s13, v63, vcc_lo
	v_add_co_u32 v66, vcc_lo, s14, v9
	v_add_co_ci_u32_e64 v67, null, s15, v10, vcc_lo
	v_add_nc_u32_e32 v10, -3, v8
	s_waitcnt vmcnt(1)
	v_fmac_f32_e32 v17, v30, v34
	v_fmac_f32_e32 v16, v44, v34
	;; [unrolled: 1-line block ×4, first 2 shown]
	v_fma_f32 v7, -v31, v35, v17
	v_fma_f32 v9, -v45, v35, v16
	v_lshlrev_b64 v[16:17], 3, v[10:11]
	v_add_nc_u32_e32 v10, -14, v8
	v_fmac_f32_e32 v13, v30, v35
	v_fmac_f32_e32 v14, v44, v35
	;; [unrolled: 1-line block ×4, first 2 shown]
	v_lshlrev_b64 v[34:35], 3, v[10:11]
	v_fmac_f32_e32 v13, v33, v36
	v_fmac_f32_e32 v14, v47, v36
	v_add_co_u32 v16, vcc_lo, s12, v16
	v_add_co_ci_u32_e64 v17, null, s13, v17, vcc_lo
	v_add_co_u32 v44, vcc_lo, s12, v34
	v_fma_f32 v7, -v33, v37, v7
	v_fmac_f32_e32 v13, v32, v37
	global_load_dwordx4 v[30:33], v[56:57], off offset:16
	v_fma_f32 v12, -v47, v37, v9
	v_fmac_f32_e32 v14, v46, v37
	v_add_co_ci_u32_e64 v45, null, s13, v35, vcc_lo
	global_load_dwordx4 v[34:37], v[56:57], off
	s_clause 0x4
	global_load_dwordx2 v[52:53], v[54:55], off
	global_load_dwordx2 v[54:55], v[60:61], off
	;; [unrolled: 1-line block ×5, first 2 shown]
	v_add_nc_u32_e32 v10, -2, v8
	s_clause 0x1
	global_load_dwordx2 v[16:17], v[16:17], off
	global_load_dwordx2 v[44:45], v[44:45], off
	s_waitcnt vmcnt(9)
	v_fmac_f32_e32 v7, v26, v38
	v_fmac_f32_e32 v13, v27, v38
	v_lshlrev_b64 v[9:10], 3, v[10:11]
	v_fmac_f32_e32 v12, v48, v38
	v_fmac_f32_e32 v14, v49, v38
	v_fma_f32 v7, -v27, v39, v7
	v_fmac_f32_e32 v13, v26, v39
	v_add_co_u32 v46, vcc_lo, s12, v9
	v_fmac_f32_e32 v7, v28, v40
	v_fmac_f32_e32 v13, v29, v40
	v_add_co_ci_u32_e64 v47, null, s13, v10, vcc_lo
	v_add_nc_u32_e32 v10, -13, v8
	v_fma_f32 v9, -v49, v39, v12
	v_fmac_f32_e32 v14, v48, v39
	v_fma_f32 v7, -v29, v41, v7
	v_fmac_f32_e32 v13, v28, v41
	global_load_dwordx4 v[26:29], v[66:67], off
	v_lshlrev_b64 v[38:39], 3, v[10:11]
	v_add_nc_u32_e32 v10, -1, v8
	v_fmac_f32_e32 v9, v50, v40
	v_fmac_f32_e32 v14, v51, v40
	global_load_dwordx2 v[46:47], v[46:47], off
	v_add_co_u32 v48, vcc_lo, s12, v38
	v_fma_f32 v12, -v51, v41, v9
	v_fmac_f32_e32 v14, v50, v41
	v_lshlrev_b64 v[40:41], 3, v[10:11]
	v_add_nc_u32_e32 v10, -12, v8
	v_add_co_ci_u32_e64 v49, null, s13, v39, vcc_lo
	v_add_nc_u32_e32 v8, 0x180, v8
	v_lshlrev_b64 v[9:10], 3, v[10:11]
	v_add_co_u32 v50, vcc_lo, s12, v40
	v_add_co_ci_u32_e64 v51, null, s13, v41, vcc_lo
	v_add_co_u32 v9, vcc_lo, s12, v9
	v_add_co_ci_u32_e64 v10, null, s13, v10, vcc_lo
	global_load_dwordx4 v[38:41], v[66:67], off offset:16
	s_clause 0x3
	global_load_dwordx2 v[48:49], v[48:49], off
	global_load_dwordx2 v[50:51], v[50:51], off
	;; [unrolled: 1-line block ×4, first 2 shown]
	v_cmp_ge_i32_e32 vcc_lo, v6, v15
	s_or_b32 s0, vcc_lo, s0
	s_waitcnt vmcnt(14)
	v_fmac_f32_e32 v7, v22, v34
	v_fmac_f32_e32 v13, v23, v34
	s_waitcnt vmcnt(13)
	v_fmac_f32_e32 v12, v52, v34
	v_fmac_f32_e32 v14, v53, v34
	v_fma_f32 v7, -v23, v35, v7
	v_fmac_f32_e32 v13, v22, v35
	v_fma_f32 v12, -v53, v35, v12
	v_fmac_f32_e32 v14, v52, v35
	v_fmac_f32_e32 v7, v24, v36
	v_fmac_f32_e32 v13, v25, v36
	s_waitcnt vmcnt(12)
	v_fmac_f32_e32 v12, v54, v36
	v_fmac_f32_e32 v14, v55, v36
	v_fma_f32 v7, -v25, v37, v7
	v_fmac_f32_e32 v13, v24, v37
	v_fma_f32 v12, -v55, v37, v12
	v_fmac_f32_e32 v14, v54, v37
	;; [unrolled: 9-line block ×4, first 2 shown]
	s_waitcnt vmcnt(6)
	v_fmac_f32_e32 v7, v60, v26
	v_fmac_f32_e32 v13, v61, v26
	;; [unrolled: 1-line block ×4, first 2 shown]
	v_fma_f32 v7, -v61, v27, v7
	v_fmac_f32_e32 v13, v60, v27
	v_fma_f32 v12, -v17, v27, v12
	v_fmac_f32_e32 v14, v16, v27
	v_fmac_f32_e32 v7, v44, v28
	;; [unrolled: 1-line block ×3, first 2 shown]
	s_waitcnt vmcnt(5)
	v_fmac_f32_e32 v12, v46, v28
	v_fmac_f32_e32 v14, v47, v28
	v_fma_f32 v7, -v45, v29, v7
	v_fmac_f32_e32 v13, v44, v29
	v_fma_f32 v12, -v47, v29, v12
	v_fmac_f32_e32 v14, v46, v29
	s_waitcnt vmcnt(3)
	v_fmac_f32_e32 v7, v48, v38
	v_fmac_f32_e32 v13, v49, v38
	s_waitcnt vmcnt(2)
	v_fmac_f32_e32 v12, v50, v38
	v_fmac_f32_e32 v14, v51, v38
	v_fma_f32 v7, -v49, v39, v7
	v_fmac_f32_e32 v13, v48, v39
	v_fma_f32 v12, -v51, v39, v12
	v_fmac_f32_e32 v14, v50, v39
	s_waitcnt vmcnt(1)
	v_fmac_f32_e32 v7, v9, v40
	v_fmac_f32_e32 v13, v10, v40
	s_waitcnt vmcnt(0)
	v_fmac_f32_e32 v12, v42, v40
	v_fmac_f32_e32 v14, v43, v40
	v_fma_f32 v17, -v10, v41, v7
	v_fmac_f32_e32 v13, v9, v41
	v_fma_f32 v16, -v43, v41, v12
	v_fmac_f32_e32 v14, v42, v41
	s_andn2_b32 exec_lo, exec_lo, s0
	s_cbranch_execnz .LBB204_13
; %bb.14:
	s_or_b32 exec_lo, exec_lo, s0
.LBB204_15:
	s_or_b32 exec_lo, exec_lo, s1
.LBB204_16:
	v_mbcnt_lo_u32_b32 v6, -1, 0
	v_xor_b32_e32 v7, 8, v6
	v_xor_b32_e32 v11, 4, v6
	;; [unrolled: 1-line block ×3, first 2 shown]
	v_cmp_gt_i32_e32 vcc_lo, 32, v7
	v_cndmask_b32_e32 v7, v6, v7, vcc_lo
	v_cmp_gt_i32_e32 vcc_lo, 32, v11
	v_lshlrev_b32_e32 v7, 2, v7
	v_cndmask_b32_e32 v11, v6, v11, vcc_lo
	v_cmp_gt_i32_e32 vcc_lo, 32, v15
	ds_bpermute_b32 v8, v7, v17
	ds_bpermute_b32 v9, v7, v13
	ds_bpermute_b32 v10, v7, v16
	ds_bpermute_b32 v7, v7, v14
	v_lshlrev_b32_e32 v11, 2, v11
	v_cndmask_b32_e32 v15, v6, v15, vcc_lo
	v_lshlrev_b32_e32 v15, 2, v15
	s_waitcnt lgkmcnt(3)
	v_add_f32_e32 v8, v17, v8
	s_waitcnt lgkmcnt(2)
	v_add_f32_e32 v9, v13, v9
	s_waitcnt lgkmcnt(1)
	v_add_f32_e32 v10, v16, v10
	s_waitcnt lgkmcnt(0)
	v_add_f32_e32 v7, v14, v7
	ds_bpermute_b32 v12, v11, v8
	ds_bpermute_b32 v13, v11, v9
	;; [unrolled: 1-line block ×4, first 2 shown]
	s_waitcnt lgkmcnt(3)
	v_add_f32_e32 v8, v8, v12
	s_waitcnt lgkmcnt(2)
	v_add_f32_e32 v9, v9, v13
	s_waitcnt lgkmcnt(1)
	v_add_f32_e32 v10, v10, v14
	s_waitcnt lgkmcnt(0)
	v_add_f32_e32 v7, v7, v11
	ds_bpermute_b32 v11, v15, v8
	ds_bpermute_b32 v12, v15, v9
	;; [unrolled: 1-line block ×4, first 2 shown]
	v_xor_b32_e32 v15, 1, v6
	v_cmp_gt_i32_e32 vcc_lo, 32, v15
	v_cndmask_b32_e32 v6, v6, v15, vcc_lo
	v_cmp_eq_u32_e32 vcc_lo, 15, v0
	v_lshlrev_b32_e32 v15, 2, v6
	s_waitcnt lgkmcnt(3)
	v_add_f32_e32 v8, v8, v11
	s_waitcnt lgkmcnt(2)
	v_add_f32_e32 v9, v9, v12
	;; [unrolled: 2-line block ×4, first 2 shown]
	ds_bpermute_b32 v12, v15, v8
	ds_bpermute_b32 v13, v15, v9
	;; [unrolled: 1-line block ×4, first 2 shown]
	s_and_b32 exec_lo, exec_lo, vcc_lo
	s_cbranch_execz .LBB204_21
; %bb.17:
	s_load_dwordx2 s[2:3], s[4:5], 0x38
	v_cmp_eq_f32_e32 vcc_lo, 0, v3
	v_cmp_eq_f32_e64 s0, 0, v4
	s_waitcnt lgkmcnt(0)
	v_add_f32_e32 v0, v8, v12
	v_add_f32_e32 v8, v9, v13
	v_add_f32_e32 v6, v6, v10
	v_add_f32_e32 v7, v7, v11
	s_and_b32 s0, vcc_lo, s0
	s_and_saveexec_b32 s1, s0
	s_xor_b32 s0, exec_lo, s1
	s_cbranch_execz .LBB204_19
; %bb.18:
	v_lshlrev_b32_e32 v3, 1, v5
	v_mul_f32_e64 v9, v8, -v2
	v_mul_f32_e32 v10, v1, v8
	v_mul_f32_e64 v11, v7, -v2
	v_mul_f32_e32 v12, v1, v7
	v_ashrrev_i32_e32 v4, 31, v3
	v_fmac_f32_e32 v9, v1, v0
	v_fmac_f32_e32 v10, v2, v0
	;; [unrolled: 1-line block ×4, first 2 shown]
	v_lshlrev_b64 v[3:4], 3, v[3:4]
                                        ; implicit-def: $vgpr5
                                        ; implicit-def: $vgpr8
                                        ; implicit-def: $vgpr7
                                        ; implicit-def: $vgpr6
	v_add_co_u32 v0, vcc_lo, s2, v3
	v_add_co_ci_u32_e64 v1, null, s3, v4, vcc_lo
                                        ; implicit-def: $vgpr3_vgpr4
	global_store_dwordx4 v[0:1], v[9:12], off
                                        ; implicit-def: $vgpr1_vgpr2
                                        ; implicit-def: $vgpr0
.LBB204_19:
	s_andn2_saveexec_b32 s0, s0
	s_cbranch_execz .LBB204_21
; %bb.20:
	v_lshlrev_b32_e32 v9, 1, v5
	v_mul_f32_e64 v5, v8, -v2
	v_mul_f32_e32 v14, v1, v8
	v_mul_f32_e64 v8, v7, -v2
	v_mul_f32_e32 v16, v1, v7
	v_ashrrev_i32_e32 v10, 31, v9
	v_fmac_f32_e32 v5, v1, v0
	v_fmac_f32_e32 v14, v2, v0
	v_fmac_f32_e32 v8, v1, v6
	v_fmac_f32_e32 v16, v2, v6
	v_lshlrev_b64 v[9:10], 3, v[9:10]
	v_add_co_u32 v17, vcc_lo, s2, v9
	v_add_co_ci_u32_e64 v18, null, s3, v10, vcc_lo
	global_load_dwordx4 v[9:12], v[17:18], off
	s_waitcnt vmcnt(0)
	v_fmac_f32_e32 v5, v3, v9
	v_fmac_f32_e32 v14, v4, v9
	;; [unrolled: 1-line block ×4, first 2 shown]
	v_fma_f32 v13, -v4, v10, v5
	v_fmac_f32_e32 v14, v3, v10
	v_fma_f32 v15, -v4, v12, v8
	v_fmac_f32_e32 v16, v3, v12
	global_store_dwordx4 v[17:18], v[13:16], off
.LBB204_21:
	s_endpgm
	.section	.rodata,"a",@progbits
	.p2align	6, 0x0
	.amdhsa_kernel _ZN9rocsparseL19gebsrmvn_2xn_kernelILj128ELj12ELj16E21rocsparse_complex_numIfEEEvi20rocsparse_direction_NS_24const_host_device_scalarIT2_EEPKiS8_PKS5_SA_S6_PS5_21rocsparse_index_base_b
		.amdhsa_group_segment_fixed_size 0
		.amdhsa_private_segment_fixed_size 0
		.amdhsa_kernarg_size 72
		.amdhsa_user_sgpr_count 6
		.amdhsa_user_sgpr_private_segment_buffer 1
		.amdhsa_user_sgpr_dispatch_ptr 0
		.amdhsa_user_sgpr_queue_ptr 0
		.amdhsa_user_sgpr_kernarg_segment_ptr 1
		.amdhsa_user_sgpr_dispatch_id 0
		.amdhsa_user_sgpr_flat_scratch_init 0
		.amdhsa_user_sgpr_private_segment_size 0
		.amdhsa_wavefront_size32 1
		.amdhsa_uses_dynamic_stack 0
		.amdhsa_system_sgpr_private_segment_wavefront_offset 0
		.amdhsa_system_sgpr_workgroup_id_x 1
		.amdhsa_system_sgpr_workgroup_id_y 0
		.amdhsa_system_sgpr_workgroup_id_z 0
		.amdhsa_system_sgpr_workgroup_info 0
		.amdhsa_system_vgpr_workitem_id 0
		.amdhsa_next_free_vgpr 78
		.amdhsa_next_free_sgpr 16
		.amdhsa_reserve_vcc 1
		.amdhsa_reserve_flat_scratch 0
		.amdhsa_float_round_mode_32 0
		.amdhsa_float_round_mode_16_64 0
		.amdhsa_float_denorm_mode_32 3
		.amdhsa_float_denorm_mode_16_64 3
		.amdhsa_dx10_clamp 1
		.amdhsa_ieee_mode 1
		.amdhsa_fp16_overflow 0
		.amdhsa_workgroup_processor_mode 1
		.amdhsa_memory_ordered 1
		.amdhsa_forward_progress 1
		.amdhsa_shared_vgpr_count 0
		.amdhsa_exception_fp_ieee_invalid_op 0
		.amdhsa_exception_fp_denorm_src 0
		.amdhsa_exception_fp_ieee_div_zero 0
		.amdhsa_exception_fp_ieee_overflow 0
		.amdhsa_exception_fp_ieee_underflow 0
		.amdhsa_exception_fp_ieee_inexact 0
		.amdhsa_exception_int_div_zero 0
	.end_amdhsa_kernel
	.section	.text._ZN9rocsparseL19gebsrmvn_2xn_kernelILj128ELj12ELj16E21rocsparse_complex_numIfEEEvi20rocsparse_direction_NS_24const_host_device_scalarIT2_EEPKiS8_PKS5_SA_S6_PS5_21rocsparse_index_base_b,"axG",@progbits,_ZN9rocsparseL19gebsrmvn_2xn_kernelILj128ELj12ELj16E21rocsparse_complex_numIfEEEvi20rocsparse_direction_NS_24const_host_device_scalarIT2_EEPKiS8_PKS5_SA_S6_PS5_21rocsparse_index_base_b,comdat
.Lfunc_end204:
	.size	_ZN9rocsparseL19gebsrmvn_2xn_kernelILj128ELj12ELj16E21rocsparse_complex_numIfEEEvi20rocsparse_direction_NS_24const_host_device_scalarIT2_EEPKiS8_PKS5_SA_S6_PS5_21rocsparse_index_base_b, .Lfunc_end204-_ZN9rocsparseL19gebsrmvn_2xn_kernelILj128ELj12ELj16E21rocsparse_complex_numIfEEEvi20rocsparse_direction_NS_24const_host_device_scalarIT2_EEPKiS8_PKS5_SA_S6_PS5_21rocsparse_index_base_b
                                        ; -- End function
	.set _ZN9rocsparseL19gebsrmvn_2xn_kernelILj128ELj12ELj16E21rocsparse_complex_numIfEEEvi20rocsparse_direction_NS_24const_host_device_scalarIT2_EEPKiS8_PKS5_SA_S6_PS5_21rocsparse_index_base_b.num_vgpr, 78
	.set _ZN9rocsparseL19gebsrmvn_2xn_kernelILj128ELj12ELj16E21rocsparse_complex_numIfEEEvi20rocsparse_direction_NS_24const_host_device_scalarIT2_EEPKiS8_PKS5_SA_S6_PS5_21rocsparse_index_base_b.num_agpr, 0
	.set _ZN9rocsparseL19gebsrmvn_2xn_kernelILj128ELj12ELj16E21rocsparse_complex_numIfEEEvi20rocsparse_direction_NS_24const_host_device_scalarIT2_EEPKiS8_PKS5_SA_S6_PS5_21rocsparse_index_base_b.numbered_sgpr, 16
	.set _ZN9rocsparseL19gebsrmvn_2xn_kernelILj128ELj12ELj16E21rocsparse_complex_numIfEEEvi20rocsparse_direction_NS_24const_host_device_scalarIT2_EEPKiS8_PKS5_SA_S6_PS5_21rocsparse_index_base_b.num_named_barrier, 0
	.set _ZN9rocsparseL19gebsrmvn_2xn_kernelILj128ELj12ELj16E21rocsparse_complex_numIfEEEvi20rocsparse_direction_NS_24const_host_device_scalarIT2_EEPKiS8_PKS5_SA_S6_PS5_21rocsparse_index_base_b.private_seg_size, 0
	.set _ZN9rocsparseL19gebsrmvn_2xn_kernelILj128ELj12ELj16E21rocsparse_complex_numIfEEEvi20rocsparse_direction_NS_24const_host_device_scalarIT2_EEPKiS8_PKS5_SA_S6_PS5_21rocsparse_index_base_b.uses_vcc, 1
	.set _ZN9rocsparseL19gebsrmvn_2xn_kernelILj128ELj12ELj16E21rocsparse_complex_numIfEEEvi20rocsparse_direction_NS_24const_host_device_scalarIT2_EEPKiS8_PKS5_SA_S6_PS5_21rocsparse_index_base_b.uses_flat_scratch, 0
	.set _ZN9rocsparseL19gebsrmvn_2xn_kernelILj128ELj12ELj16E21rocsparse_complex_numIfEEEvi20rocsparse_direction_NS_24const_host_device_scalarIT2_EEPKiS8_PKS5_SA_S6_PS5_21rocsparse_index_base_b.has_dyn_sized_stack, 0
	.set _ZN9rocsparseL19gebsrmvn_2xn_kernelILj128ELj12ELj16E21rocsparse_complex_numIfEEEvi20rocsparse_direction_NS_24const_host_device_scalarIT2_EEPKiS8_PKS5_SA_S6_PS5_21rocsparse_index_base_b.has_recursion, 0
	.set _ZN9rocsparseL19gebsrmvn_2xn_kernelILj128ELj12ELj16E21rocsparse_complex_numIfEEEvi20rocsparse_direction_NS_24const_host_device_scalarIT2_EEPKiS8_PKS5_SA_S6_PS5_21rocsparse_index_base_b.has_indirect_call, 0
	.section	.AMDGPU.csdata,"",@progbits
; Kernel info:
; codeLenInByte = 3516
; TotalNumSgprs: 18
; NumVgprs: 78
; ScratchSize: 0
; MemoryBound: 0
; FloatMode: 240
; IeeeMode: 1
; LDSByteSize: 0 bytes/workgroup (compile time only)
; SGPRBlocks: 0
; VGPRBlocks: 9
; NumSGPRsForWavesPerEU: 18
; NumVGPRsForWavesPerEU: 78
; Occupancy: 12
; WaveLimiterHint : 1
; COMPUTE_PGM_RSRC2:SCRATCH_EN: 0
; COMPUTE_PGM_RSRC2:USER_SGPR: 6
; COMPUTE_PGM_RSRC2:TRAP_HANDLER: 0
; COMPUTE_PGM_RSRC2:TGID_X_EN: 1
; COMPUTE_PGM_RSRC2:TGID_Y_EN: 0
; COMPUTE_PGM_RSRC2:TGID_Z_EN: 0
; COMPUTE_PGM_RSRC2:TIDIG_COMP_CNT: 0
	.section	.text._ZN9rocsparseL19gebsrmvn_2xn_kernelILj128ELj12ELj32E21rocsparse_complex_numIfEEEvi20rocsparse_direction_NS_24const_host_device_scalarIT2_EEPKiS8_PKS5_SA_S6_PS5_21rocsparse_index_base_b,"axG",@progbits,_ZN9rocsparseL19gebsrmvn_2xn_kernelILj128ELj12ELj32E21rocsparse_complex_numIfEEEvi20rocsparse_direction_NS_24const_host_device_scalarIT2_EEPKiS8_PKS5_SA_S6_PS5_21rocsparse_index_base_b,comdat
	.globl	_ZN9rocsparseL19gebsrmvn_2xn_kernelILj128ELj12ELj32E21rocsparse_complex_numIfEEEvi20rocsparse_direction_NS_24const_host_device_scalarIT2_EEPKiS8_PKS5_SA_S6_PS5_21rocsparse_index_base_b ; -- Begin function _ZN9rocsparseL19gebsrmvn_2xn_kernelILj128ELj12ELj32E21rocsparse_complex_numIfEEEvi20rocsparse_direction_NS_24const_host_device_scalarIT2_EEPKiS8_PKS5_SA_S6_PS5_21rocsparse_index_base_b
	.p2align	8
	.type	_ZN9rocsparseL19gebsrmvn_2xn_kernelILj128ELj12ELj32E21rocsparse_complex_numIfEEEvi20rocsparse_direction_NS_24const_host_device_scalarIT2_EEPKiS8_PKS5_SA_S6_PS5_21rocsparse_index_base_b,@function
_ZN9rocsparseL19gebsrmvn_2xn_kernelILj128ELj12ELj32E21rocsparse_complex_numIfEEEvi20rocsparse_direction_NS_24const_host_device_scalarIT2_EEPKiS8_PKS5_SA_S6_PS5_21rocsparse_index_base_b: ; @_ZN9rocsparseL19gebsrmvn_2xn_kernelILj128ELj12ELj32E21rocsparse_complex_numIfEEEvi20rocsparse_direction_NS_24const_host_device_scalarIT2_EEPKiS8_PKS5_SA_S6_PS5_21rocsparse_index_base_b
; %bb.0:
	s_clause 0x2
	s_load_dwordx2 s[2:3], s[4:5], 0x40
	s_load_dwordx2 s[0:1], s[4:5], 0x8
	;; [unrolled: 1-line block ×3, first 2 shown]
	s_add_u32 s7, s4, 8
	s_addc_u32 s10, s5, 0
	s_add_u32 s11, s4, 48
	s_addc_u32 s12, s5, 0
	s_waitcnt lgkmcnt(0)
	s_bitcmp1_b32 s3, 0
	s_cselect_b32 s0, s7, s0
	s_cselect_b32 s1, s10, s1
	v_mov_b32_e32 v1, s0
	v_mov_b32_e32 v2, s1
	s_cselect_b32 s0, s11, s8
	s_cselect_b32 s1, s12, s9
	v_mov_b32_e32 v3, s0
	v_mov_b32_e32 v4, s1
	flat_load_dwordx2 v[1:2], v[1:2]
	flat_load_dwordx2 v[3:4], v[3:4]
	s_waitcnt vmcnt(1) lgkmcnt(1)
	v_cmp_eq_f32_e32 vcc_lo, 0, v1
	v_cmp_eq_f32_e64 s0, 0, v2
	s_and_b32 s3, vcc_lo, s0
	s_mov_b32 s0, -1
	s_and_saveexec_b32 s1, s3
	s_cbranch_execz .LBB205_2
; %bb.1:
	s_waitcnt vmcnt(0) lgkmcnt(0)
	v_cmp_neq_f32_e32 vcc_lo, 1.0, v3
	v_cmp_neq_f32_e64 s0, 0, v4
	s_or_b32 s0, vcc_lo, s0
	s_orn2_b32 s0, s0, exec_lo
.LBB205_2:
	s_or_b32 exec_lo, exec_lo, s1
	s_and_saveexec_b32 s1, s0
	s_cbranch_execz .LBB205_21
; %bb.3:
	s_load_dwordx2 s[0:1], s[4:5], 0x0
	v_lshrrev_b32_e32 v5, 5, v0
	v_lshl_or_b32 v5, s6, 2, v5
	s_waitcnt lgkmcnt(0)
	v_cmp_gt_i32_e32 vcc_lo, s0, v5
	s_and_b32 exec_lo, exec_lo, vcc_lo
	s_cbranch_execz .LBB205_21
; %bb.4:
	s_load_dwordx8 s[8:15], s[4:5], 0x10
	v_ashrrev_i32_e32 v6, 31, v5
	v_and_b32_e32 v0, 31, v0
	s_cmp_lg_u32 s1, 0
	v_lshlrev_b64 v[6:7], 2, v[5:6]
	s_waitcnt lgkmcnt(0)
	v_add_co_u32 v6, vcc_lo, s8, v6
	v_add_co_ci_u32_e64 v7, null, s9, v7, vcc_lo
	global_load_dwordx2 v[6:7], v[6:7], off
	s_waitcnt vmcnt(0)
	v_subrev_nc_u32_e32 v6, s2, v6
	v_subrev_nc_u32_e32 v15, s2, v7
	v_add_nc_u32_e32 v6, v6, v0
	v_cmp_lt_i32_e64 s0, v6, v15
	s_cbranch_scc0 .LBB205_10
; %bb.5:
	v_mov_b32_e32 v13, 0
	v_mov_b32_e32 v17, 0
	v_mov_b32_e32 v16, 0
	v_mov_b32_e32 v14, 0
	s_and_saveexec_b32 s3, s0
	s_cbranch_execz .LBB205_9
; %bb.6:
	v_mad_u64_u32 v[7:8], null, v6, 24, 22
	v_mov_b32_e32 v10, 0
	v_mov_b32_e32 v11, v6
	;; [unrolled: 1-line block ×6, first 2 shown]
	s_mov_b32 s6, 0
.LBB205_7:                              ; =>This Inner Loop Header: Depth=1
	v_ashrrev_i32_e32 v12, 31, v11
	v_mov_b32_e32 v59, v10
	v_lshlrev_b64 v[8:9], 2, v[11:12]
	v_add_nc_u32_e32 v11, 32, v11
	v_add_co_u32 v8, vcc_lo, s10, v8
	v_add_co_ci_u32_e64 v9, null, s11, v9, vcc_lo
	global_load_dword v12, v[8:9], off
	v_subrev_nc_u32_e32 v9, 22, v7
	v_mov_b32_e32 v8, v10
	v_lshlrev_b64 v[18:19], 3, v[9:10]
	v_add_nc_u32_e32 v9, -14, v7
	v_lshlrev_b64 v[73:74], 3, v[7:8]
	v_lshlrev_b64 v[8:9], 3, v[9:10]
	v_add_co_u32 v34, vcc_lo, s12, v18
	v_add_co_ci_u32_e64 v35, null, s13, v19, vcc_lo
	v_add_co_u32 v75, vcc_lo, s12, v73
	s_clause 0x1
	global_load_dwordx4 v[18:21], v[34:35], off offset:16
	global_load_dwordx4 v[22:25], v[34:35], off
	s_waitcnt vmcnt(2)
	v_subrev_nc_u32_e32 v12, s2, v12
	v_mul_lo_u32 v58, v12, 12
	v_lshlrev_b64 v[26:27], 3, v[58:59]
	v_add_co_u32 v42, s1, s14, v26
	v_add_co_ci_u32_e64 v43, null, s15, v27, s1
	v_add_co_u32 v8, s1, s12, v8
	v_add_co_ci_u32_e64 v9, null, s13, v9, s1
	global_load_dwordx4 v[26:29], v[42:43], off
	s_clause 0x2
	global_load_dwordx4 v[30:33], v[34:35], off offset:48
	global_load_dwordx4 v[34:37], v[34:35], off offset:32
	global_load_dwordx4 v[38:41], v[8:9], off
	global_load_dwordx4 v[42:45], v[42:43], off offset:16
	v_add_nc_u32_e32 v9, 4, v58
	v_lshlrev_b64 v[46:47], 3, v[9:10]
	v_add_nc_u32_e32 v9, -12, v7
	v_add_co_u32 v50, s1, s14, v46
	v_add_co_ci_u32_e64 v51, null, s15, v47, s1
	v_lshlrev_b64 v[54:55], 3, v[9:10]
	v_add_nc_u32_e32 v9, -10, v7
	s_clause 0x1
	global_load_dwordx4 v[46:49], v[50:51], off offset:16
	global_load_dwordx4 v[50:53], v[50:51], off
	v_lshlrev_b64 v[56:57], 3, v[9:10]
	v_add_co_u32 v54, s1, s12, v54
	v_add_co_ci_u32_e64 v55, null, s13, v55, s1
	v_add_nc_u32_e32 v9, -8, v7
	v_add_co_u32 v59, s1, s12, v56
	v_add_co_ci_u32_e64 v60, null, s13, v57, s1
	global_load_dwordx4 v[54:57], v[54:55], off
	v_lshlrev_b64 v[62:63], 3, v[9:10]
	v_add_nc_u32_e32 v9, -6, v7
	v_lshlrev_b64 v[64:65], 3, v[9:10]
	v_add_nc_u32_e32 v9, 8, v58
	global_load_dwordx4 v[58:61], v[59:60], off
	v_add_co_u32 v62, s1, s12, v62
	v_add_co_ci_u32_e64 v63, null, s13, v63, s1
	v_lshlrev_b64 v[66:67], 3, v[9:10]
	v_add_co_u32 v68, s1, s12, v64
	v_add_co_ci_u32_e64 v69, null, s13, v65, s1
	global_load_dwordx4 v[62:65], v[62:63], off
	v_add_nc_u32_e32 v9, -4, v7
	v_add_co_u32 v76, s1, s14, v66
	v_add_co_ci_u32_e64 v77, null, s15, v67, s1
	v_lshlrev_b64 v[70:71], 3, v[9:10]
	global_load_dwordx4 v[66:69], v[68:69], off
	v_add_nc_u32_e32 v9, -2, v7
	v_add_nc_u32_e32 v7, 0x300, v7
	v_lshlrev_b64 v[8:9], 3, v[9:10]
	s_waitcnt vmcnt(10)
	v_fmac_f32_e32 v17, v22, v26
	v_fmac_f32_e32 v13, v23, v26
	;; [unrolled: 1-line block ×4, first 2 shown]
	v_fma_f32 v12, -v23, v27, v17
	v_fmac_f32_e32 v13, v22, v27
	v_fma_f32 v26, -v25, v27, v16
	v_fmac_f32_e32 v14, v24, v27
	global_load_dwordx4 v[22:25], v[76:77], off
	v_add_co_u32 v16, s1, s12, v70
	v_add_co_ci_u32_e64 v17, null, s13, v71, s1
	v_add_co_u32 v8, s1, s12, v8
	v_fmac_f32_e32 v12, v18, v28
	global_load_dwordx4 v[70:73], v[16:17], off
	v_fmac_f32_e32 v13, v19, v28
	v_fmac_f32_e32 v26, v20, v28
	;; [unrolled: 1-line block ×3, first 2 shown]
	v_add_co_ci_u32_e64 v9, null, s13, v9, s1
	v_fma_f32 v12, -v19, v29, v12
	v_fmac_f32_e32 v13, v18, v29
	v_fma_f32 v21, -v21, v29, v26
	v_fmac_f32_e32 v14, v20, v29
	global_load_dwordx4 v[16:19], v[76:77], off offset:16
	global_load_dwordx4 v[26:29], v[8:9], off
	v_add_co_ci_u32_e64 v76, null, s13, v74, vcc_lo
	s_waitcnt vmcnt(10)
	v_fmac_f32_e32 v12, v34, v42
	v_fmac_f32_e32 v13, v35, v42
	;; [unrolled: 1-line block ×3, first 2 shown]
	global_load_dwordx4 v[74:77], v[75:76], off
	v_fmac_f32_e32 v14, v37, v42
	v_fma_f32 v8, -v35, v43, v12
	v_fmac_f32_e32 v13, v34, v43
	v_fma_f32 v9, -v37, v43, v21
	v_cmp_ge_i32_e32 vcc_lo, v11, v15
	v_fmac_f32_e32 v14, v36, v43
	v_fmac_f32_e32 v8, v30, v44
	;; [unrolled: 1-line block ×4, first 2 shown]
	s_or_b32 s6, vcc_lo, s6
	v_fmac_f32_e32 v14, v33, v44
	v_fma_f32 v8, -v31, v45, v8
	v_fmac_f32_e32 v13, v30, v45
	v_fma_f32 v9, -v33, v45, v9
	v_fmac_f32_e32 v14, v32, v45
	s_waitcnt vmcnt(9)
	v_fmac_f32_e32 v8, v38, v50
	v_fmac_f32_e32 v13, v39, v50
	v_fmac_f32_e32 v9, v40, v50
	v_fmac_f32_e32 v14, v41, v50
	v_fma_f32 v8, -v39, v51, v8
	v_fmac_f32_e32 v13, v38, v51
	v_fma_f32 v9, -v41, v51, v9
	v_fmac_f32_e32 v14, v40, v51
	s_waitcnt vmcnt(8)
	v_fmac_f32_e32 v8, v54, v52
	v_fmac_f32_e32 v13, v55, v52
	v_fmac_f32_e32 v9, v56, v52
	;; [unrolled: 9-line block ×8, first 2 shown]
	v_fmac_f32_e32 v14, v77, v18
	v_fma_f32 v17, -v75, v19, v8
	v_fmac_f32_e32 v13, v74, v19
	v_fma_f32 v16, -v77, v19, v9
	v_fmac_f32_e32 v14, v76, v19
	s_andn2_b32 exec_lo, exec_lo, s6
	s_cbranch_execnz .LBB205_7
; %bb.8:
	s_or_b32 exec_lo, exec_lo, s6
.LBB205_9:
	s_or_b32 exec_lo, exec_lo, s3
	s_cbranch_execz .LBB205_11
	s_branch .LBB205_16
.LBB205_10:
                                        ; implicit-def: $vgpr13
                                        ; implicit-def: $vgpr17
                                        ; implicit-def: $vgpr16
                                        ; implicit-def: $vgpr14
.LBB205_11:
	v_mov_b32_e32 v13, 0
	v_mov_b32_e32 v17, 0
	v_mov_b32_e32 v16, 0
	v_mov_b32_e32 v14, 0
	s_and_saveexec_b32 s1, s0
	s_cbranch_execz .LBB205_15
; %bb.12:
	v_mad_u64_u32 v[8:9], null, v6, 24, 23
	v_mov_b32_e32 v11, 0
	v_mov_b32_e32 v13, 0
	;; [unrolled: 1-line block ×5, first 2 shown]
	s_mov_b32 s0, 0
.LBB205_13:                             ; =>This Inner Loop Header: Depth=1
	v_ashrrev_i32_e32 v7, 31, v6
	v_subrev_nc_u32_e32 v10, 23, v8
	v_add_nc_u32_e32 v18, -11, v8
	v_mov_b32_e32 v19, v11
	v_mov_b32_e32 v9, v11
	v_lshlrev_b64 v[22:23], 2, v[6:7]
	v_lshlrev_b64 v[20:21], 3, v[10:11]
	v_add_nc_u32_e32 v10, -10, v8
	v_lshlrev_b64 v[18:19], 3, v[18:19]
	v_lshlrev_b64 v[24:25], 3, v[8:9]
	v_mov_b32_e32 v39, v11
	v_add_co_u32 v22, vcc_lo, s10, v22
	v_add_co_ci_u32_e64 v23, null, s11, v23, vcc_lo
	v_add_co_u32 v30, vcc_lo, s12, v20
	v_add_co_ci_u32_e64 v31, null, s13, v21, vcc_lo
	;; [unrolled: 2-line block ×4, first 2 shown]
	global_load_dword v7, v[22:23], off
	s_clause 0x1
	global_load_dwordx4 v[18:21], v[30:31], off offset:48
	global_load_dwordx4 v[22:25], v[30:31], off offset:32
	v_lshlrev_b64 v[26:27], 3, v[10:11]
	v_add_nc_u32_e32 v10, -9, v8
	v_add_nc_u32_e32 v6, 32, v6
	v_lshlrev_b64 v[36:37], 3, v[10:11]
	v_add_nc_u32_e32 v10, -8, v8
	v_add_co_u32 v40, vcc_lo, s12, v26
	v_add_co_ci_u32_e64 v41, null, s13, v27, vcc_lo
	v_lshlrev_b64 v[9:10], 3, v[10:11]
	s_clause 0x2
	global_load_dwordx4 v[26:29], v[30:31], off offset:16
	global_load_dwordx4 v[30:33], v[30:31], off
	global_load_dwordx2 v[44:45], v[34:35], off
	v_add_co_u32 v34, vcc_lo, s12, v36
	v_add_co_ci_u32_e64 v35, null, s13, v37, vcc_lo
	v_add_co_u32 v9, vcc_lo, s12, v9
	v_add_co_ci_u32_e64 v10, null, s13, v10, vcc_lo
	s_clause 0x2
	global_load_dwordx2 v[46:47], v[40:41], off
	global_load_dwordx2 v[48:49], v[34:35], off
	global_load_dwordx2 v[50:51], v[9:10], off
	s_waitcnt vmcnt(8)
	v_subrev_nc_u32_e32 v7, s2, v7
	v_mul_lo_u32 v38, v7, 12
	v_lshlrev_b64 v[34:35], 3, v[38:39]
	v_add_nc_u32_e32 v10, 4, v38
	v_add_co_u32 v52, vcc_lo, s14, v34
	v_add_co_ci_u32_e64 v53, null, s15, v35, vcc_lo
	v_lshlrev_b64 v[39:40], 3, v[10:11]
	v_add_nc_u32_e32 v10, -7, v8
	global_load_dwordx4 v[34:37], v[52:53], off
	v_lshlrev_b64 v[54:55], 3, v[10:11]
	v_add_nc_u32_e32 v10, -6, v8
	v_add_co_u32 v56, vcc_lo, s14, v39
	v_add_co_ci_u32_e64 v57, null, s15, v40, vcc_lo
	v_lshlrev_b64 v[39:40], 3, v[10:11]
	v_add_nc_u32_e32 v10, -5, v8
	v_add_co_u32 v54, vcc_lo, s12, v54
	v_add_co_ci_u32_e64 v55, null, s13, v55, vcc_lo
	;; [unrolled: 4-line block ×4, first 2 shown]
	v_add_co_u32 v64, vcc_lo, s12, v39
	v_lshlrev_b64 v[62:63], 3, v[10:11]
	v_add_nc_u32_e32 v10, 8, v38
	v_add_co_ci_u32_e64 v65, null, s13, v40, vcc_lo
	global_load_dwordx4 v[38:41], v[52:53], off offset:16
	v_lshlrev_b64 v[9:10], 3, v[10:11]
	v_add_co_u32 v62, vcc_lo, s12, v62
	v_add_co_ci_u32_e64 v63, null, s13, v63, vcc_lo
	v_add_co_u32 v66, vcc_lo, s14, v9
	v_add_co_ci_u32_e64 v67, null, s15, v10, vcc_lo
	v_add_nc_u32_e32 v10, -3, v8
	s_waitcnt vmcnt(1)
	v_fmac_f32_e32 v17, v30, v34
	v_fmac_f32_e32 v16, v44, v34
	;; [unrolled: 1-line block ×4, first 2 shown]
	v_fma_f32 v7, -v31, v35, v17
	v_fma_f32 v9, -v45, v35, v16
	v_lshlrev_b64 v[16:17], 3, v[10:11]
	v_add_nc_u32_e32 v10, -14, v8
	v_fmac_f32_e32 v13, v30, v35
	v_fmac_f32_e32 v14, v44, v35
	;; [unrolled: 1-line block ×4, first 2 shown]
	v_lshlrev_b64 v[34:35], 3, v[10:11]
	v_fmac_f32_e32 v13, v33, v36
	v_fmac_f32_e32 v14, v47, v36
	v_add_co_u32 v16, vcc_lo, s12, v16
	v_add_co_ci_u32_e64 v17, null, s13, v17, vcc_lo
	v_add_co_u32 v44, vcc_lo, s12, v34
	v_fma_f32 v7, -v33, v37, v7
	v_fmac_f32_e32 v13, v32, v37
	global_load_dwordx4 v[30:33], v[56:57], off offset:16
	v_fma_f32 v12, -v47, v37, v9
	v_fmac_f32_e32 v14, v46, v37
	v_add_co_ci_u32_e64 v45, null, s13, v35, vcc_lo
	global_load_dwordx4 v[34:37], v[56:57], off
	s_clause 0x4
	global_load_dwordx2 v[52:53], v[54:55], off
	global_load_dwordx2 v[54:55], v[60:61], off
	;; [unrolled: 1-line block ×5, first 2 shown]
	v_add_nc_u32_e32 v10, -2, v8
	s_clause 0x1
	global_load_dwordx2 v[16:17], v[16:17], off
	global_load_dwordx2 v[44:45], v[44:45], off
	s_waitcnt vmcnt(9)
	v_fmac_f32_e32 v7, v26, v38
	v_fmac_f32_e32 v13, v27, v38
	v_lshlrev_b64 v[9:10], 3, v[10:11]
	v_fmac_f32_e32 v12, v48, v38
	v_fmac_f32_e32 v14, v49, v38
	v_fma_f32 v7, -v27, v39, v7
	v_fmac_f32_e32 v13, v26, v39
	v_add_co_u32 v46, vcc_lo, s12, v9
	v_fmac_f32_e32 v7, v28, v40
	v_fmac_f32_e32 v13, v29, v40
	v_add_co_ci_u32_e64 v47, null, s13, v10, vcc_lo
	v_add_nc_u32_e32 v10, -13, v8
	v_fma_f32 v9, -v49, v39, v12
	v_fmac_f32_e32 v14, v48, v39
	v_fma_f32 v7, -v29, v41, v7
	v_fmac_f32_e32 v13, v28, v41
	global_load_dwordx4 v[26:29], v[66:67], off
	v_lshlrev_b64 v[38:39], 3, v[10:11]
	v_add_nc_u32_e32 v10, -1, v8
	v_fmac_f32_e32 v9, v50, v40
	v_fmac_f32_e32 v14, v51, v40
	global_load_dwordx2 v[46:47], v[46:47], off
	v_add_co_u32 v48, vcc_lo, s12, v38
	v_fma_f32 v12, -v51, v41, v9
	v_fmac_f32_e32 v14, v50, v41
	v_lshlrev_b64 v[40:41], 3, v[10:11]
	v_add_nc_u32_e32 v10, -12, v8
	v_add_co_ci_u32_e64 v49, null, s13, v39, vcc_lo
	v_add_nc_u32_e32 v8, 0x300, v8
	v_lshlrev_b64 v[9:10], 3, v[10:11]
	v_add_co_u32 v50, vcc_lo, s12, v40
	v_add_co_ci_u32_e64 v51, null, s13, v41, vcc_lo
	v_add_co_u32 v9, vcc_lo, s12, v9
	v_add_co_ci_u32_e64 v10, null, s13, v10, vcc_lo
	global_load_dwordx4 v[38:41], v[66:67], off offset:16
	s_clause 0x3
	global_load_dwordx2 v[48:49], v[48:49], off
	global_load_dwordx2 v[50:51], v[50:51], off
	;; [unrolled: 1-line block ×4, first 2 shown]
	v_cmp_ge_i32_e32 vcc_lo, v6, v15
	s_or_b32 s0, vcc_lo, s0
	s_waitcnt vmcnt(14)
	v_fmac_f32_e32 v7, v22, v34
	v_fmac_f32_e32 v13, v23, v34
	s_waitcnt vmcnt(13)
	v_fmac_f32_e32 v12, v52, v34
	v_fmac_f32_e32 v14, v53, v34
	v_fma_f32 v7, -v23, v35, v7
	v_fmac_f32_e32 v13, v22, v35
	v_fma_f32 v12, -v53, v35, v12
	v_fmac_f32_e32 v14, v52, v35
	v_fmac_f32_e32 v7, v24, v36
	v_fmac_f32_e32 v13, v25, v36
	s_waitcnt vmcnt(12)
	v_fmac_f32_e32 v12, v54, v36
	v_fmac_f32_e32 v14, v55, v36
	v_fma_f32 v7, -v25, v37, v7
	v_fmac_f32_e32 v13, v24, v37
	v_fma_f32 v12, -v55, v37, v12
	v_fmac_f32_e32 v14, v54, v37
	;; [unrolled: 9-line block ×4, first 2 shown]
	s_waitcnt vmcnt(6)
	v_fmac_f32_e32 v7, v60, v26
	v_fmac_f32_e32 v13, v61, v26
	;; [unrolled: 1-line block ×4, first 2 shown]
	v_fma_f32 v7, -v61, v27, v7
	v_fmac_f32_e32 v13, v60, v27
	v_fma_f32 v12, -v17, v27, v12
	v_fmac_f32_e32 v14, v16, v27
	v_fmac_f32_e32 v7, v44, v28
	;; [unrolled: 1-line block ×3, first 2 shown]
	s_waitcnt vmcnt(5)
	v_fmac_f32_e32 v12, v46, v28
	v_fmac_f32_e32 v14, v47, v28
	v_fma_f32 v7, -v45, v29, v7
	v_fmac_f32_e32 v13, v44, v29
	v_fma_f32 v12, -v47, v29, v12
	v_fmac_f32_e32 v14, v46, v29
	s_waitcnt vmcnt(3)
	v_fmac_f32_e32 v7, v48, v38
	v_fmac_f32_e32 v13, v49, v38
	s_waitcnt vmcnt(2)
	v_fmac_f32_e32 v12, v50, v38
	v_fmac_f32_e32 v14, v51, v38
	v_fma_f32 v7, -v49, v39, v7
	v_fmac_f32_e32 v13, v48, v39
	v_fma_f32 v12, -v51, v39, v12
	v_fmac_f32_e32 v14, v50, v39
	s_waitcnt vmcnt(1)
	v_fmac_f32_e32 v7, v9, v40
	v_fmac_f32_e32 v13, v10, v40
	s_waitcnt vmcnt(0)
	v_fmac_f32_e32 v12, v42, v40
	v_fmac_f32_e32 v14, v43, v40
	v_fma_f32 v17, -v10, v41, v7
	v_fmac_f32_e32 v13, v9, v41
	v_fma_f32 v16, -v43, v41, v12
	v_fmac_f32_e32 v14, v42, v41
	s_andn2_b32 exec_lo, exec_lo, s0
	s_cbranch_execnz .LBB205_13
; %bb.14:
	s_or_b32 exec_lo, exec_lo, s0
.LBB205_15:
	s_or_b32 exec_lo, exec_lo, s1
.LBB205_16:
	v_mbcnt_lo_u32_b32 v6, -1, 0
	v_xor_b32_e32 v7, 16, v6
	v_xor_b32_e32 v11, 8, v6
	;; [unrolled: 1-line block ×3, first 2 shown]
	v_cmp_gt_i32_e32 vcc_lo, 32, v7
	v_cndmask_b32_e32 v7, v6, v7, vcc_lo
	v_cmp_gt_i32_e32 vcc_lo, 32, v11
	v_lshlrev_b32_e32 v7, 2, v7
	v_cndmask_b32_e32 v11, v6, v11, vcc_lo
	v_cmp_gt_i32_e32 vcc_lo, 32, v15
	ds_bpermute_b32 v8, v7, v17
	ds_bpermute_b32 v9, v7, v13
	;; [unrolled: 1-line block ×4, first 2 shown]
	v_lshlrev_b32_e32 v11, 2, v11
	v_cndmask_b32_e32 v15, v6, v15, vcc_lo
	v_lshlrev_b32_e32 v15, 2, v15
	s_waitcnt lgkmcnt(3)
	v_add_f32_e32 v8, v17, v8
	s_waitcnt lgkmcnt(2)
	v_add_f32_e32 v9, v13, v9
	;; [unrolled: 2-line block ×4, first 2 shown]
	ds_bpermute_b32 v12, v11, v8
	ds_bpermute_b32 v13, v11, v9
	ds_bpermute_b32 v14, v11, v10
	ds_bpermute_b32 v11, v11, v7
	s_waitcnt lgkmcnt(3)
	v_add_f32_e32 v8, v8, v12
	s_waitcnt lgkmcnt(2)
	v_add_f32_e32 v9, v9, v13
	;; [unrolled: 2-line block ×4, first 2 shown]
	ds_bpermute_b32 v11, v15, v8
	ds_bpermute_b32 v12, v15, v9
	;; [unrolled: 1-line block ×4, first 2 shown]
	v_xor_b32_e32 v15, 2, v6
	v_cmp_gt_i32_e32 vcc_lo, 32, v15
	v_cndmask_b32_e32 v15, v6, v15, vcc_lo
	v_lshlrev_b32_e32 v15, 2, v15
	s_waitcnt lgkmcnt(3)
	v_add_f32_e32 v8, v8, v11
	s_waitcnt lgkmcnt(2)
	v_add_f32_e32 v9, v9, v12
	;; [unrolled: 2-line block ×4, first 2 shown]
	ds_bpermute_b32 v11, v15, v8
	ds_bpermute_b32 v12, v15, v9
	;; [unrolled: 1-line block ×4, first 2 shown]
	v_xor_b32_e32 v15, 1, v6
	v_cmp_gt_i32_e32 vcc_lo, 32, v15
	v_cndmask_b32_e32 v6, v6, v15, vcc_lo
	v_cmp_eq_u32_e32 vcc_lo, 31, v0
	v_lshlrev_b32_e32 v15, 2, v6
	s_waitcnt lgkmcnt(3)
	v_add_f32_e32 v8, v8, v11
	s_waitcnt lgkmcnt(2)
	v_add_f32_e32 v9, v9, v12
	;; [unrolled: 2-line block ×4, first 2 shown]
	ds_bpermute_b32 v12, v15, v8
	ds_bpermute_b32 v13, v15, v9
	;; [unrolled: 1-line block ×4, first 2 shown]
	s_and_b32 exec_lo, exec_lo, vcc_lo
	s_cbranch_execz .LBB205_21
; %bb.17:
	s_load_dwordx2 s[2:3], s[4:5], 0x38
	v_cmp_eq_f32_e32 vcc_lo, 0, v3
	v_cmp_eq_f32_e64 s0, 0, v4
	s_waitcnt lgkmcnt(0)
	v_add_f32_e32 v0, v8, v12
	v_add_f32_e32 v8, v9, v13
	;; [unrolled: 1-line block ×4, first 2 shown]
	s_and_b32 s0, vcc_lo, s0
	s_and_saveexec_b32 s1, s0
	s_xor_b32 s0, exec_lo, s1
	s_cbranch_execz .LBB205_19
; %bb.18:
	v_lshlrev_b32_e32 v3, 1, v5
	v_mul_f32_e64 v9, v8, -v2
	v_mul_f32_e32 v10, v1, v8
	v_mul_f32_e64 v11, v7, -v2
	v_mul_f32_e32 v12, v1, v7
	v_ashrrev_i32_e32 v4, 31, v3
	v_fmac_f32_e32 v9, v1, v0
	v_fmac_f32_e32 v10, v2, v0
	;; [unrolled: 1-line block ×4, first 2 shown]
	v_lshlrev_b64 v[3:4], 3, v[3:4]
                                        ; implicit-def: $vgpr5
                                        ; implicit-def: $vgpr8
                                        ; implicit-def: $vgpr7
                                        ; implicit-def: $vgpr6
	v_add_co_u32 v0, vcc_lo, s2, v3
	v_add_co_ci_u32_e64 v1, null, s3, v4, vcc_lo
                                        ; implicit-def: $vgpr3_vgpr4
	global_store_dwordx4 v[0:1], v[9:12], off
                                        ; implicit-def: $vgpr1_vgpr2
                                        ; implicit-def: $vgpr0
.LBB205_19:
	s_andn2_saveexec_b32 s0, s0
	s_cbranch_execz .LBB205_21
; %bb.20:
	v_lshlrev_b32_e32 v9, 1, v5
	v_mul_f32_e64 v5, v8, -v2
	v_mul_f32_e32 v14, v1, v8
	v_mul_f32_e64 v8, v7, -v2
	v_mul_f32_e32 v16, v1, v7
	v_ashrrev_i32_e32 v10, 31, v9
	v_fmac_f32_e32 v5, v1, v0
	v_fmac_f32_e32 v14, v2, v0
	;; [unrolled: 1-line block ×4, first 2 shown]
	v_lshlrev_b64 v[9:10], 3, v[9:10]
	v_add_co_u32 v17, vcc_lo, s2, v9
	v_add_co_ci_u32_e64 v18, null, s3, v10, vcc_lo
	global_load_dwordx4 v[9:12], v[17:18], off
	s_waitcnt vmcnt(0)
	v_fmac_f32_e32 v5, v3, v9
	v_fmac_f32_e32 v14, v4, v9
	;; [unrolled: 1-line block ×4, first 2 shown]
	v_fma_f32 v13, -v4, v10, v5
	v_fmac_f32_e32 v14, v3, v10
	v_fma_f32 v15, -v4, v12, v8
	v_fmac_f32_e32 v16, v3, v12
	global_store_dwordx4 v[17:18], v[13:16], off
.LBB205_21:
	s_endpgm
	.section	.rodata,"a",@progbits
	.p2align	6, 0x0
	.amdhsa_kernel _ZN9rocsparseL19gebsrmvn_2xn_kernelILj128ELj12ELj32E21rocsparse_complex_numIfEEEvi20rocsparse_direction_NS_24const_host_device_scalarIT2_EEPKiS8_PKS5_SA_S6_PS5_21rocsparse_index_base_b
		.amdhsa_group_segment_fixed_size 0
		.amdhsa_private_segment_fixed_size 0
		.amdhsa_kernarg_size 72
		.amdhsa_user_sgpr_count 6
		.amdhsa_user_sgpr_private_segment_buffer 1
		.amdhsa_user_sgpr_dispatch_ptr 0
		.amdhsa_user_sgpr_queue_ptr 0
		.amdhsa_user_sgpr_kernarg_segment_ptr 1
		.amdhsa_user_sgpr_dispatch_id 0
		.amdhsa_user_sgpr_flat_scratch_init 0
		.amdhsa_user_sgpr_private_segment_size 0
		.amdhsa_wavefront_size32 1
		.amdhsa_uses_dynamic_stack 0
		.amdhsa_system_sgpr_private_segment_wavefront_offset 0
		.amdhsa_system_sgpr_workgroup_id_x 1
		.amdhsa_system_sgpr_workgroup_id_y 0
		.amdhsa_system_sgpr_workgroup_id_z 0
		.amdhsa_system_sgpr_workgroup_info 0
		.amdhsa_system_vgpr_workitem_id 0
		.amdhsa_next_free_vgpr 78
		.amdhsa_next_free_sgpr 16
		.amdhsa_reserve_vcc 1
		.amdhsa_reserve_flat_scratch 0
		.amdhsa_float_round_mode_32 0
		.amdhsa_float_round_mode_16_64 0
		.amdhsa_float_denorm_mode_32 3
		.amdhsa_float_denorm_mode_16_64 3
		.amdhsa_dx10_clamp 1
		.amdhsa_ieee_mode 1
		.amdhsa_fp16_overflow 0
		.amdhsa_workgroup_processor_mode 1
		.amdhsa_memory_ordered 1
		.amdhsa_forward_progress 1
		.amdhsa_shared_vgpr_count 0
		.amdhsa_exception_fp_ieee_invalid_op 0
		.amdhsa_exception_fp_denorm_src 0
		.amdhsa_exception_fp_ieee_div_zero 0
		.amdhsa_exception_fp_ieee_overflow 0
		.amdhsa_exception_fp_ieee_underflow 0
		.amdhsa_exception_fp_ieee_inexact 0
		.amdhsa_exception_int_div_zero 0
	.end_amdhsa_kernel
	.section	.text._ZN9rocsparseL19gebsrmvn_2xn_kernelILj128ELj12ELj32E21rocsparse_complex_numIfEEEvi20rocsparse_direction_NS_24const_host_device_scalarIT2_EEPKiS8_PKS5_SA_S6_PS5_21rocsparse_index_base_b,"axG",@progbits,_ZN9rocsparseL19gebsrmvn_2xn_kernelILj128ELj12ELj32E21rocsparse_complex_numIfEEEvi20rocsparse_direction_NS_24const_host_device_scalarIT2_EEPKiS8_PKS5_SA_S6_PS5_21rocsparse_index_base_b,comdat
.Lfunc_end205:
	.size	_ZN9rocsparseL19gebsrmvn_2xn_kernelILj128ELj12ELj32E21rocsparse_complex_numIfEEEvi20rocsparse_direction_NS_24const_host_device_scalarIT2_EEPKiS8_PKS5_SA_S6_PS5_21rocsparse_index_base_b, .Lfunc_end205-_ZN9rocsparseL19gebsrmvn_2xn_kernelILj128ELj12ELj32E21rocsparse_complex_numIfEEEvi20rocsparse_direction_NS_24const_host_device_scalarIT2_EEPKiS8_PKS5_SA_S6_PS5_21rocsparse_index_base_b
                                        ; -- End function
	.set _ZN9rocsparseL19gebsrmvn_2xn_kernelILj128ELj12ELj32E21rocsparse_complex_numIfEEEvi20rocsparse_direction_NS_24const_host_device_scalarIT2_EEPKiS8_PKS5_SA_S6_PS5_21rocsparse_index_base_b.num_vgpr, 78
	.set _ZN9rocsparseL19gebsrmvn_2xn_kernelILj128ELj12ELj32E21rocsparse_complex_numIfEEEvi20rocsparse_direction_NS_24const_host_device_scalarIT2_EEPKiS8_PKS5_SA_S6_PS5_21rocsparse_index_base_b.num_agpr, 0
	.set _ZN9rocsparseL19gebsrmvn_2xn_kernelILj128ELj12ELj32E21rocsparse_complex_numIfEEEvi20rocsparse_direction_NS_24const_host_device_scalarIT2_EEPKiS8_PKS5_SA_S6_PS5_21rocsparse_index_base_b.numbered_sgpr, 16
	.set _ZN9rocsparseL19gebsrmvn_2xn_kernelILj128ELj12ELj32E21rocsparse_complex_numIfEEEvi20rocsparse_direction_NS_24const_host_device_scalarIT2_EEPKiS8_PKS5_SA_S6_PS5_21rocsparse_index_base_b.num_named_barrier, 0
	.set _ZN9rocsparseL19gebsrmvn_2xn_kernelILj128ELj12ELj32E21rocsparse_complex_numIfEEEvi20rocsparse_direction_NS_24const_host_device_scalarIT2_EEPKiS8_PKS5_SA_S6_PS5_21rocsparse_index_base_b.private_seg_size, 0
	.set _ZN9rocsparseL19gebsrmvn_2xn_kernelILj128ELj12ELj32E21rocsparse_complex_numIfEEEvi20rocsparse_direction_NS_24const_host_device_scalarIT2_EEPKiS8_PKS5_SA_S6_PS5_21rocsparse_index_base_b.uses_vcc, 1
	.set _ZN9rocsparseL19gebsrmvn_2xn_kernelILj128ELj12ELj32E21rocsparse_complex_numIfEEEvi20rocsparse_direction_NS_24const_host_device_scalarIT2_EEPKiS8_PKS5_SA_S6_PS5_21rocsparse_index_base_b.uses_flat_scratch, 0
	.set _ZN9rocsparseL19gebsrmvn_2xn_kernelILj128ELj12ELj32E21rocsparse_complex_numIfEEEvi20rocsparse_direction_NS_24const_host_device_scalarIT2_EEPKiS8_PKS5_SA_S6_PS5_21rocsparse_index_base_b.has_dyn_sized_stack, 0
	.set _ZN9rocsparseL19gebsrmvn_2xn_kernelILj128ELj12ELj32E21rocsparse_complex_numIfEEEvi20rocsparse_direction_NS_24const_host_device_scalarIT2_EEPKiS8_PKS5_SA_S6_PS5_21rocsparse_index_base_b.has_recursion, 0
	.set _ZN9rocsparseL19gebsrmvn_2xn_kernelILj128ELj12ELj32E21rocsparse_complex_numIfEEEvi20rocsparse_direction_NS_24const_host_device_scalarIT2_EEPKiS8_PKS5_SA_S6_PS5_21rocsparse_index_base_b.has_indirect_call, 0
	.section	.AMDGPU.csdata,"",@progbits
; Kernel info:
; codeLenInByte = 3596
; TotalNumSgprs: 18
; NumVgprs: 78
; ScratchSize: 0
; MemoryBound: 0
; FloatMode: 240
; IeeeMode: 1
; LDSByteSize: 0 bytes/workgroup (compile time only)
; SGPRBlocks: 0
; VGPRBlocks: 9
; NumSGPRsForWavesPerEU: 18
; NumVGPRsForWavesPerEU: 78
; Occupancy: 12
; WaveLimiterHint : 1
; COMPUTE_PGM_RSRC2:SCRATCH_EN: 0
; COMPUTE_PGM_RSRC2:USER_SGPR: 6
; COMPUTE_PGM_RSRC2:TRAP_HANDLER: 0
; COMPUTE_PGM_RSRC2:TGID_X_EN: 1
; COMPUTE_PGM_RSRC2:TGID_Y_EN: 0
; COMPUTE_PGM_RSRC2:TGID_Z_EN: 0
; COMPUTE_PGM_RSRC2:TIDIG_COMP_CNT: 0
	.section	.text._ZN9rocsparseL19gebsrmvn_2xn_kernelILj128ELj12ELj64E21rocsparse_complex_numIfEEEvi20rocsparse_direction_NS_24const_host_device_scalarIT2_EEPKiS8_PKS5_SA_S6_PS5_21rocsparse_index_base_b,"axG",@progbits,_ZN9rocsparseL19gebsrmvn_2xn_kernelILj128ELj12ELj64E21rocsparse_complex_numIfEEEvi20rocsparse_direction_NS_24const_host_device_scalarIT2_EEPKiS8_PKS5_SA_S6_PS5_21rocsparse_index_base_b,comdat
	.globl	_ZN9rocsparseL19gebsrmvn_2xn_kernelILj128ELj12ELj64E21rocsparse_complex_numIfEEEvi20rocsparse_direction_NS_24const_host_device_scalarIT2_EEPKiS8_PKS5_SA_S6_PS5_21rocsparse_index_base_b ; -- Begin function _ZN9rocsparseL19gebsrmvn_2xn_kernelILj128ELj12ELj64E21rocsparse_complex_numIfEEEvi20rocsparse_direction_NS_24const_host_device_scalarIT2_EEPKiS8_PKS5_SA_S6_PS5_21rocsparse_index_base_b
	.p2align	8
	.type	_ZN9rocsparseL19gebsrmvn_2xn_kernelILj128ELj12ELj64E21rocsparse_complex_numIfEEEvi20rocsparse_direction_NS_24const_host_device_scalarIT2_EEPKiS8_PKS5_SA_S6_PS5_21rocsparse_index_base_b,@function
_ZN9rocsparseL19gebsrmvn_2xn_kernelILj128ELj12ELj64E21rocsparse_complex_numIfEEEvi20rocsparse_direction_NS_24const_host_device_scalarIT2_EEPKiS8_PKS5_SA_S6_PS5_21rocsparse_index_base_b: ; @_ZN9rocsparseL19gebsrmvn_2xn_kernelILj128ELj12ELj64E21rocsparse_complex_numIfEEEvi20rocsparse_direction_NS_24const_host_device_scalarIT2_EEPKiS8_PKS5_SA_S6_PS5_21rocsparse_index_base_b
; %bb.0:
	s_clause 0x2
	s_load_dwordx2 s[2:3], s[4:5], 0x40
	s_load_dwordx2 s[0:1], s[4:5], 0x8
	;; [unrolled: 1-line block ×3, first 2 shown]
	s_add_u32 s7, s4, 8
	s_addc_u32 s10, s5, 0
	s_add_u32 s11, s4, 48
	s_addc_u32 s12, s5, 0
	s_waitcnt lgkmcnt(0)
	s_bitcmp1_b32 s3, 0
	s_cselect_b32 s0, s7, s0
	s_cselect_b32 s1, s10, s1
	v_mov_b32_e32 v1, s0
	v_mov_b32_e32 v2, s1
	s_cselect_b32 s0, s11, s8
	s_cselect_b32 s1, s12, s9
	v_mov_b32_e32 v3, s0
	v_mov_b32_e32 v4, s1
	flat_load_dwordx2 v[1:2], v[1:2]
	flat_load_dwordx2 v[3:4], v[3:4]
	s_waitcnt vmcnt(1) lgkmcnt(1)
	v_cmp_eq_f32_e32 vcc_lo, 0, v1
	v_cmp_eq_f32_e64 s0, 0, v2
	s_and_b32 s3, vcc_lo, s0
	s_mov_b32 s0, -1
	s_and_saveexec_b32 s1, s3
	s_cbranch_execz .LBB206_2
; %bb.1:
	s_waitcnt vmcnt(0) lgkmcnt(0)
	v_cmp_neq_f32_e32 vcc_lo, 1.0, v3
	v_cmp_neq_f32_e64 s0, 0, v4
	s_or_b32 s0, vcc_lo, s0
	s_orn2_b32 s0, s0, exec_lo
.LBB206_2:
	s_or_b32 exec_lo, exec_lo, s1
	s_and_saveexec_b32 s1, s0
	s_cbranch_execz .LBB206_21
; %bb.3:
	s_load_dwordx2 s[0:1], s[4:5], 0x0
	v_lshrrev_b32_e32 v5, 6, v0
	v_lshl_or_b32 v5, s6, 1, v5
	s_waitcnt lgkmcnt(0)
	v_cmp_gt_i32_e32 vcc_lo, s0, v5
	s_and_b32 exec_lo, exec_lo, vcc_lo
	s_cbranch_execz .LBB206_21
; %bb.4:
	s_load_dwordx8 s[8:15], s[4:5], 0x10
	v_ashrrev_i32_e32 v6, 31, v5
	v_and_b32_e32 v0, 63, v0
	s_cmp_lg_u32 s1, 0
	v_lshlrev_b64 v[6:7], 2, v[5:6]
	s_waitcnt lgkmcnt(0)
	v_add_co_u32 v6, vcc_lo, s8, v6
	v_add_co_ci_u32_e64 v7, null, s9, v7, vcc_lo
	global_load_dwordx2 v[6:7], v[6:7], off
	s_waitcnt vmcnt(0)
	v_subrev_nc_u32_e32 v6, s2, v6
	v_subrev_nc_u32_e32 v15, s2, v7
	v_add_nc_u32_e32 v6, v6, v0
	v_cmp_lt_i32_e64 s0, v6, v15
	s_cbranch_scc0 .LBB206_10
; %bb.5:
	v_mov_b32_e32 v13, 0
	v_mov_b32_e32 v17, 0
	;; [unrolled: 1-line block ×4, first 2 shown]
	s_and_saveexec_b32 s3, s0
	s_cbranch_execz .LBB206_9
; %bb.6:
	v_mad_u64_u32 v[7:8], null, v6, 24, 22
	v_mov_b32_e32 v10, 0
	v_mov_b32_e32 v11, v6
	;; [unrolled: 1-line block ×6, first 2 shown]
	s_mov_b32 s6, 0
.LBB206_7:                              ; =>This Inner Loop Header: Depth=1
	v_ashrrev_i32_e32 v12, 31, v11
	v_mov_b32_e32 v59, v10
	v_lshlrev_b64 v[8:9], 2, v[11:12]
	v_add_nc_u32_e32 v11, 64, v11
	v_add_co_u32 v8, vcc_lo, s10, v8
	v_add_co_ci_u32_e64 v9, null, s11, v9, vcc_lo
	global_load_dword v12, v[8:9], off
	v_subrev_nc_u32_e32 v9, 22, v7
	v_mov_b32_e32 v8, v10
	v_lshlrev_b64 v[18:19], 3, v[9:10]
	v_add_nc_u32_e32 v9, -14, v7
	v_lshlrev_b64 v[73:74], 3, v[7:8]
	v_lshlrev_b64 v[8:9], 3, v[9:10]
	v_add_co_u32 v34, vcc_lo, s12, v18
	v_add_co_ci_u32_e64 v35, null, s13, v19, vcc_lo
	v_add_co_u32 v75, vcc_lo, s12, v73
	s_clause 0x1
	global_load_dwordx4 v[18:21], v[34:35], off offset:16
	global_load_dwordx4 v[22:25], v[34:35], off
	s_waitcnt vmcnt(2)
	v_subrev_nc_u32_e32 v12, s2, v12
	v_mul_lo_u32 v58, v12, 12
	v_lshlrev_b64 v[26:27], 3, v[58:59]
	v_add_co_u32 v42, s1, s14, v26
	v_add_co_ci_u32_e64 v43, null, s15, v27, s1
	v_add_co_u32 v8, s1, s12, v8
	v_add_co_ci_u32_e64 v9, null, s13, v9, s1
	global_load_dwordx4 v[26:29], v[42:43], off
	s_clause 0x2
	global_load_dwordx4 v[30:33], v[34:35], off offset:48
	global_load_dwordx4 v[34:37], v[34:35], off offset:32
	global_load_dwordx4 v[38:41], v[8:9], off
	global_load_dwordx4 v[42:45], v[42:43], off offset:16
	v_add_nc_u32_e32 v9, 4, v58
	v_lshlrev_b64 v[46:47], 3, v[9:10]
	v_add_nc_u32_e32 v9, -12, v7
	v_add_co_u32 v50, s1, s14, v46
	v_add_co_ci_u32_e64 v51, null, s15, v47, s1
	v_lshlrev_b64 v[54:55], 3, v[9:10]
	v_add_nc_u32_e32 v9, -10, v7
	s_clause 0x1
	global_load_dwordx4 v[46:49], v[50:51], off offset:16
	global_load_dwordx4 v[50:53], v[50:51], off
	v_lshlrev_b64 v[56:57], 3, v[9:10]
	v_add_co_u32 v54, s1, s12, v54
	v_add_co_ci_u32_e64 v55, null, s13, v55, s1
	v_add_nc_u32_e32 v9, -8, v7
	v_add_co_u32 v59, s1, s12, v56
	v_add_co_ci_u32_e64 v60, null, s13, v57, s1
	global_load_dwordx4 v[54:57], v[54:55], off
	v_lshlrev_b64 v[62:63], 3, v[9:10]
	v_add_nc_u32_e32 v9, -6, v7
	v_lshlrev_b64 v[64:65], 3, v[9:10]
	v_add_nc_u32_e32 v9, 8, v58
	global_load_dwordx4 v[58:61], v[59:60], off
	v_add_co_u32 v62, s1, s12, v62
	v_add_co_ci_u32_e64 v63, null, s13, v63, s1
	v_lshlrev_b64 v[66:67], 3, v[9:10]
	v_add_co_u32 v68, s1, s12, v64
	v_add_co_ci_u32_e64 v69, null, s13, v65, s1
	global_load_dwordx4 v[62:65], v[62:63], off
	v_add_nc_u32_e32 v9, -4, v7
	v_add_co_u32 v76, s1, s14, v66
	v_add_co_ci_u32_e64 v77, null, s15, v67, s1
	v_lshlrev_b64 v[70:71], 3, v[9:10]
	global_load_dwordx4 v[66:69], v[68:69], off
	v_add_nc_u32_e32 v9, -2, v7
	v_add_nc_u32_e32 v7, 0x600, v7
	v_lshlrev_b64 v[8:9], 3, v[9:10]
	s_waitcnt vmcnt(10)
	v_fmac_f32_e32 v17, v22, v26
	v_fmac_f32_e32 v13, v23, v26
	;; [unrolled: 1-line block ×4, first 2 shown]
	v_fma_f32 v12, -v23, v27, v17
	v_fmac_f32_e32 v13, v22, v27
	v_fma_f32 v26, -v25, v27, v16
	v_fmac_f32_e32 v14, v24, v27
	global_load_dwordx4 v[22:25], v[76:77], off
	v_add_co_u32 v16, s1, s12, v70
	v_add_co_ci_u32_e64 v17, null, s13, v71, s1
	v_add_co_u32 v8, s1, s12, v8
	v_fmac_f32_e32 v12, v18, v28
	global_load_dwordx4 v[70:73], v[16:17], off
	v_fmac_f32_e32 v13, v19, v28
	v_fmac_f32_e32 v26, v20, v28
	;; [unrolled: 1-line block ×3, first 2 shown]
	v_add_co_ci_u32_e64 v9, null, s13, v9, s1
	v_fma_f32 v12, -v19, v29, v12
	v_fmac_f32_e32 v13, v18, v29
	v_fma_f32 v21, -v21, v29, v26
	v_fmac_f32_e32 v14, v20, v29
	global_load_dwordx4 v[16:19], v[76:77], off offset:16
	global_load_dwordx4 v[26:29], v[8:9], off
	v_add_co_ci_u32_e64 v76, null, s13, v74, vcc_lo
	s_waitcnt vmcnt(10)
	v_fmac_f32_e32 v12, v34, v42
	v_fmac_f32_e32 v13, v35, v42
	;; [unrolled: 1-line block ×3, first 2 shown]
	global_load_dwordx4 v[74:77], v[75:76], off
	v_fmac_f32_e32 v14, v37, v42
	v_fma_f32 v8, -v35, v43, v12
	v_fmac_f32_e32 v13, v34, v43
	v_fma_f32 v9, -v37, v43, v21
	v_cmp_ge_i32_e32 vcc_lo, v11, v15
	v_fmac_f32_e32 v14, v36, v43
	v_fmac_f32_e32 v8, v30, v44
	v_fmac_f32_e32 v13, v31, v44
	v_fmac_f32_e32 v9, v32, v44
	s_or_b32 s6, vcc_lo, s6
	v_fmac_f32_e32 v14, v33, v44
	v_fma_f32 v8, -v31, v45, v8
	v_fmac_f32_e32 v13, v30, v45
	v_fma_f32 v9, -v33, v45, v9
	v_fmac_f32_e32 v14, v32, v45
	s_waitcnt vmcnt(9)
	v_fmac_f32_e32 v8, v38, v50
	v_fmac_f32_e32 v13, v39, v50
	v_fmac_f32_e32 v9, v40, v50
	v_fmac_f32_e32 v14, v41, v50
	v_fma_f32 v8, -v39, v51, v8
	v_fmac_f32_e32 v13, v38, v51
	v_fma_f32 v9, -v41, v51, v9
	v_fmac_f32_e32 v14, v40, v51
	s_waitcnt vmcnt(8)
	v_fmac_f32_e32 v8, v54, v52
	v_fmac_f32_e32 v13, v55, v52
	v_fmac_f32_e32 v9, v56, v52
	v_fmac_f32_e32 v14, v57, v52
	v_fma_f32 v8, -v55, v53, v8
	v_fmac_f32_e32 v13, v54, v53
	v_fma_f32 v9, -v57, v53, v9
	v_fmac_f32_e32 v14, v56, v53
	s_waitcnt vmcnt(7)
	v_fmac_f32_e32 v8, v58, v46
	v_fmac_f32_e32 v13, v59, v46
	v_fmac_f32_e32 v9, v60, v46
	v_fmac_f32_e32 v14, v61, v46
	v_fma_f32 v8, -v59, v47, v8
	v_fmac_f32_e32 v13, v58, v47
	v_fma_f32 v9, -v61, v47, v9
	v_fmac_f32_e32 v14, v60, v47
	s_waitcnt vmcnt(6)
	v_fmac_f32_e32 v8, v62, v48
	v_fmac_f32_e32 v13, v63, v48
	v_fmac_f32_e32 v9, v64, v48
	v_fmac_f32_e32 v14, v65, v48
	v_fma_f32 v8, -v63, v49, v8
	v_fmac_f32_e32 v13, v62, v49
	v_fma_f32 v9, -v65, v49, v9
	v_fmac_f32_e32 v14, v64, v49
	s_waitcnt vmcnt(4)
	v_fmac_f32_e32 v8, v66, v22
	v_fmac_f32_e32 v13, v67, v22
	v_fmac_f32_e32 v9, v68, v22
	v_fmac_f32_e32 v14, v69, v22
	v_fma_f32 v8, -v67, v23, v8
	v_fmac_f32_e32 v13, v66, v23
	v_fma_f32 v9, -v69, v23, v9
	v_fmac_f32_e32 v14, v68, v23
	s_waitcnt vmcnt(3)
	v_fmac_f32_e32 v8, v70, v24
	v_fmac_f32_e32 v13, v71, v24
	v_fmac_f32_e32 v9, v72, v24
	v_fmac_f32_e32 v14, v73, v24
	v_fma_f32 v8, -v71, v25, v8
	v_fmac_f32_e32 v13, v70, v25
	v_fma_f32 v9, -v73, v25, v9
	v_fmac_f32_e32 v14, v72, v25
	s_waitcnt vmcnt(1)
	v_fmac_f32_e32 v8, v26, v16
	v_fmac_f32_e32 v13, v27, v16
	v_fmac_f32_e32 v9, v28, v16
	v_fmac_f32_e32 v14, v29, v16
	v_fma_f32 v8, -v27, v17, v8
	v_fmac_f32_e32 v13, v26, v17
	v_fma_f32 v9, -v29, v17, v9
	v_fmac_f32_e32 v14, v28, v17
	s_waitcnt vmcnt(0)
	v_fmac_f32_e32 v8, v74, v18
	v_fmac_f32_e32 v13, v75, v18
	v_fmac_f32_e32 v9, v76, v18
	v_fmac_f32_e32 v14, v77, v18
	v_fma_f32 v17, -v75, v19, v8
	v_fmac_f32_e32 v13, v74, v19
	v_fma_f32 v16, -v77, v19, v9
	v_fmac_f32_e32 v14, v76, v19
	s_andn2_b32 exec_lo, exec_lo, s6
	s_cbranch_execnz .LBB206_7
; %bb.8:
	s_or_b32 exec_lo, exec_lo, s6
.LBB206_9:
	s_or_b32 exec_lo, exec_lo, s3
	s_cbranch_execz .LBB206_11
	s_branch .LBB206_16
.LBB206_10:
                                        ; implicit-def: $vgpr13
                                        ; implicit-def: $vgpr17
                                        ; implicit-def: $vgpr16
                                        ; implicit-def: $vgpr14
.LBB206_11:
	v_mov_b32_e32 v13, 0
	v_mov_b32_e32 v17, 0
	;; [unrolled: 1-line block ×4, first 2 shown]
	s_and_saveexec_b32 s1, s0
	s_cbranch_execz .LBB206_15
; %bb.12:
	v_mad_u64_u32 v[8:9], null, v6, 24, 23
	v_mov_b32_e32 v11, 0
	v_mov_b32_e32 v13, 0
	;; [unrolled: 1-line block ×5, first 2 shown]
	s_mov_b32 s0, 0
.LBB206_13:                             ; =>This Inner Loop Header: Depth=1
	v_ashrrev_i32_e32 v7, 31, v6
	v_subrev_nc_u32_e32 v10, 23, v8
	v_add_nc_u32_e32 v18, -11, v8
	v_mov_b32_e32 v19, v11
	v_mov_b32_e32 v9, v11
	v_lshlrev_b64 v[22:23], 2, v[6:7]
	v_lshlrev_b64 v[20:21], 3, v[10:11]
	v_add_nc_u32_e32 v10, -10, v8
	v_lshlrev_b64 v[18:19], 3, v[18:19]
	v_lshlrev_b64 v[24:25], 3, v[8:9]
	v_mov_b32_e32 v39, v11
	v_add_co_u32 v22, vcc_lo, s10, v22
	v_add_co_ci_u32_e64 v23, null, s11, v23, vcc_lo
	v_add_co_u32 v30, vcc_lo, s12, v20
	v_add_co_ci_u32_e64 v31, null, s13, v21, vcc_lo
	;; [unrolled: 2-line block ×4, first 2 shown]
	global_load_dword v7, v[22:23], off
	s_clause 0x1
	global_load_dwordx4 v[18:21], v[30:31], off offset:48
	global_load_dwordx4 v[22:25], v[30:31], off offset:32
	v_lshlrev_b64 v[26:27], 3, v[10:11]
	v_add_nc_u32_e32 v10, -9, v8
	v_add_nc_u32_e32 v6, 64, v6
	v_lshlrev_b64 v[36:37], 3, v[10:11]
	v_add_nc_u32_e32 v10, -8, v8
	v_add_co_u32 v40, vcc_lo, s12, v26
	v_add_co_ci_u32_e64 v41, null, s13, v27, vcc_lo
	v_lshlrev_b64 v[9:10], 3, v[10:11]
	s_clause 0x2
	global_load_dwordx4 v[26:29], v[30:31], off offset:16
	global_load_dwordx4 v[30:33], v[30:31], off
	global_load_dwordx2 v[44:45], v[34:35], off
	v_add_co_u32 v34, vcc_lo, s12, v36
	v_add_co_ci_u32_e64 v35, null, s13, v37, vcc_lo
	v_add_co_u32 v9, vcc_lo, s12, v9
	v_add_co_ci_u32_e64 v10, null, s13, v10, vcc_lo
	s_clause 0x2
	global_load_dwordx2 v[46:47], v[40:41], off
	global_load_dwordx2 v[48:49], v[34:35], off
	;; [unrolled: 1-line block ×3, first 2 shown]
	s_waitcnt vmcnt(8)
	v_subrev_nc_u32_e32 v7, s2, v7
	v_mul_lo_u32 v38, v7, 12
	v_lshlrev_b64 v[34:35], 3, v[38:39]
	v_add_nc_u32_e32 v10, 4, v38
	v_add_co_u32 v52, vcc_lo, s14, v34
	v_add_co_ci_u32_e64 v53, null, s15, v35, vcc_lo
	v_lshlrev_b64 v[39:40], 3, v[10:11]
	v_add_nc_u32_e32 v10, -7, v8
	global_load_dwordx4 v[34:37], v[52:53], off
	v_lshlrev_b64 v[54:55], 3, v[10:11]
	v_add_nc_u32_e32 v10, -6, v8
	v_add_co_u32 v56, vcc_lo, s14, v39
	v_add_co_ci_u32_e64 v57, null, s15, v40, vcc_lo
	v_lshlrev_b64 v[39:40], 3, v[10:11]
	v_add_nc_u32_e32 v10, -5, v8
	v_add_co_u32 v54, vcc_lo, s12, v54
	v_add_co_ci_u32_e64 v55, null, s13, v55, vcc_lo
	;; [unrolled: 4-line block ×4, first 2 shown]
	v_add_co_u32 v64, vcc_lo, s12, v39
	v_lshlrev_b64 v[62:63], 3, v[10:11]
	v_add_nc_u32_e32 v10, 8, v38
	v_add_co_ci_u32_e64 v65, null, s13, v40, vcc_lo
	global_load_dwordx4 v[38:41], v[52:53], off offset:16
	v_lshlrev_b64 v[9:10], 3, v[10:11]
	v_add_co_u32 v62, vcc_lo, s12, v62
	v_add_co_ci_u32_e64 v63, null, s13, v63, vcc_lo
	v_add_co_u32 v66, vcc_lo, s14, v9
	v_add_co_ci_u32_e64 v67, null, s15, v10, vcc_lo
	v_add_nc_u32_e32 v10, -3, v8
	s_waitcnt vmcnt(1)
	v_fmac_f32_e32 v17, v30, v34
	v_fmac_f32_e32 v16, v44, v34
	;; [unrolled: 1-line block ×4, first 2 shown]
	v_fma_f32 v7, -v31, v35, v17
	v_fma_f32 v9, -v45, v35, v16
	v_lshlrev_b64 v[16:17], 3, v[10:11]
	v_add_nc_u32_e32 v10, -14, v8
	v_fmac_f32_e32 v13, v30, v35
	v_fmac_f32_e32 v14, v44, v35
	;; [unrolled: 1-line block ×4, first 2 shown]
	v_lshlrev_b64 v[34:35], 3, v[10:11]
	v_fmac_f32_e32 v13, v33, v36
	v_fmac_f32_e32 v14, v47, v36
	v_add_co_u32 v16, vcc_lo, s12, v16
	v_add_co_ci_u32_e64 v17, null, s13, v17, vcc_lo
	v_add_co_u32 v44, vcc_lo, s12, v34
	v_fma_f32 v7, -v33, v37, v7
	v_fmac_f32_e32 v13, v32, v37
	global_load_dwordx4 v[30:33], v[56:57], off offset:16
	v_fma_f32 v12, -v47, v37, v9
	v_fmac_f32_e32 v14, v46, v37
	v_add_co_ci_u32_e64 v45, null, s13, v35, vcc_lo
	global_load_dwordx4 v[34:37], v[56:57], off
	s_clause 0x4
	global_load_dwordx2 v[52:53], v[54:55], off
	global_load_dwordx2 v[54:55], v[60:61], off
	;; [unrolled: 1-line block ×5, first 2 shown]
	v_add_nc_u32_e32 v10, -2, v8
	s_clause 0x1
	global_load_dwordx2 v[16:17], v[16:17], off
	global_load_dwordx2 v[44:45], v[44:45], off
	s_waitcnt vmcnt(9)
	v_fmac_f32_e32 v7, v26, v38
	v_fmac_f32_e32 v13, v27, v38
	v_lshlrev_b64 v[9:10], 3, v[10:11]
	v_fmac_f32_e32 v12, v48, v38
	v_fmac_f32_e32 v14, v49, v38
	v_fma_f32 v7, -v27, v39, v7
	v_fmac_f32_e32 v13, v26, v39
	v_add_co_u32 v46, vcc_lo, s12, v9
	v_fmac_f32_e32 v7, v28, v40
	v_fmac_f32_e32 v13, v29, v40
	v_add_co_ci_u32_e64 v47, null, s13, v10, vcc_lo
	v_add_nc_u32_e32 v10, -13, v8
	v_fma_f32 v9, -v49, v39, v12
	v_fmac_f32_e32 v14, v48, v39
	v_fma_f32 v7, -v29, v41, v7
	v_fmac_f32_e32 v13, v28, v41
	global_load_dwordx4 v[26:29], v[66:67], off
	v_lshlrev_b64 v[38:39], 3, v[10:11]
	v_add_nc_u32_e32 v10, -1, v8
	v_fmac_f32_e32 v9, v50, v40
	v_fmac_f32_e32 v14, v51, v40
	global_load_dwordx2 v[46:47], v[46:47], off
	v_add_co_u32 v48, vcc_lo, s12, v38
	v_fma_f32 v12, -v51, v41, v9
	v_fmac_f32_e32 v14, v50, v41
	v_lshlrev_b64 v[40:41], 3, v[10:11]
	v_add_nc_u32_e32 v10, -12, v8
	v_add_co_ci_u32_e64 v49, null, s13, v39, vcc_lo
	v_add_nc_u32_e32 v8, 0x600, v8
	v_lshlrev_b64 v[9:10], 3, v[10:11]
	v_add_co_u32 v50, vcc_lo, s12, v40
	v_add_co_ci_u32_e64 v51, null, s13, v41, vcc_lo
	v_add_co_u32 v9, vcc_lo, s12, v9
	v_add_co_ci_u32_e64 v10, null, s13, v10, vcc_lo
	global_load_dwordx4 v[38:41], v[66:67], off offset:16
	s_clause 0x3
	global_load_dwordx2 v[48:49], v[48:49], off
	global_load_dwordx2 v[50:51], v[50:51], off
	;; [unrolled: 1-line block ×4, first 2 shown]
	v_cmp_ge_i32_e32 vcc_lo, v6, v15
	s_or_b32 s0, vcc_lo, s0
	s_waitcnt vmcnt(14)
	v_fmac_f32_e32 v7, v22, v34
	v_fmac_f32_e32 v13, v23, v34
	s_waitcnt vmcnt(13)
	v_fmac_f32_e32 v12, v52, v34
	v_fmac_f32_e32 v14, v53, v34
	v_fma_f32 v7, -v23, v35, v7
	v_fmac_f32_e32 v13, v22, v35
	v_fma_f32 v12, -v53, v35, v12
	v_fmac_f32_e32 v14, v52, v35
	v_fmac_f32_e32 v7, v24, v36
	v_fmac_f32_e32 v13, v25, v36
	s_waitcnt vmcnt(12)
	v_fmac_f32_e32 v12, v54, v36
	v_fmac_f32_e32 v14, v55, v36
	v_fma_f32 v7, -v25, v37, v7
	v_fmac_f32_e32 v13, v24, v37
	v_fma_f32 v12, -v55, v37, v12
	v_fmac_f32_e32 v14, v54, v37
	;; [unrolled: 9-line block ×4, first 2 shown]
	s_waitcnt vmcnt(6)
	v_fmac_f32_e32 v7, v60, v26
	v_fmac_f32_e32 v13, v61, v26
	;; [unrolled: 1-line block ×4, first 2 shown]
	v_fma_f32 v7, -v61, v27, v7
	v_fmac_f32_e32 v13, v60, v27
	v_fma_f32 v12, -v17, v27, v12
	v_fmac_f32_e32 v14, v16, v27
	v_fmac_f32_e32 v7, v44, v28
	;; [unrolled: 1-line block ×3, first 2 shown]
	s_waitcnt vmcnt(5)
	v_fmac_f32_e32 v12, v46, v28
	v_fmac_f32_e32 v14, v47, v28
	v_fma_f32 v7, -v45, v29, v7
	v_fmac_f32_e32 v13, v44, v29
	v_fma_f32 v12, -v47, v29, v12
	v_fmac_f32_e32 v14, v46, v29
	s_waitcnt vmcnt(3)
	v_fmac_f32_e32 v7, v48, v38
	v_fmac_f32_e32 v13, v49, v38
	s_waitcnt vmcnt(2)
	v_fmac_f32_e32 v12, v50, v38
	v_fmac_f32_e32 v14, v51, v38
	v_fma_f32 v7, -v49, v39, v7
	v_fmac_f32_e32 v13, v48, v39
	v_fma_f32 v12, -v51, v39, v12
	v_fmac_f32_e32 v14, v50, v39
	s_waitcnt vmcnt(1)
	v_fmac_f32_e32 v7, v9, v40
	v_fmac_f32_e32 v13, v10, v40
	s_waitcnt vmcnt(0)
	v_fmac_f32_e32 v12, v42, v40
	v_fmac_f32_e32 v14, v43, v40
	v_fma_f32 v17, -v10, v41, v7
	v_fmac_f32_e32 v13, v9, v41
	v_fma_f32 v16, -v43, v41, v12
	v_fmac_f32_e32 v14, v42, v41
	s_andn2_b32 exec_lo, exec_lo, s0
	s_cbranch_execnz .LBB206_13
; %bb.14:
	s_or_b32 exec_lo, exec_lo, s0
.LBB206_15:
	s_or_b32 exec_lo, exec_lo, s1
.LBB206_16:
	v_mbcnt_lo_u32_b32 v6, -1, 0
	v_or_b32_e32 v7, 32, v6
	v_xor_b32_e32 v11, 16, v6
	v_xor_b32_e32 v15, 8, v6
	v_cmp_gt_i32_e32 vcc_lo, 32, v7
	v_cndmask_b32_e32 v7, v6, v7, vcc_lo
	v_cmp_gt_i32_e32 vcc_lo, 32, v11
	v_lshlrev_b32_e32 v7, 2, v7
	v_cndmask_b32_e32 v11, v6, v11, vcc_lo
	v_cmp_gt_i32_e32 vcc_lo, 32, v15
	ds_bpermute_b32 v8, v7, v17
	ds_bpermute_b32 v9, v7, v13
	;; [unrolled: 1-line block ×4, first 2 shown]
	v_lshlrev_b32_e32 v11, 2, v11
	v_cndmask_b32_e32 v15, v6, v15, vcc_lo
	v_lshlrev_b32_e32 v15, 2, v15
	s_waitcnt lgkmcnt(3)
	v_add_f32_e32 v8, v17, v8
	s_waitcnt lgkmcnt(2)
	v_add_f32_e32 v9, v13, v9
	;; [unrolled: 2-line block ×4, first 2 shown]
	ds_bpermute_b32 v12, v11, v8
	ds_bpermute_b32 v13, v11, v9
	;; [unrolled: 1-line block ×4, first 2 shown]
	s_waitcnt lgkmcnt(3)
	v_add_f32_e32 v8, v8, v12
	s_waitcnt lgkmcnt(2)
	v_add_f32_e32 v9, v9, v13
	;; [unrolled: 2-line block ×4, first 2 shown]
	ds_bpermute_b32 v11, v15, v8
	ds_bpermute_b32 v12, v15, v9
	;; [unrolled: 1-line block ×4, first 2 shown]
	v_xor_b32_e32 v15, 4, v6
	v_cmp_gt_i32_e32 vcc_lo, 32, v15
	v_cndmask_b32_e32 v15, v6, v15, vcc_lo
	v_lshlrev_b32_e32 v15, 2, v15
	s_waitcnt lgkmcnt(3)
	v_add_f32_e32 v8, v8, v11
	s_waitcnt lgkmcnt(2)
	v_add_f32_e32 v9, v9, v12
	;; [unrolled: 2-line block ×4, first 2 shown]
	ds_bpermute_b32 v11, v15, v8
	ds_bpermute_b32 v12, v15, v9
	;; [unrolled: 1-line block ×4, first 2 shown]
	v_xor_b32_e32 v15, 2, v6
	v_cmp_gt_i32_e32 vcc_lo, 32, v15
	v_cndmask_b32_e32 v15, v6, v15, vcc_lo
	v_lshlrev_b32_e32 v15, 2, v15
	s_waitcnt lgkmcnt(3)
	v_add_f32_e32 v8, v8, v11
	s_waitcnt lgkmcnt(2)
	v_add_f32_e32 v9, v9, v12
	;; [unrolled: 2-line block ×4, first 2 shown]
	ds_bpermute_b32 v11, v15, v8
	ds_bpermute_b32 v12, v15, v9
	;; [unrolled: 1-line block ×4, first 2 shown]
	v_xor_b32_e32 v15, 1, v6
	v_cmp_gt_i32_e32 vcc_lo, 32, v15
	v_cndmask_b32_e32 v6, v6, v15, vcc_lo
	v_cmp_eq_u32_e32 vcc_lo, 63, v0
	v_lshlrev_b32_e32 v15, 2, v6
	s_waitcnt lgkmcnt(3)
	v_add_f32_e32 v8, v8, v11
	s_waitcnt lgkmcnt(2)
	v_add_f32_e32 v9, v9, v12
	;; [unrolled: 2-line block ×4, first 2 shown]
	ds_bpermute_b32 v12, v15, v8
	ds_bpermute_b32 v13, v15, v9
	;; [unrolled: 1-line block ×4, first 2 shown]
	s_and_b32 exec_lo, exec_lo, vcc_lo
	s_cbranch_execz .LBB206_21
; %bb.17:
	s_load_dwordx2 s[2:3], s[4:5], 0x38
	v_cmp_eq_f32_e32 vcc_lo, 0, v3
	v_cmp_eq_f32_e64 s0, 0, v4
	s_waitcnt lgkmcnt(0)
	v_add_f32_e32 v0, v8, v12
	v_add_f32_e32 v8, v9, v13
	;; [unrolled: 1-line block ×4, first 2 shown]
	s_and_b32 s0, vcc_lo, s0
	s_and_saveexec_b32 s1, s0
	s_xor_b32 s0, exec_lo, s1
	s_cbranch_execz .LBB206_19
; %bb.18:
	v_lshlrev_b32_e32 v3, 1, v5
	v_mul_f32_e64 v9, v8, -v2
	v_mul_f32_e32 v10, v1, v8
	v_mul_f32_e64 v11, v7, -v2
	v_mul_f32_e32 v12, v1, v7
	v_ashrrev_i32_e32 v4, 31, v3
	v_fmac_f32_e32 v9, v1, v0
	v_fmac_f32_e32 v10, v2, v0
	;; [unrolled: 1-line block ×4, first 2 shown]
	v_lshlrev_b64 v[3:4], 3, v[3:4]
                                        ; implicit-def: $vgpr5
                                        ; implicit-def: $vgpr8
                                        ; implicit-def: $vgpr7
                                        ; implicit-def: $vgpr6
	v_add_co_u32 v0, vcc_lo, s2, v3
	v_add_co_ci_u32_e64 v1, null, s3, v4, vcc_lo
                                        ; implicit-def: $vgpr3_vgpr4
	global_store_dwordx4 v[0:1], v[9:12], off
                                        ; implicit-def: $vgpr1_vgpr2
                                        ; implicit-def: $vgpr0
.LBB206_19:
	s_andn2_saveexec_b32 s0, s0
	s_cbranch_execz .LBB206_21
; %bb.20:
	v_lshlrev_b32_e32 v9, 1, v5
	v_mul_f32_e64 v5, v8, -v2
	v_mul_f32_e32 v14, v1, v8
	v_mul_f32_e64 v8, v7, -v2
	v_mul_f32_e32 v16, v1, v7
	v_ashrrev_i32_e32 v10, 31, v9
	v_fmac_f32_e32 v5, v1, v0
	v_fmac_f32_e32 v14, v2, v0
	;; [unrolled: 1-line block ×4, first 2 shown]
	v_lshlrev_b64 v[9:10], 3, v[9:10]
	v_add_co_u32 v17, vcc_lo, s2, v9
	v_add_co_ci_u32_e64 v18, null, s3, v10, vcc_lo
	global_load_dwordx4 v[9:12], v[17:18], off
	s_waitcnt vmcnt(0)
	v_fmac_f32_e32 v5, v3, v9
	v_fmac_f32_e32 v14, v4, v9
	;; [unrolled: 1-line block ×4, first 2 shown]
	v_fma_f32 v13, -v4, v10, v5
	v_fmac_f32_e32 v14, v3, v10
	v_fma_f32 v15, -v4, v12, v8
	v_fmac_f32_e32 v16, v3, v12
	global_store_dwordx4 v[17:18], v[13:16], off
.LBB206_21:
	s_endpgm
	.section	.rodata,"a",@progbits
	.p2align	6, 0x0
	.amdhsa_kernel _ZN9rocsparseL19gebsrmvn_2xn_kernelILj128ELj12ELj64E21rocsparse_complex_numIfEEEvi20rocsparse_direction_NS_24const_host_device_scalarIT2_EEPKiS8_PKS5_SA_S6_PS5_21rocsparse_index_base_b
		.amdhsa_group_segment_fixed_size 0
		.amdhsa_private_segment_fixed_size 0
		.amdhsa_kernarg_size 72
		.amdhsa_user_sgpr_count 6
		.amdhsa_user_sgpr_private_segment_buffer 1
		.amdhsa_user_sgpr_dispatch_ptr 0
		.amdhsa_user_sgpr_queue_ptr 0
		.amdhsa_user_sgpr_kernarg_segment_ptr 1
		.amdhsa_user_sgpr_dispatch_id 0
		.amdhsa_user_sgpr_flat_scratch_init 0
		.amdhsa_user_sgpr_private_segment_size 0
		.amdhsa_wavefront_size32 1
		.amdhsa_uses_dynamic_stack 0
		.amdhsa_system_sgpr_private_segment_wavefront_offset 0
		.amdhsa_system_sgpr_workgroup_id_x 1
		.amdhsa_system_sgpr_workgroup_id_y 0
		.amdhsa_system_sgpr_workgroup_id_z 0
		.amdhsa_system_sgpr_workgroup_info 0
		.amdhsa_system_vgpr_workitem_id 0
		.amdhsa_next_free_vgpr 78
		.amdhsa_next_free_sgpr 16
		.amdhsa_reserve_vcc 1
		.amdhsa_reserve_flat_scratch 0
		.amdhsa_float_round_mode_32 0
		.amdhsa_float_round_mode_16_64 0
		.amdhsa_float_denorm_mode_32 3
		.amdhsa_float_denorm_mode_16_64 3
		.amdhsa_dx10_clamp 1
		.amdhsa_ieee_mode 1
		.amdhsa_fp16_overflow 0
		.amdhsa_workgroup_processor_mode 1
		.amdhsa_memory_ordered 1
		.amdhsa_forward_progress 1
		.amdhsa_shared_vgpr_count 0
		.amdhsa_exception_fp_ieee_invalid_op 0
		.amdhsa_exception_fp_denorm_src 0
		.amdhsa_exception_fp_ieee_div_zero 0
		.amdhsa_exception_fp_ieee_overflow 0
		.amdhsa_exception_fp_ieee_underflow 0
		.amdhsa_exception_fp_ieee_inexact 0
		.amdhsa_exception_int_div_zero 0
	.end_amdhsa_kernel
	.section	.text._ZN9rocsparseL19gebsrmvn_2xn_kernelILj128ELj12ELj64E21rocsparse_complex_numIfEEEvi20rocsparse_direction_NS_24const_host_device_scalarIT2_EEPKiS8_PKS5_SA_S6_PS5_21rocsparse_index_base_b,"axG",@progbits,_ZN9rocsparseL19gebsrmvn_2xn_kernelILj128ELj12ELj64E21rocsparse_complex_numIfEEEvi20rocsparse_direction_NS_24const_host_device_scalarIT2_EEPKiS8_PKS5_SA_S6_PS5_21rocsparse_index_base_b,comdat
.Lfunc_end206:
	.size	_ZN9rocsparseL19gebsrmvn_2xn_kernelILj128ELj12ELj64E21rocsparse_complex_numIfEEEvi20rocsparse_direction_NS_24const_host_device_scalarIT2_EEPKiS8_PKS5_SA_S6_PS5_21rocsparse_index_base_b, .Lfunc_end206-_ZN9rocsparseL19gebsrmvn_2xn_kernelILj128ELj12ELj64E21rocsparse_complex_numIfEEEvi20rocsparse_direction_NS_24const_host_device_scalarIT2_EEPKiS8_PKS5_SA_S6_PS5_21rocsparse_index_base_b
                                        ; -- End function
	.set _ZN9rocsparseL19gebsrmvn_2xn_kernelILj128ELj12ELj64E21rocsparse_complex_numIfEEEvi20rocsparse_direction_NS_24const_host_device_scalarIT2_EEPKiS8_PKS5_SA_S6_PS5_21rocsparse_index_base_b.num_vgpr, 78
	.set _ZN9rocsparseL19gebsrmvn_2xn_kernelILj128ELj12ELj64E21rocsparse_complex_numIfEEEvi20rocsparse_direction_NS_24const_host_device_scalarIT2_EEPKiS8_PKS5_SA_S6_PS5_21rocsparse_index_base_b.num_agpr, 0
	.set _ZN9rocsparseL19gebsrmvn_2xn_kernelILj128ELj12ELj64E21rocsparse_complex_numIfEEEvi20rocsparse_direction_NS_24const_host_device_scalarIT2_EEPKiS8_PKS5_SA_S6_PS5_21rocsparse_index_base_b.numbered_sgpr, 16
	.set _ZN9rocsparseL19gebsrmvn_2xn_kernelILj128ELj12ELj64E21rocsparse_complex_numIfEEEvi20rocsparse_direction_NS_24const_host_device_scalarIT2_EEPKiS8_PKS5_SA_S6_PS5_21rocsparse_index_base_b.num_named_barrier, 0
	.set _ZN9rocsparseL19gebsrmvn_2xn_kernelILj128ELj12ELj64E21rocsparse_complex_numIfEEEvi20rocsparse_direction_NS_24const_host_device_scalarIT2_EEPKiS8_PKS5_SA_S6_PS5_21rocsparse_index_base_b.private_seg_size, 0
	.set _ZN9rocsparseL19gebsrmvn_2xn_kernelILj128ELj12ELj64E21rocsparse_complex_numIfEEEvi20rocsparse_direction_NS_24const_host_device_scalarIT2_EEPKiS8_PKS5_SA_S6_PS5_21rocsparse_index_base_b.uses_vcc, 1
	.set _ZN9rocsparseL19gebsrmvn_2xn_kernelILj128ELj12ELj64E21rocsparse_complex_numIfEEEvi20rocsparse_direction_NS_24const_host_device_scalarIT2_EEPKiS8_PKS5_SA_S6_PS5_21rocsparse_index_base_b.uses_flat_scratch, 0
	.set _ZN9rocsparseL19gebsrmvn_2xn_kernelILj128ELj12ELj64E21rocsparse_complex_numIfEEEvi20rocsparse_direction_NS_24const_host_device_scalarIT2_EEPKiS8_PKS5_SA_S6_PS5_21rocsparse_index_base_b.has_dyn_sized_stack, 0
	.set _ZN9rocsparseL19gebsrmvn_2xn_kernelILj128ELj12ELj64E21rocsparse_complex_numIfEEEvi20rocsparse_direction_NS_24const_host_device_scalarIT2_EEPKiS8_PKS5_SA_S6_PS5_21rocsparse_index_base_b.has_recursion, 0
	.set _ZN9rocsparseL19gebsrmvn_2xn_kernelILj128ELj12ELj64E21rocsparse_complex_numIfEEEvi20rocsparse_direction_NS_24const_host_device_scalarIT2_EEPKiS8_PKS5_SA_S6_PS5_21rocsparse_index_base_b.has_indirect_call, 0
	.section	.AMDGPU.csdata,"",@progbits
; Kernel info:
; codeLenInByte = 3676
; TotalNumSgprs: 18
; NumVgprs: 78
; ScratchSize: 0
; MemoryBound: 0
; FloatMode: 240
; IeeeMode: 1
; LDSByteSize: 0 bytes/workgroup (compile time only)
; SGPRBlocks: 0
; VGPRBlocks: 9
; NumSGPRsForWavesPerEU: 18
; NumVGPRsForWavesPerEU: 78
; Occupancy: 12
; WaveLimiterHint : 1
; COMPUTE_PGM_RSRC2:SCRATCH_EN: 0
; COMPUTE_PGM_RSRC2:USER_SGPR: 6
; COMPUTE_PGM_RSRC2:TRAP_HANDLER: 0
; COMPUTE_PGM_RSRC2:TGID_X_EN: 1
; COMPUTE_PGM_RSRC2:TGID_Y_EN: 0
; COMPUTE_PGM_RSRC2:TGID_Z_EN: 0
; COMPUTE_PGM_RSRC2:TIDIG_COMP_CNT: 0
	.section	.text._ZN9rocsparseL19gebsrmvn_2xn_kernelILj128ELj13ELj4E21rocsparse_complex_numIfEEEvi20rocsparse_direction_NS_24const_host_device_scalarIT2_EEPKiS8_PKS5_SA_S6_PS5_21rocsparse_index_base_b,"axG",@progbits,_ZN9rocsparseL19gebsrmvn_2xn_kernelILj128ELj13ELj4E21rocsparse_complex_numIfEEEvi20rocsparse_direction_NS_24const_host_device_scalarIT2_EEPKiS8_PKS5_SA_S6_PS5_21rocsparse_index_base_b,comdat
	.globl	_ZN9rocsparseL19gebsrmvn_2xn_kernelILj128ELj13ELj4E21rocsparse_complex_numIfEEEvi20rocsparse_direction_NS_24const_host_device_scalarIT2_EEPKiS8_PKS5_SA_S6_PS5_21rocsparse_index_base_b ; -- Begin function _ZN9rocsparseL19gebsrmvn_2xn_kernelILj128ELj13ELj4E21rocsparse_complex_numIfEEEvi20rocsparse_direction_NS_24const_host_device_scalarIT2_EEPKiS8_PKS5_SA_S6_PS5_21rocsparse_index_base_b
	.p2align	8
	.type	_ZN9rocsparseL19gebsrmvn_2xn_kernelILj128ELj13ELj4E21rocsparse_complex_numIfEEEvi20rocsparse_direction_NS_24const_host_device_scalarIT2_EEPKiS8_PKS5_SA_S6_PS5_21rocsparse_index_base_b,@function
_ZN9rocsparseL19gebsrmvn_2xn_kernelILj128ELj13ELj4E21rocsparse_complex_numIfEEEvi20rocsparse_direction_NS_24const_host_device_scalarIT2_EEPKiS8_PKS5_SA_S6_PS5_21rocsparse_index_base_b: ; @_ZN9rocsparseL19gebsrmvn_2xn_kernelILj128ELj13ELj4E21rocsparse_complex_numIfEEEvi20rocsparse_direction_NS_24const_host_device_scalarIT2_EEPKiS8_PKS5_SA_S6_PS5_21rocsparse_index_base_b
; %bb.0:
	s_clause 0x2
	s_load_dwordx2 s[2:3], s[4:5], 0x40
	s_load_dwordx2 s[0:1], s[4:5], 0x8
	;; [unrolled: 1-line block ×3, first 2 shown]
	s_add_u32 s7, s4, 8
	s_addc_u32 s10, s5, 0
	s_add_u32 s11, s4, 48
	s_addc_u32 s12, s5, 0
	s_waitcnt lgkmcnt(0)
	s_bitcmp1_b32 s3, 0
	s_cselect_b32 s0, s7, s0
	s_cselect_b32 s1, s10, s1
	v_mov_b32_e32 v1, s0
	v_mov_b32_e32 v2, s1
	s_cselect_b32 s0, s11, s8
	s_cselect_b32 s1, s12, s9
	v_mov_b32_e32 v3, s0
	v_mov_b32_e32 v4, s1
	flat_load_dwordx2 v[1:2], v[1:2]
	flat_load_dwordx2 v[3:4], v[3:4]
	s_waitcnt vmcnt(1) lgkmcnt(1)
	v_cmp_eq_f32_e32 vcc_lo, 0, v1
	v_cmp_eq_f32_e64 s0, 0, v2
	s_and_b32 s3, vcc_lo, s0
	s_mov_b32 s0, -1
	s_and_saveexec_b32 s1, s3
	s_cbranch_execz .LBB207_2
; %bb.1:
	s_waitcnt vmcnt(0) lgkmcnt(0)
	v_cmp_neq_f32_e32 vcc_lo, 1.0, v3
	v_cmp_neq_f32_e64 s0, 0, v4
	s_or_b32 s0, vcc_lo, s0
	s_orn2_b32 s0, s0, exec_lo
.LBB207_2:
	s_or_b32 exec_lo, exec_lo, s1
	s_and_saveexec_b32 s1, s0
	s_cbranch_execz .LBB207_25
; %bb.3:
	s_load_dwordx2 s[0:1], s[4:5], 0x0
	v_lshrrev_b32_e32 v5, 2, v0
	v_lshl_or_b32 v5, s6, 5, v5
	s_waitcnt lgkmcnt(0)
	v_cmp_gt_i32_e32 vcc_lo, s0, v5
	s_and_b32 exec_lo, exec_lo, vcc_lo
	s_cbranch_execz .LBB207_25
; %bb.4:
	s_load_dwordx8 s[8:15], s[4:5], 0x10
	v_ashrrev_i32_e32 v6, 31, v5
	v_and_b32_e32 v0, 3, v0
	s_cmp_lg_u32 s1, 0
	v_lshlrev_b64 v[6:7], 2, v[5:6]
	s_waitcnt lgkmcnt(0)
	v_add_co_u32 v6, vcc_lo, s8, v6
	v_add_co_ci_u32_e64 v7, null, s9, v7, vcc_lo
	global_load_dwordx2 v[7:8], v[6:7], off
	s_waitcnt vmcnt(0)
	v_subrev_nc_u32_e32 v6, s2, v7
	v_subrev_nc_u32_e32 v16, s2, v8
	v_add_nc_u32_e32 v6, v6, v0
	v_cmp_lt_i32_e64 s0, v6, v16
	s_cbranch_scc0 .LBB207_12
; %bb.5:
	v_mov_b32_e32 v17, 0
	v_mov_b32_e32 v19, 0
	;; [unrolled: 1-line block ×4, first 2 shown]
	s_and_saveexec_b32 s1, s0
	s_cbranch_execz .LBB207_14
; %bb.6:
	v_mul_lo_u32 v7, v7, 26
	v_mul_lo_u32 v12, v6, 26
	s_mul_i32 s3, s2, 26
	v_mov_b32_e32 v8, 0
	v_mov_b32_e32 v9, v6
	;; [unrolled: 1-line block ×5, first 2 shown]
	v_mad_u32_u24 v7, v0, 26, v7
	v_mov_b32_e32 v18, 0
	v_subrev_nc_u32_e32 v13, s3, v7
	s_mov_b32 s3, 0
	s_branch .LBB207_8
.LBB207_7:                              ;   in Loop: Header=BB207_8 Depth=1
	v_add_nc_u32_e32 v9, 4, v9
	v_add_nc_u32_e32 v12, 0x68, v12
	;; [unrolled: 1-line block ×3, first 2 shown]
	v_cmp_ge_i32_e32 vcc_lo, v9, v16
	s_or_b32 s3, vcc_lo, s3
	s_andn2_b32 exec_lo, exec_lo, s3
	s_cbranch_execz .LBB207_13
.LBB207_8:                              ; =>This Loop Header: Depth=1
                                        ;     Child Loop BB207_10 Depth 2
	v_ashrrev_i32_e32 v10, 31, v9
	v_mov_b32_e32 v14, v17
	v_mov_b32_e32 v21, v19
	;; [unrolled: 1-line block ×4, first 2 shown]
	v_lshlrev_b64 v[10:11], 2, v[9:10]
	s_mov_b32 s6, 0
	v_add_co_u32 v10, vcc_lo, s10, v10
	v_add_co_ci_u32_e64 v11, null, s11, v11, vcc_lo
	global_load_dword v7, v[10:11], off
	s_waitcnt vmcnt(0)
	v_subrev_nc_u32_e32 v7, s2, v7
	v_mul_lo_u32 v10, v7, 13
	s_branch .LBB207_10
.LBB207_9:                              ;   in Loop: Header=BB207_8 Depth=1
                                        ; implicit-def: $vgpr15
                                        ; implicit-def: $vgpr22
                                        ; implicit-def: $vgpr21
                                        ; implicit-def: $vgpr14
                                        ; implicit-def: $sgpr6
                                        ; implicit-def: $vgpr10
	s_branch .LBB207_7
.LBB207_10:                             ;   Parent Loop BB207_8 Depth=1
                                        ; =>  This Inner Loop Header: Depth=2
	v_add_nc_u32_e32 v7, s6, v13
	v_mov_b32_e32 v11, v8
	s_cmp_eq_u32 s6, 24
	v_lshlrev_b64 v[17:18], 3, v[7:8]
	v_lshlrev_b64 v[19:20], 3, v[10:11]
	v_add_co_u32 v17, vcc_lo, s12, v17
	v_add_co_ci_u32_e64 v18, null, s13, v18, vcc_lo
	v_add_co_u32 v19, vcc_lo, s14, v19
	v_add_co_ci_u32_e64 v20, null, s15, v20, vcc_lo
	global_load_dwordx4 v[23:26], v[17:18], off
	global_load_dwordx2 v[27:28], v[19:20], off
	s_waitcnt vmcnt(0)
	v_fmac_f32_e32 v14, v24, v27
	v_fmac_f32_e32 v15, v26, v27
	;; [unrolled: 1-line block ×4, first 2 shown]
	v_mov_b32_e32 v17, v14
	v_mov_b32_e32 v18, v15
	v_fma_f32 v19, -v24, v28, v21
	v_fma_f32 v20, -v26, v28, v22
	v_fmac_f32_e32 v17, v23, v28
	v_fmac_f32_e32 v18, v25, v28
	s_cbranch_scc1 .LBB207_9
; %bb.11:                               ;   in Loop: Header=BB207_10 Depth=2
	v_add_nc_u32_e32 v11, s6, v12
	s_add_i32 s6, s6, 8
	v_add_nc_u32_e32 v7, 2, v11
	v_lshlrev_b64 v[14:15], 3, v[7:8]
	v_add_nc_u32_e32 v7, 1, v10
	v_lshlrev_b64 v[21:22], 3, v[7:8]
	v_add_nc_u32_e32 v7, 4, v11
	v_add_co_u32 v14, vcc_lo, s12, v14
	v_add_co_ci_u32_e64 v15, null, s13, v15, vcc_lo
	v_lshlrev_b64 v[25:26], 3, v[7:8]
	v_add_co_u32 v27, vcc_lo, s14, v21
	v_add_co_ci_u32_e64 v28, null, s15, v22, vcc_lo
	v_add_nc_u32_e32 v7, 2, v10
	v_add_co_u32 v25, vcc_lo, s12, v25
	v_add_co_ci_u32_e64 v26, null, s13, v26, vcc_lo
	global_load_dwordx4 v[21:24], v[14:15], off
	global_load_dwordx2 v[33:34], v[27:28], off
	global_load_dwordx4 v[25:28], v[25:26], off
	v_lshlrev_b64 v[14:15], 3, v[7:8]
	v_add_nc_u32_e32 v7, 6, v11
	v_lshlrev_b64 v[29:30], 3, v[7:8]
	v_add_nc_u32_e32 v7, 3, v10
	v_add_co_u32 v14, vcc_lo, s14, v14
	v_add_co_ci_u32_e64 v15, null, s15, v15, vcc_lo
	v_lshlrev_b64 v[31:32], 3, v[7:8]
	v_add_nc_u32_e32 v10, 4, v10
	global_load_dwordx2 v[35:36], v[14:15], off
	v_add_co_u32 v14, vcc_lo, s12, v29
	v_add_co_ci_u32_e64 v15, null, s13, v30, vcc_lo
	v_add_co_u32 v37, vcc_lo, s14, v31
	v_add_co_ci_u32_e64 v38, null, s15, v32, vcc_lo
	global_load_dwordx4 v[29:32], v[14:15], off
	global_load_dwordx2 v[37:38], v[37:38], off
	s_waitcnt vmcnt(4)
	v_fma_f32 v7, v21, v33, v19
	v_fma_f32 v14, v22, v33, v17
	;; [unrolled: 1-line block ×4, first 2 shown]
	v_fma_f32 v7, -v22, v34, v7
	v_fmac_f32_e32 v14, v21, v34
	v_fma_f32 v11, -v24, v34, v11
	v_fmac_f32_e32 v15, v23, v34
	s_waitcnt vmcnt(2)
	v_fmac_f32_e32 v7, v25, v35
	v_fmac_f32_e32 v14, v26, v35
	;; [unrolled: 1-line block ×4, first 2 shown]
	v_fma_f32 v7, -v26, v36, v7
	v_fmac_f32_e32 v14, v25, v36
	v_fma_f32 v11, -v28, v36, v11
	v_fmac_f32_e32 v15, v27, v36
	s_waitcnt vmcnt(0)
	v_fmac_f32_e32 v7, v29, v37
	v_fmac_f32_e32 v14, v30, v37
	v_fmac_f32_e32 v11, v31, v37
	v_fmac_f32_e32 v15, v32, v37
	v_fma_f32 v21, -v30, v38, v7
	v_fmac_f32_e32 v14, v29, v38
	v_fma_f32 v22, -v32, v38, v11
	v_fmac_f32_e32 v15, v31, v38
	s_cbranch_execnz .LBB207_10
	s_branch .LBB207_7
.LBB207_12:
                                        ; implicit-def: $vgpr17
                                        ; implicit-def: $vgpr19
                                        ; implicit-def: $vgpr20
                                        ; implicit-def: $vgpr18
	s_branch .LBB207_15
.LBB207_13:
	s_or_b32 exec_lo, exec_lo, s3
.LBB207_14:
	s_or_b32 exec_lo, exec_lo, s1
	s_cbranch_execnz .LBB207_20
.LBB207_15:
	v_mov_b32_e32 v17, 0
	v_mov_b32_e32 v19, 0
	v_mov_b32_e32 v20, 0
	v_mov_b32_e32 v18, 0
	s_and_saveexec_b32 s1, s0
	s_cbranch_execz .LBB207_19
; %bb.16:
	v_mad_u64_u32 v[8:9], null, v6, 26, 25
	v_mov_b32_e32 v11, 0
	v_mov_b32_e32 v17, 0
	;; [unrolled: 1-line block ×5, first 2 shown]
	s_mov_b32 s0, 0
.LBB207_17:                             ; =>This Inner Loop Header: Depth=1
	v_ashrrev_i32_e32 v7, 31, v6
	v_subrev_nc_u32_e32 v10, 25, v8
	v_add_nc_u32_e32 v14, -12, v8
	v_mov_b32_e32 v15, v11
	v_mov_b32_e32 v9, v11
	v_lshlrev_b64 v[21:22], 2, v[6:7]
	v_lshlrev_b64 v[23:24], 3, v[10:11]
	v_mov_b32_e32 v13, v11
	v_lshlrev_b64 v[14:15], 3, v[14:15]
	v_lshlrev_b64 v[9:10], 3, v[8:9]
	v_add_nc_u32_e32 v6, 4, v6
	v_add_co_u32 v21, vcc_lo, s10, v21
	v_add_co_ci_u32_e64 v22, null, s11, v22, vcc_lo
	v_add_co_u32 v23, vcc_lo, s12, v23
	v_add_co_ci_u32_e64 v24, null, s13, v24, vcc_lo
	global_load_dword v7, v[21:22], off
	v_add_co_u32 v14, vcc_lo, s12, v14
	v_add_co_ci_u32_e64 v15, null, s13, v15, vcc_lo
	v_add_co_u32 v25, vcc_lo, s12, v9
	v_add_co_ci_u32_e64 v26, null, s13, v10, vcc_lo
	s_waitcnt vmcnt(0)
	v_subrev_nc_u32_e32 v7, s2, v7
	v_mul_lo_u32 v12, v7, 13
	v_add_nc_u32_e32 v10, 1, v12
	v_lshlrev_b64 v[21:22], 3, v[12:13]
	v_lshlrev_b64 v[27:28], 3, v[10:11]
	v_add_nc_u32_e32 v10, -11, v8
	v_add_co_u32 v21, vcc_lo, s14, v21
	v_add_co_ci_u32_e64 v22, null, s15, v22, vcc_lo
	v_lshlrev_b64 v[29:30], 3, v[10:11]
	v_subrev_nc_u32_e32 v10, 23, v8
	v_add_co_u32 v27, vcc_lo, s14, v27
	v_add_co_ci_u32_e64 v28, null, s15, v28, vcc_lo
	v_lshlrev_b64 v[31:32], 3, v[10:11]
	v_add_nc_u32_e32 v10, 2, v12
	v_add_co_u32 v29, vcc_lo, s12, v29
	v_add_co_ci_u32_e64 v30, null, s13, v30, vcc_lo
	v_lshlrev_b64 v[33:34], 3, v[10:11]
	v_add_nc_u32_e32 v10, -10, v8
	v_add_co_u32 v31, vcc_lo, s12, v31
	v_add_co_ci_u32_e64 v32, null, s13, v32, vcc_lo
	v_lshlrev_b64 v[35:36], 3, v[10:11]
	v_subrev_nc_u32_e32 v10, 22, v8
	v_add_co_u32 v33, vcc_lo, s14, v33
	v_add_co_ci_u32_e64 v34, null, s15, v34, vcc_lo
	v_lshlrev_b64 v[37:38], 3, v[10:11]
	v_add_nc_u32_e32 v10, 3, v12
	v_add_co_u32 v35, vcc_lo, s12, v35
	v_add_co_ci_u32_e64 v36, null, s13, v36, vcc_lo
	;; [unrolled: 12-line block ×6, first 2 shown]
	v_lshlrev_b64 v[9:10], 3, v[10:11]
	v_add_co_u32 v61, vcc_lo, s12, v61
	v_add_co_ci_u32_e64 v62, null, s13, v62, vcc_lo
	v_add_co_u32 v63, vcc_lo, s14, v9
	v_add_co_ci_u32_e64 v64, null, s15, v10, vcc_lo
	global_load_dwordx2 v[9:10], v[14:15], off
	global_load_dwordx2 v[13:14], v[21:22], off
	s_waitcnt vmcnt(0)
	v_fmac_f32_e32 v20, v9, v13
	v_fmac_f32_e32 v18, v10, v13
	v_fma_f32 v7, -v10, v14, v20
	global_load_dwordx4 v[20:23], v[23:24], off
	global_load_dwordx2 v[27:28], v[27:28], off
	s_clause 0x1
	global_load_dwordx2 v[29:30], v[29:30], off
	global_load_dwordx2 v[31:32], v[31:32], off
	v_fmac_f32_e32 v18, v9, v14
	v_add_nc_u32_e32 v10, -5, v8
	s_waitcnt vmcnt(3)
	v_fmac_f32_e32 v19, v20, v13
	v_fmac_f32_e32 v17, v21, v13
	s_waitcnt vmcnt(1)
	v_fmac_f32_e32 v7, v29, v27
	v_fmac_f32_e32 v18, v30, v27
	v_fma_f32 v9, -v21, v14, v19
	v_fmac_f32_e32 v17, v20, v14
	v_fma_f32 v7, -v30, v28, v7
	v_fmac_f32_e32 v18, v29, v28
	global_load_dwordx2 v[29:30], v[33:34], off
	s_clause 0x1
	global_load_dwordx2 v[33:34], v[35:36], off
	global_load_dwordx2 v[35:36], v[37:38], off
	global_load_dwordx2 v[37:38], v[39:40], off
	s_clause 0x1
	global_load_dwordx2 v[39:40], v[41:42], off
	global_load_dwordx2 v[41:42], v[43:44], off
	;; [unrolled: 4-line block ×3, first 2 shown]
	v_lshlrev_b64 v[13:14], 3, v[10:11]
	v_subrev_nc_u32_e32 v10, 17, v8
	v_fmac_f32_e32 v17, v23, v27
	v_fmac_f32_e32 v9, v22, v27
	v_lshlrev_b64 v[19:20], 3, v[10:11]
	v_add_nc_u32_e32 v10, 8, v12
	v_fmac_f32_e32 v17, v22, v28
	v_fma_f32 v15, -v23, v28, v9
	v_add_co_u32 v13, vcc_lo, s12, v13
	v_lshlrev_b64 v[21:22], 3, v[10:11]
	v_add_nc_u32_e32 v10, -4, v8
	v_add_co_ci_u32_e64 v14, null, s13, v14, vcc_lo
	v_add_co_u32 v19, vcc_lo, s12, v19
	v_lshlrev_b64 v[23:24], 3, v[10:11]
	v_add_nc_u32_e32 v10, -16, v8
	v_add_co_ci_u32_e64 v20, null, s13, v20, vcc_lo
	v_add_co_u32 v21, vcc_lo, s14, v21
	v_lshlrev_b64 v[9:10], 3, v[10:11]
	v_add_co_ci_u32_e64 v22, null, s15, v22, vcc_lo
	v_add_co_u32 v23, vcc_lo, s12, v23
	v_add_co_ci_u32_e64 v24, null, s13, v24, vcc_lo
	v_add_co_u32 v27, vcc_lo, s12, v9
	v_add_co_ci_u32_e64 v28, null, s13, v10, vcc_lo
	v_add_nc_u32_e32 v10, 9, v12
	s_waitcnt vmcnt(8)
	v_fmac_f32_e32 v15, v31, v29
	v_fmac_f32_e32 v17, v32, v29
	s_waitcnt vmcnt(7)
	v_fmac_f32_e32 v7, v33, v29
	v_fmac_f32_e32 v18, v34, v29
	v_fma_f32 v15, -v32, v30, v15
	v_fmac_f32_e32 v17, v31, v30
	v_lshlrev_b64 v[31:32], 3, v[10:11]
	v_add_nc_u32_e32 v10, -3, v8
	v_fma_f32 v7, -v34, v30, v7
	v_fmac_f32_e32 v18, v33, v30
	s_waitcnt vmcnt(5)
	v_fmac_f32_e32 v15, v35, v37
	v_fmac_f32_e32 v17, v36, v37
	v_lshlrev_b64 v[29:30], 3, v[10:11]
	v_add_nc_u32_e32 v10, -15, v8
	v_add_co_u32 v31, vcc_lo, s14, v31
	v_add_co_ci_u32_e64 v32, null, s15, v32, vcc_lo
	v_lshlrev_b64 v[9:10], 3, v[10:11]
	v_add_co_u32 v29, vcc_lo, s12, v29
	v_add_co_ci_u32_e64 v30, null, s13, v30, vcc_lo
	v_fma_f32 v15, -v36, v38, v15
	v_add_co_u32 v33, vcc_lo, s12, v9
	v_add_co_ci_u32_e64 v34, null, s13, v10, vcc_lo
	v_add_nc_u32_e32 v10, 10, v12
	v_fmac_f32_e32 v17, v35, v38
	s_waitcnt vmcnt(4)
	v_fmac_f32_e32 v7, v39, v37
	v_fmac_f32_e32 v18, v40, v37
	s_waitcnt vmcnt(2)
	v_fmac_f32_e32 v15, v41, v43
	v_lshlrev_b64 v[35:36], 3, v[10:11]
	v_add_nc_u32_e32 v10, -2, v8
	v_fma_f32 v7, -v40, v38, v7
	v_fmac_f32_e32 v18, v39, v38
	v_fmac_f32_e32 v17, v42, v43
	v_fma_f32 v65, -v42, v44, v15
	v_lshlrev_b64 v[37:38], 3, v[10:11]
	v_add_nc_u32_e32 v10, -14, v8
	v_add_co_u32 v35, vcc_lo, s14, v35
	v_add_co_ci_u32_e64 v36, null, s15, v36, vcc_lo
	v_lshlrev_b64 v[9:10], 3, v[10:11]
	v_add_co_u32 v37, vcc_lo, s12, v37
	v_add_co_ci_u32_e64 v38, null, s13, v38, vcc_lo
	v_fmac_f32_e32 v17, v41, v44
	v_add_co_u32 v39, vcc_lo, s12, v9
	v_add_co_ci_u32_e64 v40, null, s13, v10, vcc_lo
	v_add_nc_u32_e32 v10, 11, v12
	s_waitcnt vmcnt(1)
	v_fmac_f32_e32 v7, v45, v43
	v_fmac_f32_e32 v18, v46, v43
	v_lshlrev_b64 v[41:42], 3, v[10:11]
	v_add_nc_u32_e32 v10, -1, v8
	v_fma_f32 v7, -v46, v44, v7
	v_fmac_f32_e32 v18, v45, v44
	v_lshlrev_b64 v[43:44], 3, v[10:11]
	v_add_nc_u32_e32 v10, -13, v8
	v_add_co_u32 v41, vcc_lo, s14, v41
	v_add_co_ci_u32_e64 v42, null, s15, v42, vcc_lo
	v_lshlrev_b64 v[45:46], 3, v[10:11]
	v_add_nc_u32_e32 v10, 12, v12
	v_add_co_u32 v43, vcc_lo, s12, v43
	v_add_co_ci_u32_e64 v44, null, s13, v44, vcc_lo
	v_lshlrev_b64 v[9:10], 3, v[10:11]
	v_add_co_u32 v45, vcc_lo, s12, v45
	v_add_co_ci_u32_e64 v46, null, s13, v46, vcc_lo
	v_add_nc_u32_e32 v8, 0x68, v8
	v_add_co_u32 v9, vcc_lo, s14, v9
	v_add_co_ci_u32_e64 v10, null, s15, v10, vcc_lo
	global_load_dwordx2 v[49:50], v[51:52], off
	s_clause 0x1
	global_load_dwordx2 v[51:52], v[53:54], off
	global_load_dwordx2 v[53:54], v[55:56], off
	global_load_dwordx2 v[55:56], v[57:58], off
	s_clause 0x1
	global_load_dwordx2 v[57:58], v[59:60], off
	global_load_dwordx2 v[59:60], v[61:62], off
	;; [unrolled: 4-line block ×7, first 2 shown]
	global_load_dwordx2 v[43:44], v[45:46], off
	global_load_dwordx2 v[9:10], v[9:10], off
	v_cmp_ge_i32_e32 vcc_lo, v6, v16
	s_or_b32 s0, vcc_lo, s0
	s_waitcnt vmcnt(22)
	v_fmac_f32_e32 v65, v47, v49
	v_fmac_f32_e32 v17, v48, v49
	s_waitcnt vmcnt(21)
	v_fmac_f32_e32 v7, v51, v49
	v_fmac_f32_e32 v18, v52, v49
	v_fma_f32 v45, -v48, v50, v65
	v_fmac_f32_e32 v17, v47, v50
	v_fma_f32 v7, -v52, v50, v7
	v_fmac_f32_e32 v18, v51, v50
	s_waitcnt vmcnt(19)
	v_fmac_f32_e32 v45, v53, v55
	v_fmac_f32_e32 v17, v54, v55
	s_waitcnt vmcnt(18)
	v_fmac_f32_e32 v7, v57, v55
	v_fmac_f32_e32 v18, v58, v55
	v_fma_f32 v45, -v54, v56, v45
	v_fmac_f32_e32 v17, v53, v56
	v_fma_f32 v7, -v58, v56, v7
	v_fmac_f32_e32 v18, v57, v56
	;; [unrolled: 10-line block ×7, first 2 shown]
	s_waitcnt vmcnt(0)
	v_fmac_f32_e32 v12, v43, v9
	v_fmac_f32_e32 v17, v44, v9
	;; [unrolled: 1-line block ×4, first 2 shown]
	v_fma_f32 v19, -v44, v10, v12
	v_fmac_f32_e32 v17, v43, v10
	v_fma_f32 v20, -v26, v10, v7
	v_fmac_f32_e32 v18, v25, v10
	s_andn2_b32 exec_lo, exec_lo, s0
	s_cbranch_execnz .LBB207_17
; %bb.18:
	s_or_b32 exec_lo, exec_lo, s0
.LBB207_19:
	s_or_b32 exec_lo, exec_lo, s1
.LBB207_20:
	v_mbcnt_lo_u32_b32 v6, -1, 0
	v_xor_b32_e32 v7, 2, v6
	v_xor_b32_e32 v11, 1, v6
	v_cmp_gt_i32_e32 vcc_lo, 32, v7
	v_cndmask_b32_e32 v7, v6, v7, vcc_lo
	v_cmp_gt_i32_e32 vcc_lo, 32, v11
	v_lshlrev_b32_e32 v7, 2, v7
	v_cndmask_b32_e32 v6, v6, v11, vcc_lo
	v_cmp_eq_u32_e32 vcc_lo, 3, v0
	ds_bpermute_b32 v8, v7, v19
	ds_bpermute_b32 v9, v7, v17
	;; [unrolled: 1-line block ×4, first 2 shown]
	v_lshlrev_b32_e32 v11, 2, v6
	s_waitcnt lgkmcnt(3)
	v_add_f32_e32 v8, v19, v8
	s_waitcnt lgkmcnt(2)
	v_add_f32_e32 v9, v17, v9
	;; [unrolled: 2-line block ×4, first 2 shown]
	ds_bpermute_b32 v12, v11, v8
	ds_bpermute_b32 v13, v11, v9
	;; [unrolled: 1-line block ×4, first 2 shown]
	s_and_b32 exec_lo, exec_lo, vcc_lo
	s_cbranch_execz .LBB207_25
; %bb.21:
	s_load_dwordx2 s[2:3], s[4:5], 0x38
	v_cmp_eq_f32_e32 vcc_lo, 0, v3
	v_cmp_eq_f32_e64 s0, 0, v4
	s_waitcnt lgkmcnt(0)
	v_add_f32_e32 v0, v8, v12
	v_add_f32_e32 v8, v9, v13
	;; [unrolled: 1-line block ×4, first 2 shown]
	s_and_b32 s0, vcc_lo, s0
	s_and_saveexec_b32 s1, s0
	s_xor_b32 s0, exec_lo, s1
	s_cbranch_execz .LBB207_23
; %bb.22:
	v_lshlrev_b32_e32 v3, 1, v5
	v_mul_f32_e64 v9, v8, -v2
	v_mul_f32_e32 v10, v1, v8
	v_mul_f32_e64 v11, v7, -v2
	v_mul_f32_e32 v12, v1, v7
	v_ashrrev_i32_e32 v4, 31, v3
	v_fmac_f32_e32 v9, v1, v0
	v_fmac_f32_e32 v10, v2, v0
	v_fmac_f32_e32 v11, v1, v6
	v_fmac_f32_e32 v12, v2, v6
	v_lshlrev_b64 v[3:4], 3, v[3:4]
                                        ; implicit-def: $vgpr5
                                        ; implicit-def: $vgpr8
                                        ; implicit-def: $vgpr7
                                        ; implicit-def: $vgpr6
	v_add_co_u32 v0, vcc_lo, s2, v3
	v_add_co_ci_u32_e64 v1, null, s3, v4, vcc_lo
                                        ; implicit-def: $vgpr3_vgpr4
	global_store_dwordx4 v[0:1], v[9:12], off
                                        ; implicit-def: $vgpr1_vgpr2
                                        ; implicit-def: $vgpr0
.LBB207_23:
	s_andn2_saveexec_b32 s0, s0
	s_cbranch_execz .LBB207_25
; %bb.24:
	v_lshlrev_b32_e32 v9, 1, v5
	v_mul_f32_e64 v5, v8, -v2
	v_mul_f32_e32 v14, v1, v8
	v_mul_f32_e64 v8, v7, -v2
	v_mul_f32_e32 v16, v1, v7
	v_ashrrev_i32_e32 v10, 31, v9
	v_fmac_f32_e32 v5, v1, v0
	v_fmac_f32_e32 v14, v2, v0
	;; [unrolled: 1-line block ×4, first 2 shown]
	v_lshlrev_b64 v[9:10], 3, v[9:10]
	v_add_co_u32 v17, vcc_lo, s2, v9
	v_add_co_ci_u32_e64 v18, null, s3, v10, vcc_lo
	global_load_dwordx4 v[9:12], v[17:18], off
	s_waitcnt vmcnt(0)
	v_fmac_f32_e32 v5, v3, v9
	v_fmac_f32_e32 v14, v4, v9
	;; [unrolled: 1-line block ×4, first 2 shown]
	v_fma_f32 v13, -v4, v10, v5
	v_fmac_f32_e32 v14, v3, v10
	v_fma_f32 v15, -v4, v12, v8
	v_fmac_f32_e32 v16, v3, v12
	global_store_dwordx4 v[17:18], v[13:16], off
.LBB207_25:
	s_endpgm
	.section	.rodata,"a",@progbits
	.p2align	6, 0x0
	.amdhsa_kernel _ZN9rocsparseL19gebsrmvn_2xn_kernelILj128ELj13ELj4E21rocsparse_complex_numIfEEEvi20rocsparse_direction_NS_24const_host_device_scalarIT2_EEPKiS8_PKS5_SA_S6_PS5_21rocsparse_index_base_b
		.amdhsa_group_segment_fixed_size 0
		.amdhsa_private_segment_fixed_size 0
		.amdhsa_kernarg_size 72
		.amdhsa_user_sgpr_count 6
		.amdhsa_user_sgpr_private_segment_buffer 1
		.amdhsa_user_sgpr_dispatch_ptr 0
		.amdhsa_user_sgpr_queue_ptr 0
		.amdhsa_user_sgpr_kernarg_segment_ptr 1
		.amdhsa_user_sgpr_dispatch_id 0
		.amdhsa_user_sgpr_flat_scratch_init 0
		.amdhsa_user_sgpr_private_segment_size 0
		.amdhsa_wavefront_size32 1
		.amdhsa_uses_dynamic_stack 0
		.amdhsa_system_sgpr_private_segment_wavefront_offset 0
		.amdhsa_system_sgpr_workgroup_id_x 1
		.amdhsa_system_sgpr_workgroup_id_y 0
		.amdhsa_system_sgpr_workgroup_id_z 0
		.amdhsa_system_sgpr_workgroup_info 0
		.amdhsa_system_vgpr_workitem_id 0
		.amdhsa_next_free_vgpr 66
		.amdhsa_next_free_sgpr 16
		.amdhsa_reserve_vcc 1
		.amdhsa_reserve_flat_scratch 0
		.amdhsa_float_round_mode_32 0
		.amdhsa_float_round_mode_16_64 0
		.amdhsa_float_denorm_mode_32 3
		.amdhsa_float_denorm_mode_16_64 3
		.amdhsa_dx10_clamp 1
		.amdhsa_ieee_mode 1
		.amdhsa_fp16_overflow 0
		.amdhsa_workgroup_processor_mode 1
		.amdhsa_memory_ordered 1
		.amdhsa_forward_progress 1
		.amdhsa_shared_vgpr_count 0
		.amdhsa_exception_fp_ieee_invalid_op 0
		.amdhsa_exception_fp_denorm_src 0
		.amdhsa_exception_fp_ieee_div_zero 0
		.amdhsa_exception_fp_ieee_overflow 0
		.amdhsa_exception_fp_ieee_underflow 0
		.amdhsa_exception_fp_ieee_inexact 0
		.amdhsa_exception_int_div_zero 0
	.end_amdhsa_kernel
	.section	.text._ZN9rocsparseL19gebsrmvn_2xn_kernelILj128ELj13ELj4E21rocsparse_complex_numIfEEEvi20rocsparse_direction_NS_24const_host_device_scalarIT2_EEPKiS8_PKS5_SA_S6_PS5_21rocsparse_index_base_b,"axG",@progbits,_ZN9rocsparseL19gebsrmvn_2xn_kernelILj128ELj13ELj4E21rocsparse_complex_numIfEEEvi20rocsparse_direction_NS_24const_host_device_scalarIT2_EEPKiS8_PKS5_SA_S6_PS5_21rocsparse_index_base_b,comdat
.Lfunc_end207:
	.size	_ZN9rocsparseL19gebsrmvn_2xn_kernelILj128ELj13ELj4E21rocsparse_complex_numIfEEEvi20rocsparse_direction_NS_24const_host_device_scalarIT2_EEPKiS8_PKS5_SA_S6_PS5_21rocsparse_index_base_b, .Lfunc_end207-_ZN9rocsparseL19gebsrmvn_2xn_kernelILj128ELj13ELj4E21rocsparse_complex_numIfEEEvi20rocsparse_direction_NS_24const_host_device_scalarIT2_EEPKiS8_PKS5_SA_S6_PS5_21rocsparse_index_base_b
                                        ; -- End function
	.set _ZN9rocsparseL19gebsrmvn_2xn_kernelILj128ELj13ELj4E21rocsparse_complex_numIfEEEvi20rocsparse_direction_NS_24const_host_device_scalarIT2_EEPKiS8_PKS5_SA_S6_PS5_21rocsparse_index_base_b.num_vgpr, 66
	.set _ZN9rocsparseL19gebsrmvn_2xn_kernelILj128ELj13ELj4E21rocsparse_complex_numIfEEEvi20rocsparse_direction_NS_24const_host_device_scalarIT2_EEPKiS8_PKS5_SA_S6_PS5_21rocsparse_index_base_b.num_agpr, 0
	.set _ZN9rocsparseL19gebsrmvn_2xn_kernelILj128ELj13ELj4E21rocsparse_complex_numIfEEEvi20rocsparse_direction_NS_24const_host_device_scalarIT2_EEPKiS8_PKS5_SA_S6_PS5_21rocsparse_index_base_b.numbered_sgpr, 16
	.set _ZN9rocsparseL19gebsrmvn_2xn_kernelILj128ELj13ELj4E21rocsparse_complex_numIfEEEvi20rocsparse_direction_NS_24const_host_device_scalarIT2_EEPKiS8_PKS5_SA_S6_PS5_21rocsparse_index_base_b.num_named_barrier, 0
	.set _ZN9rocsparseL19gebsrmvn_2xn_kernelILj128ELj13ELj4E21rocsparse_complex_numIfEEEvi20rocsparse_direction_NS_24const_host_device_scalarIT2_EEPKiS8_PKS5_SA_S6_PS5_21rocsparse_index_base_b.private_seg_size, 0
	.set _ZN9rocsparseL19gebsrmvn_2xn_kernelILj128ELj13ELj4E21rocsparse_complex_numIfEEEvi20rocsparse_direction_NS_24const_host_device_scalarIT2_EEPKiS8_PKS5_SA_S6_PS5_21rocsparse_index_base_b.uses_vcc, 1
	.set _ZN9rocsparseL19gebsrmvn_2xn_kernelILj128ELj13ELj4E21rocsparse_complex_numIfEEEvi20rocsparse_direction_NS_24const_host_device_scalarIT2_EEPKiS8_PKS5_SA_S6_PS5_21rocsparse_index_base_b.uses_flat_scratch, 0
	.set _ZN9rocsparseL19gebsrmvn_2xn_kernelILj128ELj13ELj4E21rocsparse_complex_numIfEEEvi20rocsparse_direction_NS_24const_host_device_scalarIT2_EEPKiS8_PKS5_SA_S6_PS5_21rocsparse_index_base_b.has_dyn_sized_stack, 0
	.set _ZN9rocsparseL19gebsrmvn_2xn_kernelILj128ELj13ELj4E21rocsparse_complex_numIfEEEvi20rocsparse_direction_NS_24const_host_device_scalarIT2_EEPKiS8_PKS5_SA_S6_PS5_21rocsparse_index_base_b.has_recursion, 0
	.set _ZN9rocsparseL19gebsrmvn_2xn_kernelILj128ELj13ELj4E21rocsparse_complex_numIfEEEvi20rocsparse_direction_NS_24const_host_device_scalarIT2_EEPKiS8_PKS5_SA_S6_PS5_21rocsparse_index_base_b.has_indirect_call, 0
	.section	.AMDGPU.csdata,"",@progbits
; Kernel info:
; codeLenInByte = 3628
; TotalNumSgprs: 18
; NumVgprs: 66
; ScratchSize: 0
; MemoryBound: 0
; FloatMode: 240
; IeeeMode: 1
; LDSByteSize: 0 bytes/workgroup (compile time only)
; SGPRBlocks: 0
; VGPRBlocks: 8
; NumSGPRsForWavesPerEU: 18
; NumVGPRsForWavesPerEU: 66
; Occupancy: 12
; WaveLimiterHint : 1
; COMPUTE_PGM_RSRC2:SCRATCH_EN: 0
; COMPUTE_PGM_RSRC2:USER_SGPR: 6
; COMPUTE_PGM_RSRC2:TRAP_HANDLER: 0
; COMPUTE_PGM_RSRC2:TGID_X_EN: 1
; COMPUTE_PGM_RSRC2:TGID_Y_EN: 0
; COMPUTE_PGM_RSRC2:TGID_Z_EN: 0
; COMPUTE_PGM_RSRC2:TIDIG_COMP_CNT: 0
	.section	.text._ZN9rocsparseL19gebsrmvn_2xn_kernelILj128ELj13ELj8E21rocsparse_complex_numIfEEEvi20rocsparse_direction_NS_24const_host_device_scalarIT2_EEPKiS8_PKS5_SA_S6_PS5_21rocsparse_index_base_b,"axG",@progbits,_ZN9rocsparseL19gebsrmvn_2xn_kernelILj128ELj13ELj8E21rocsparse_complex_numIfEEEvi20rocsparse_direction_NS_24const_host_device_scalarIT2_EEPKiS8_PKS5_SA_S6_PS5_21rocsparse_index_base_b,comdat
	.globl	_ZN9rocsparseL19gebsrmvn_2xn_kernelILj128ELj13ELj8E21rocsparse_complex_numIfEEEvi20rocsparse_direction_NS_24const_host_device_scalarIT2_EEPKiS8_PKS5_SA_S6_PS5_21rocsparse_index_base_b ; -- Begin function _ZN9rocsparseL19gebsrmvn_2xn_kernelILj128ELj13ELj8E21rocsparse_complex_numIfEEEvi20rocsparse_direction_NS_24const_host_device_scalarIT2_EEPKiS8_PKS5_SA_S6_PS5_21rocsparse_index_base_b
	.p2align	8
	.type	_ZN9rocsparseL19gebsrmvn_2xn_kernelILj128ELj13ELj8E21rocsparse_complex_numIfEEEvi20rocsparse_direction_NS_24const_host_device_scalarIT2_EEPKiS8_PKS5_SA_S6_PS5_21rocsparse_index_base_b,@function
_ZN9rocsparseL19gebsrmvn_2xn_kernelILj128ELj13ELj8E21rocsparse_complex_numIfEEEvi20rocsparse_direction_NS_24const_host_device_scalarIT2_EEPKiS8_PKS5_SA_S6_PS5_21rocsparse_index_base_b: ; @_ZN9rocsparseL19gebsrmvn_2xn_kernelILj128ELj13ELj8E21rocsparse_complex_numIfEEEvi20rocsparse_direction_NS_24const_host_device_scalarIT2_EEPKiS8_PKS5_SA_S6_PS5_21rocsparse_index_base_b
; %bb.0:
	s_clause 0x2
	s_load_dwordx2 s[2:3], s[4:5], 0x40
	s_load_dwordx2 s[0:1], s[4:5], 0x8
	;; [unrolled: 1-line block ×3, first 2 shown]
	s_add_u32 s7, s4, 8
	s_addc_u32 s10, s5, 0
	s_add_u32 s11, s4, 48
	s_addc_u32 s12, s5, 0
	s_waitcnt lgkmcnt(0)
	s_bitcmp1_b32 s3, 0
	s_cselect_b32 s0, s7, s0
	s_cselect_b32 s1, s10, s1
	v_mov_b32_e32 v1, s0
	v_mov_b32_e32 v2, s1
	s_cselect_b32 s0, s11, s8
	s_cselect_b32 s1, s12, s9
	v_mov_b32_e32 v3, s0
	v_mov_b32_e32 v4, s1
	flat_load_dwordx2 v[1:2], v[1:2]
	flat_load_dwordx2 v[3:4], v[3:4]
	s_waitcnt vmcnt(1) lgkmcnt(1)
	v_cmp_eq_f32_e32 vcc_lo, 0, v1
	v_cmp_eq_f32_e64 s0, 0, v2
	s_and_b32 s3, vcc_lo, s0
	s_mov_b32 s0, -1
	s_and_saveexec_b32 s1, s3
	s_cbranch_execz .LBB208_2
; %bb.1:
	s_waitcnt vmcnt(0) lgkmcnt(0)
	v_cmp_neq_f32_e32 vcc_lo, 1.0, v3
	v_cmp_neq_f32_e64 s0, 0, v4
	s_or_b32 s0, vcc_lo, s0
	s_orn2_b32 s0, s0, exec_lo
.LBB208_2:
	s_or_b32 exec_lo, exec_lo, s1
	s_and_saveexec_b32 s1, s0
	s_cbranch_execz .LBB208_25
; %bb.3:
	s_load_dwordx2 s[0:1], s[4:5], 0x0
	v_lshrrev_b32_e32 v5, 3, v0
	v_lshl_or_b32 v5, s6, 4, v5
	s_waitcnt lgkmcnt(0)
	v_cmp_gt_i32_e32 vcc_lo, s0, v5
	s_and_b32 exec_lo, exec_lo, vcc_lo
	s_cbranch_execz .LBB208_25
; %bb.4:
	s_load_dwordx8 s[8:15], s[4:5], 0x10
	v_ashrrev_i32_e32 v6, 31, v5
	v_and_b32_e32 v0, 7, v0
	s_cmp_lg_u32 s1, 0
	v_lshlrev_b64 v[6:7], 2, v[5:6]
	s_waitcnt lgkmcnt(0)
	v_add_co_u32 v6, vcc_lo, s8, v6
	v_add_co_ci_u32_e64 v7, null, s9, v7, vcc_lo
	global_load_dwordx2 v[7:8], v[6:7], off
	s_waitcnt vmcnt(0)
	v_subrev_nc_u32_e32 v6, s2, v7
	v_subrev_nc_u32_e32 v16, s2, v8
	v_add_nc_u32_e32 v6, v6, v0
	v_cmp_lt_i32_e64 s0, v6, v16
	s_cbranch_scc0 .LBB208_12
; %bb.5:
	v_mov_b32_e32 v17, 0
	v_mov_b32_e32 v19, 0
	;; [unrolled: 1-line block ×4, first 2 shown]
	s_and_saveexec_b32 s1, s0
	s_cbranch_execz .LBB208_14
; %bb.6:
	v_mul_lo_u32 v7, v7, 26
	v_mul_lo_u32 v12, v6, 26
	s_mul_i32 s3, s2, 26
	v_mov_b32_e32 v8, 0
	v_mov_b32_e32 v9, v6
	;; [unrolled: 1-line block ×5, first 2 shown]
	v_mad_u32_u24 v7, v0, 26, v7
	v_mov_b32_e32 v18, 0
	v_subrev_nc_u32_e32 v13, s3, v7
	s_mov_b32 s3, 0
	s_branch .LBB208_8
.LBB208_7:                              ;   in Loop: Header=BB208_8 Depth=1
	v_add_nc_u32_e32 v9, 8, v9
	v_add_nc_u32_e32 v12, 0xd0, v12
	;; [unrolled: 1-line block ×3, first 2 shown]
	v_cmp_ge_i32_e32 vcc_lo, v9, v16
	s_or_b32 s3, vcc_lo, s3
	s_andn2_b32 exec_lo, exec_lo, s3
	s_cbranch_execz .LBB208_13
.LBB208_8:                              ; =>This Loop Header: Depth=1
                                        ;     Child Loop BB208_10 Depth 2
	v_ashrrev_i32_e32 v10, 31, v9
	v_mov_b32_e32 v14, v17
	v_mov_b32_e32 v21, v19
	;; [unrolled: 1-line block ×4, first 2 shown]
	v_lshlrev_b64 v[10:11], 2, v[9:10]
	s_mov_b32 s6, 0
	v_add_co_u32 v10, vcc_lo, s10, v10
	v_add_co_ci_u32_e64 v11, null, s11, v11, vcc_lo
	global_load_dword v7, v[10:11], off
	s_waitcnt vmcnt(0)
	v_subrev_nc_u32_e32 v7, s2, v7
	v_mul_lo_u32 v10, v7, 13
	s_branch .LBB208_10
.LBB208_9:                              ;   in Loop: Header=BB208_8 Depth=1
                                        ; implicit-def: $vgpr15
                                        ; implicit-def: $vgpr22
                                        ; implicit-def: $vgpr21
                                        ; implicit-def: $vgpr14
                                        ; implicit-def: $sgpr6
                                        ; implicit-def: $vgpr10
	s_branch .LBB208_7
.LBB208_10:                             ;   Parent Loop BB208_8 Depth=1
                                        ; =>  This Inner Loop Header: Depth=2
	v_add_nc_u32_e32 v7, s6, v13
	v_mov_b32_e32 v11, v8
	s_cmp_eq_u32 s6, 24
	v_lshlrev_b64 v[17:18], 3, v[7:8]
	v_lshlrev_b64 v[19:20], 3, v[10:11]
	v_add_co_u32 v17, vcc_lo, s12, v17
	v_add_co_ci_u32_e64 v18, null, s13, v18, vcc_lo
	v_add_co_u32 v19, vcc_lo, s14, v19
	v_add_co_ci_u32_e64 v20, null, s15, v20, vcc_lo
	global_load_dwordx4 v[23:26], v[17:18], off
	global_load_dwordx2 v[27:28], v[19:20], off
	s_waitcnt vmcnt(0)
	v_fmac_f32_e32 v14, v24, v27
	v_fmac_f32_e32 v15, v26, v27
	;; [unrolled: 1-line block ×4, first 2 shown]
	v_mov_b32_e32 v17, v14
	v_mov_b32_e32 v18, v15
	v_fma_f32 v19, -v24, v28, v21
	v_fma_f32 v20, -v26, v28, v22
	v_fmac_f32_e32 v17, v23, v28
	v_fmac_f32_e32 v18, v25, v28
	s_cbranch_scc1 .LBB208_9
; %bb.11:                               ;   in Loop: Header=BB208_10 Depth=2
	v_add_nc_u32_e32 v11, s6, v12
	s_add_i32 s6, s6, 8
	v_add_nc_u32_e32 v7, 2, v11
	v_lshlrev_b64 v[14:15], 3, v[7:8]
	v_add_nc_u32_e32 v7, 1, v10
	v_lshlrev_b64 v[21:22], 3, v[7:8]
	v_add_nc_u32_e32 v7, 4, v11
	v_add_co_u32 v14, vcc_lo, s12, v14
	v_add_co_ci_u32_e64 v15, null, s13, v15, vcc_lo
	v_lshlrev_b64 v[25:26], 3, v[7:8]
	v_add_co_u32 v27, vcc_lo, s14, v21
	v_add_co_ci_u32_e64 v28, null, s15, v22, vcc_lo
	v_add_nc_u32_e32 v7, 2, v10
	v_add_co_u32 v25, vcc_lo, s12, v25
	v_add_co_ci_u32_e64 v26, null, s13, v26, vcc_lo
	global_load_dwordx4 v[21:24], v[14:15], off
	global_load_dwordx2 v[33:34], v[27:28], off
	global_load_dwordx4 v[25:28], v[25:26], off
	v_lshlrev_b64 v[14:15], 3, v[7:8]
	v_add_nc_u32_e32 v7, 6, v11
	v_lshlrev_b64 v[29:30], 3, v[7:8]
	v_add_nc_u32_e32 v7, 3, v10
	v_add_co_u32 v14, vcc_lo, s14, v14
	v_add_co_ci_u32_e64 v15, null, s15, v15, vcc_lo
	v_lshlrev_b64 v[31:32], 3, v[7:8]
	v_add_nc_u32_e32 v10, 4, v10
	global_load_dwordx2 v[35:36], v[14:15], off
	v_add_co_u32 v14, vcc_lo, s12, v29
	v_add_co_ci_u32_e64 v15, null, s13, v30, vcc_lo
	v_add_co_u32 v37, vcc_lo, s14, v31
	v_add_co_ci_u32_e64 v38, null, s15, v32, vcc_lo
	global_load_dwordx4 v[29:32], v[14:15], off
	global_load_dwordx2 v[37:38], v[37:38], off
	s_waitcnt vmcnt(4)
	v_fma_f32 v7, v21, v33, v19
	v_fma_f32 v14, v22, v33, v17
	;; [unrolled: 1-line block ×4, first 2 shown]
	v_fma_f32 v7, -v22, v34, v7
	v_fmac_f32_e32 v14, v21, v34
	v_fma_f32 v11, -v24, v34, v11
	v_fmac_f32_e32 v15, v23, v34
	s_waitcnt vmcnt(2)
	v_fmac_f32_e32 v7, v25, v35
	v_fmac_f32_e32 v14, v26, v35
	;; [unrolled: 1-line block ×4, first 2 shown]
	v_fma_f32 v7, -v26, v36, v7
	v_fmac_f32_e32 v14, v25, v36
	v_fma_f32 v11, -v28, v36, v11
	v_fmac_f32_e32 v15, v27, v36
	s_waitcnt vmcnt(0)
	v_fmac_f32_e32 v7, v29, v37
	v_fmac_f32_e32 v14, v30, v37
	;; [unrolled: 1-line block ×4, first 2 shown]
	v_fma_f32 v21, -v30, v38, v7
	v_fmac_f32_e32 v14, v29, v38
	v_fma_f32 v22, -v32, v38, v11
	v_fmac_f32_e32 v15, v31, v38
	s_cbranch_execnz .LBB208_10
	s_branch .LBB208_7
.LBB208_12:
                                        ; implicit-def: $vgpr17
                                        ; implicit-def: $vgpr19
                                        ; implicit-def: $vgpr20
                                        ; implicit-def: $vgpr18
	s_branch .LBB208_15
.LBB208_13:
	s_or_b32 exec_lo, exec_lo, s3
.LBB208_14:
	s_or_b32 exec_lo, exec_lo, s1
	s_cbranch_execnz .LBB208_20
.LBB208_15:
	v_mov_b32_e32 v17, 0
	v_mov_b32_e32 v19, 0
	;; [unrolled: 1-line block ×4, first 2 shown]
	s_and_saveexec_b32 s1, s0
	s_cbranch_execz .LBB208_19
; %bb.16:
	v_mad_u64_u32 v[8:9], null, v6, 26, 25
	v_mov_b32_e32 v11, 0
	v_mov_b32_e32 v17, 0
	;; [unrolled: 1-line block ×5, first 2 shown]
	s_mov_b32 s0, 0
.LBB208_17:                             ; =>This Inner Loop Header: Depth=1
	v_ashrrev_i32_e32 v7, 31, v6
	v_subrev_nc_u32_e32 v10, 25, v8
	v_add_nc_u32_e32 v14, -12, v8
	v_mov_b32_e32 v15, v11
	v_mov_b32_e32 v9, v11
	v_lshlrev_b64 v[21:22], 2, v[6:7]
	v_lshlrev_b64 v[23:24], 3, v[10:11]
	v_mov_b32_e32 v13, v11
	v_lshlrev_b64 v[14:15], 3, v[14:15]
	v_lshlrev_b64 v[9:10], 3, v[8:9]
	v_add_nc_u32_e32 v6, 8, v6
	v_add_co_u32 v21, vcc_lo, s10, v21
	v_add_co_ci_u32_e64 v22, null, s11, v22, vcc_lo
	v_add_co_u32 v23, vcc_lo, s12, v23
	v_add_co_ci_u32_e64 v24, null, s13, v24, vcc_lo
	global_load_dword v7, v[21:22], off
	v_add_co_u32 v14, vcc_lo, s12, v14
	v_add_co_ci_u32_e64 v15, null, s13, v15, vcc_lo
	v_add_co_u32 v25, vcc_lo, s12, v9
	v_add_co_ci_u32_e64 v26, null, s13, v10, vcc_lo
	s_waitcnt vmcnt(0)
	v_subrev_nc_u32_e32 v7, s2, v7
	v_mul_lo_u32 v12, v7, 13
	v_add_nc_u32_e32 v10, 1, v12
	v_lshlrev_b64 v[21:22], 3, v[12:13]
	v_lshlrev_b64 v[27:28], 3, v[10:11]
	v_add_nc_u32_e32 v10, -11, v8
	v_add_co_u32 v21, vcc_lo, s14, v21
	v_add_co_ci_u32_e64 v22, null, s15, v22, vcc_lo
	v_lshlrev_b64 v[29:30], 3, v[10:11]
	v_subrev_nc_u32_e32 v10, 23, v8
	v_add_co_u32 v27, vcc_lo, s14, v27
	v_add_co_ci_u32_e64 v28, null, s15, v28, vcc_lo
	v_lshlrev_b64 v[31:32], 3, v[10:11]
	v_add_nc_u32_e32 v10, 2, v12
	v_add_co_u32 v29, vcc_lo, s12, v29
	v_add_co_ci_u32_e64 v30, null, s13, v30, vcc_lo
	v_lshlrev_b64 v[33:34], 3, v[10:11]
	v_add_nc_u32_e32 v10, -10, v8
	v_add_co_u32 v31, vcc_lo, s12, v31
	v_add_co_ci_u32_e64 v32, null, s13, v32, vcc_lo
	v_lshlrev_b64 v[35:36], 3, v[10:11]
	v_subrev_nc_u32_e32 v10, 22, v8
	v_add_co_u32 v33, vcc_lo, s14, v33
	v_add_co_ci_u32_e64 v34, null, s15, v34, vcc_lo
	v_lshlrev_b64 v[37:38], 3, v[10:11]
	v_add_nc_u32_e32 v10, 3, v12
	v_add_co_u32 v35, vcc_lo, s12, v35
	v_add_co_ci_u32_e64 v36, null, s13, v36, vcc_lo
	;; [unrolled: 12-line block ×6, first 2 shown]
	v_lshlrev_b64 v[9:10], 3, v[10:11]
	v_add_co_u32 v61, vcc_lo, s12, v61
	v_add_co_ci_u32_e64 v62, null, s13, v62, vcc_lo
	v_add_co_u32 v63, vcc_lo, s14, v9
	v_add_co_ci_u32_e64 v64, null, s15, v10, vcc_lo
	global_load_dwordx2 v[9:10], v[14:15], off
	global_load_dwordx2 v[13:14], v[21:22], off
	s_waitcnt vmcnt(0)
	v_fmac_f32_e32 v20, v9, v13
	v_fmac_f32_e32 v18, v10, v13
	v_fma_f32 v7, -v10, v14, v20
	global_load_dwordx4 v[20:23], v[23:24], off
	global_load_dwordx2 v[27:28], v[27:28], off
	s_clause 0x1
	global_load_dwordx2 v[29:30], v[29:30], off
	global_load_dwordx2 v[31:32], v[31:32], off
	v_fmac_f32_e32 v18, v9, v14
	v_add_nc_u32_e32 v10, -5, v8
	s_waitcnt vmcnt(3)
	v_fmac_f32_e32 v19, v20, v13
	v_fmac_f32_e32 v17, v21, v13
	s_waitcnt vmcnt(1)
	v_fmac_f32_e32 v7, v29, v27
	v_fmac_f32_e32 v18, v30, v27
	v_fma_f32 v9, -v21, v14, v19
	v_fmac_f32_e32 v17, v20, v14
	v_fma_f32 v7, -v30, v28, v7
	v_fmac_f32_e32 v18, v29, v28
	global_load_dwordx2 v[29:30], v[33:34], off
	s_clause 0x1
	global_load_dwordx2 v[33:34], v[35:36], off
	global_load_dwordx2 v[35:36], v[37:38], off
	global_load_dwordx2 v[37:38], v[39:40], off
	s_clause 0x1
	global_load_dwordx2 v[39:40], v[41:42], off
	global_load_dwordx2 v[41:42], v[43:44], off
	;; [unrolled: 4-line block ×3, first 2 shown]
	v_lshlrev_b64 v[13:14], 3, v[10:11]
	v_subrev_nc_u32_e32 v10, 17, v8
	v_fmac_f32_e32 v17, v23, v27
	v_fmac_f32_e32 v9, v22, v27
	v_lshlrev_b64 v[19:20], 3, v[10:11]
	v_add_nc_u32_e32 v10, 8, v12
	v_fmac_f32_e32 v17, v22, v28
	v_fma_f32 v15, -v23, v28, v9
	v_add_co_u32 v13, vcc_lo, s12, v13
	v_lshlrev_b64 v[21:22], 3, v[10:11]
	v_add_nc_u32_e32 v10, -4, v8
	v_add_co_ci_u32_e64 v14, null, s13, v14, vcc_lo
	v_add_co_u32 v19, vcc_lo, s12, v19
	v_lshlrev_b64 v[23:24], 3, v[10:11]
	v_add_nc_u32_e32 v10, -16, v8
	v_add_co_ci_u32_e64 v20, null, s13, v20, vcc_lo
	v_add_co_u32 v21, vcc_lo, s14, v21
	v_lshlrev_b64 v[9:10], 3, v[10:11]
	v_add_co_ci_u32_e64 v22, null, s15, v22, vcc_lo
	v_add_co_u32 v23, vcc_lo, s12, v23
	v_add_co_ci_u32_e64 v24, null, s13, v24, vcc_lo
	v_add_co_u32 v27, vcc_lo, s12, v9
	v_add_co_ci_u32_e64 v28, null, s13, v10, vcc_lo
	v_add_nc_u32_e32 v10, 9, v12
	s_waitcnt vmcnt(8)
	v_fmac_f32_e32 v15, v31, v29
	v_fmac_f32_e32 v17, v32, v29
	s_waitcnt vmcnt(7)
	v_fmac_f32_e32 v7, v33, v29
	v_fmac_f32_e32 v18, v34, v29
	v_fma_f32 v15, -v32, v30, v15
	v_fmac_f32_e32 v17, v31, v30
	v_lshlrev_b64 v[31:32], 3, v[10:11]
	v_add_nc_u32_e32 v10, -3, v8
	v_fma_f32 v7, -v34, v30, v7
	v_fmac_f32_e32 v18, v33, v30
	s_waitcnt vmcnt(5)
	v_fmac_f32_e32 v15, v35, v37
	v_fmac_f32_e32 v17, v36, v37
	v_lshlrev_b64 v[29:30], 3, v[10:11]
	v_add_nc_u32_e32 v10, -15, v8
	v_add_co_u32 v31, vcc_lo, s14, v31
	v_add_co_ci_u32_e64 v32, null, s15, v32, vcc_lo
	v_lshlrev_b64 v[9:10], 3, v[10:11]
	v_add_co_u32 v29, vcc_lo, s12, v29
	v_add_co_ci_u32_e64 v30, null, s13, v30, vcc_lo
	v_fma_f32 v15, -v36, v38, v15
	v_add_co_u32 v33, vcc_lo, s12, v9
	v_add_co_ci_u32_e64 v34, null, s13, v10, vcc_lo
	v_add_nc_u32_e32 v10, 10, v12
	v_fmac_f32_e32 v17, v35, v38
	s_waitcnt vmcnt(4)
	v_fmac_f32_e32 v7, v39, v37
	v_fmac_f32_e32 v18, v40, v37
	s_waitcnt vmcnt(2)
	v_fmac_f32_e32 v15, v41, v43
	v_lshlrev_b64 v[35:36], 3, v[10:11]
	v_add_nc_u32_e32 v10, -2, v8
	v_fma_f32 v7, -v40, v38, v7
	v_fmac_f32_e32 v18, v39, v38
	v_fmac_f32_e32 v17, v42, v43
	v_fma_f32 v65, -v42, v44, v15
	v_lshlrev_b64 v[37:38], 3, v[10:11]
	v_add_nc_u32_e32 v10, -14, v8
	v_add_co_u32 v35, vcc_lo, s14, v35
	v_add_co_ci_u32_e64 v36, null, s15, v36, vcc_lo
	v_lshlrev_b64 v[9:10], 3, v[10:11]
	v_add_co_u32 v37, vcc_lo, s12, v37
	v_add_co_ci_u32_e64 v38, null, s13, v38, vcc_lo
	v_fmac_f32_e32 v17, v41, v44
	v_add_co_u32 v39, vcc_lo, s12, v9
	v_add_co_ci_u32_e64 v40, null, s13, v10, vcc_lo
	v_add_nc_u32_e32 v10, 11, v12
	s_waitcnt vmcnt(1)
	v_fmac_f32_e32 v7, v45, v43
	v_fmac_f32_e32 v18, v46, v43
	v_lshlrev_b64 v[41:42], 3, v[10:11]
	v_add_nc_u32_e32 v10, -1, v8
	v_fma_f32 v7, -v46, v44, v7
	v_fmac_f32_e32 v18, v45, v44
	v_lshlrev_b64 v[43:44], 3, v[10:11]
	v_add_nc_u32_e32 v10, -13, v8
	v_add_co_u32 v41, vcc_lo, s14, v41
	v_add_co_ci_u32_e64 v42, null, s15, v42, vcc_lo
	v_lshlrev_b64 v[45:46], 3, v[10:11]
	v_add_nc_u32_e32 v10, 12, v12
	v_add_co_u32 v43, vcc_lo, s12, v43
	v_add_co_ci_u32_e64 v44, null, s13, v44, vcc_lo
	v_lshlrev_b64 v[9:10], 3, v[10:11]
	v_add_co_u32 v45, vcc_lo, s12, v45
	v_add_co_ci_u32_e64 v46, null, s13, v46, vcc_lo
	v_add_nc_u32_e32 v8, 0xd0, v8
	v_add_co_u32 v9, vcc_lo, s14, v9
	v_add_co_ci_u32_e64 v10, null, s15, v10, vcc_lo
	global_load_dwordx2 v[49:50], v[51:52], off
	s_clause 0x1
	global_load_dwordx2 v[51:52], v[53:54], off
	global_load_dwordx2 v[53:54], v[55:56], off
	global_load_dwordx2 v[55:56], v[57:58], off
	s_clause 0x1
	global_load_dwordx2 v[57:58], v[59:60], off
	global_load_dwordx2 v[59:60], v[61:62], off
	;; [unrolled: 4-line block ×7, first 2 shown]
	global_load_dwordx2 v[43:44], v[45:46], off
	global_load_dwordx2 v[9:10], v[9:10], off
	v_cmp_ge_i32_e32 vcc_lo, v6, v16
	s_or_b32 s0, vcc_lo, s0
	s_waitcnt vmcnt(22)
	v_fmac_f32_e32 v65, v47, v49
	v_fmac_f32_e32 v17, v48, v49
	s_waitcnt vmcnt(21)
	v_fmac_f32_e32 v7, v51, v49
	v_fmac_f32_e32 v18, v52, v49
	v_fma_f32 v45, -v48, v50, v65
	v_fmac_f32_e32 v17, v47, v50
	v_fma_f32 v7, -v52, v50, v7
	v_fmac_f32_e32 v18, v51, v50
	s_waitcnt vmcnt(19)
	v_fmac_f32_e32 v45, v53, v55
	v_fmac_f32_e32 v17, v54, v55
	s_waitcnt vmcnt(18)
	v_fmac_f32_e32 v7, v57, v55
	v_fmac_f32_e32 v18, v58, v55
	v_fma_f32 v45, -v54, v56, v45
	v_fmac_f32_e32 v17, v53, v56
	v_fma_f32 v7, -v58, v56, v7
	v_fmac_f32_e32 v18, v57, v56
	;; [unrolled: 10-line block ×7, first 2 shown]
	s_waitcnt vmcnt(0)
	v_fmac_f32_e32 v12, v43, v9
	v_fmac_f32_e32 v17, v44, v9
	;; [unrolled: 1-line block ×4, first 2 shown]
	v_fma_f32 v19, -v44, v10, v12
	v_fmac_f32_e32 v17, v43, v10
	v_fma_f32 v20, -v26, v10, v7
	v_fmac_f32_e32 v18, v25, v10
	s_andn2_b32 exec_lo, exec_lo, s0
	s_cbranch_execnz .LBB208_17
; %bb.18:
	s_or_b32 exec_lo, exec_lo, s0
.LBB208_19:
	s_or_b32 exec_lo, exec_lo, s1
.LBB208_20:
	v_mbcnt_lo_u32_b32 v6, -1, 0
	v_xor_b32_e32 v7, 4, v6
	v_xor_b32_e32 v11, 2, v6
	;; [unrolled: 1-line block ×3, first 2 shown]
	v_cmp_gt_i32_e32 vcc_lo, 32, v7
	v_cndmask_b32_e32 v7, v6, v7, vcc_lo
	v_cmp_gt_i32_e32 vcc_lo, 32, v11
	v_lshlrev_b32_e32 v7, 2, v7
	v_cndmask_b32_e32 v11, v6, v11, vcc_lo
	v_cmp_gt_i32_e32 vcc_lo, 32, v15
	ds_bpermute_b32 v8, v7, v19
	ds_bpermute_b32 v9, v7, v17
	;; [unrolled: 1-line block ×4, first 2 shown]
	v_lshlrev_b32_e32 v11, 2, v11
	v_cndmask_b32_e32 v6, v6, v15, vcc_lo
	v_cmp_eq_u32_e32 vcc_lo, 7, v0
	v_lshlrev_b32_e32 v15, 2, v6
	s_waitcnt lgkmcnt(3)
	v_add_f32_e32 v8, v19, v8
	s_waitcnt lgkmcnt(2)
	v_add_f32_e32 v9, v17, v9
	;; [unrolled: 2-line block ×4, first 2 shown]
	ds_bpermute_b32 v12, v11, v8
	ds_bpermute_b32 v13, v11, v9
	;; [unrolled: 1-line block ×4, first 2 shown]
	s_waitcnt lgkmcnt(3)
	v_add_f32_e32 v8, v8, v12
	s_waitcnt lgkmcnt(2)
	v_add_f32_e32 v9, v9, v13
	;; [unrolled: 2-line block ×4, first 2 shown]
	ds_bpermute_b32 v12, v15, v8
	ds_bpermute_b32 v13, v15, v9
	;; [unrolled: 1-line block ×4, first 2 shown]
	s_and_b32 exec_lo, exec_lo, vcc_lo
	s_cbranch_execz .LBB208_25
; %bb.21:
	s_load_dwordx2 s[2:3], s[4:5], 0x38
	v_cmp_eq_f32_e32 vcc_lo, 0, v3
	v_cmp_eq_f32_e64 s0, 0, v4
	s_waitcnt lgkmcnt(0)
	v_add_f32_e32 v0, v8, v12
	v_add_f32_e32 v8, v9, v13
	;; [unrolled: 1-line block ×4, first 2 shown]
	s_and_b32 s0, vcc_lo, s0
	s_and_saveexec_b32 s1, s0
	s_xor_b32 s0, exec_lo, s1
	s_cbranch_execz .LBB208_23
; %bb.22:
	v_lshlrev_b32_e32 v3, 1, v5
	v_mul_f32_e64 v9, v8, -v2
	v_mul_f32_e32 v10, v1, v8
	v_mul_f32_e64 v11, v7, -v2
	v_mul_f32_e32 v12, v1, v7
	v_ashrrev_i32_e32 v4, 31, v3
	v_fmac_f32_e32 v9, v1, v0
	v_fmac_f32_e32 v10, v2, v0
	;; [unrolled: 1-line block ×4, first 2 shown]
	v_lshlrev_b64 v[3:4], 3, v[3:4]
                                        ; implicit-def: $vgpr5
                                        ; implicit-def: $vgpr8
                                        ; implicit-def: $vgpr7
                                        ; implicit-def: $vgpr6
	v_add_co_u32 v0, vcc_lo, s2, v3
	v_add_co_ci_u32_e64 v1, null, s3, v4, vcc_lo
                                        ; implicit-def: $vgpr3_vgpr4
	global_store_dwordx4 v[0:1], v[9:12], off
                                        ; implicit-def: $vgpr1_vgpr2
                                        ; implicit-def: $vgpr0
.LBB208_23:
	s_andn2_saveexec_b32 s0, s0
	s_cbranch_execz .LBB208_25
; %bb.24:
	v_lshlrev_b32_e32 v9, 1, v5
	v_mul_f32_e64 v5, v8, -v2
	v_mul_f32_e32 v14, v1, v8
	v_mul_f32_e64 v8, v7, -v2
	v_mul_f32_e32 v16, v1, v7
	v_ashrrev_i32_e32 v10, 31, v9
	v_fmac_f32_e32 v5, v1, v0
	v_fmac_f32_e32 v14, v2, v0
	;; [unrolled: 1-line block ×4, first 2 shown]
	v_lshlrev_b64 v[9:10], 3, v[9:10]
	v_add_co_u32 v17, vcc_lo, s2, v9
	v_add_co_ci_u32_e64 v18, null, s3, v10, vcc_lo
	global_load_dwordx4 v[9:12], v[17:18], off
	s_waitcnt vmcnt(0)
	v_fmac_f32_e32 v5, v3, v9
	v_fmac_f32_e32 v14, v4, v9
	v_fmac_f32_e32 v8, v3, v11
	v_fmac_f32_e32 v16, v4, v11
	v_fma_f32 v13, -v4, v10, v5
	v_fmac_f32_e32 v14, v3, v10
	v_fma_f32 v15, -v4, v12, v8
	v_fmac_f32_e32 v16, v3, v12
	global_store_dwordx4 v[17:18], v[13:16], off
.LBB208_25:
	s_endpgm
	.section	.rodata,"a",@progbits
	.p2align	6, 0x0
	.amdhsa_kernel _ZN9rocsparseL19gebsrmvn_2xn_kernelILj128ELj13ELj8E21rocsparse_complex_numIfEEEvi20rocsparse_direction_NS_24const_host_device_scalarIT2_EEPKiS8_PKS5_SA_S6_PS5_21rocsparse_index_base_b
		.amdhsa_group_segment_fixed_size 0
		.amdhsa_private_segment_fixed_size 0
		.amdhsa_kernarg_size 72
		.amdhsa_user_sgpr_count 6
		.amdhsa_user_sgpr_private_segment_buffer 1
		.amdhsa_user_sgpr_dispatch_ptr 0
		.amdhsa_user_sgpr_queue_ptr 0
		.amdhsa_user_sgpr_kernarg_segment_ptr 1
		.amdhsa_user_sgpr_dispatch_id 0
		.amdhsa_user_sgpr_flat_scratch_init 0
		.amdhsa_user_sgpr_private_segment_size 0
		.amdhsa_wavefront_size32 1
		.amdhsa_uses_dynamic_stack 0
		.amdhsa_system_sgpr_private_segment_wavefront_offset 0
		.amdhsa_system_sgpr_workgroup_id_x 1
		.amdhsa_system_sgpr_workgroup_id_y 0
		.amdhsa_system_sgpr_workgroup_id_z 0
		.amdhsa_system_sgpr_workgroup_info 0
		.amdhsa_system_vgpr_workitem_id 0
		.amdhsa_next_free_vgpr 66
		.amdhsa_next_free_sgpr 16
		.amdhsa_reserve_vcc 1
		.amdhsa_reserve_flat_scratch 0
		.amdhsa_float_round_mode_32 0
		.amdhsa_float_round_mode_16_64 0
		.amdhsa_float_denorm_mode_32 3
		.amdhsa_float_denorm_mode_16_64 3
		.amdhsa_dx10_clamp 1
		.amdhsa_ieee_mode 1
		.amdhsa_fp16_overflow 0
		.amdhsa_workgroup_processor_mode 1
		.amdhsa_memory_ordered 1
		.amdhsa_forward_progress 1
		.amdhsa_shared_vgpr_count 0
		.amdhsa_exception_fp_ieee_invalid_op 0
		.amdhsa_exception_fp_denorm_src 0
		.amdhsa_exception_fp_ieee_div_zero 0
		.amdhsa_exception_fp_ieee_overflow 0
		.amdhsa_exception_fp_ieee_underflow 0
		.amdhsa_exception_fp_ieee_inexact 0
		.amdhsa_exception_int_div_zero 0
	.end_amdhsa_kernel
	.section	.text._ZN9rocsparseL19gebsrmvn_2xn_kernelILj128ELj13ELj8E21rocsparse_complex_numIfEEEvi20rocsparse_direction_NS_24const_host_device_scalarIT2_EEPKiS8_PKS5_SA_S6_PS5_21rocsparse_index_base_b,"axG",@progbits,_ZN9rocsparseL19gebsrmvn_2xn_kernelILj128ELj13ELj8E21rocsparse_complex_numIfEEEvi20rocsparse_direction_NS_24const_host_device_scalarIT2_EEPKiS8_PKS5_SA_S6_PS5_21rocsparse_index_base_b,comdat
.Lfunc_end208:
	.size	_ZN9rocsparseL19gebsrmvn_2xn_kernelILj128ELj13ELj8E21rocsparse_complex_numIfEEEvi20rocsparse_direction_NS_24const_host_device_scalarIT2_EEPKiS8_PKS5_SA_S6_PS5_21rocsparse_index_base_b, .Lfunc_end208-_ZN9rocsparseL19gebsrmvn_2xn_kernelILj128ELj13ELj8E21rocsparse_complex_numIfEEEvi20rocsparse_direction_NS_24const_host_device_scalarIT2_EEPKiS8_PKS5_SA_S6_PS5_21rocsparse_index_base_b
                                        ; -- End function
	.set _ZN9rocsparseL19gebsrmvn_2xn_kernelILj128ELj13ELj8E21rocsparse_complex_numIfEEEvi20rocsparse_direction_NS_24const_host_device_scalarIT2_EEPKiS8_PKS5_SA_S6_PS5_21rocsparse_index_base_b.num_vgpr, 66
	.set _ZN9rocsparseL19gebsrmvn_2xn_kernelILj128ELj13ELj8E21rocsparse_complex_numIfEEEvi20rocsparse_direction_NS_24const_host_device_scalarIT2_EEPKiS8_PKS5_SA_S6_PS5_21rocsparse_index_base_b.num_agpr, 0
	.set _ZN9rocsparseL19gebsrmvn_2xn_kernelILj128ELj13ELj8E21rocsparse_complex_numIfEEEvi20rocsparse_direction_NS_24const_host_device_scalarIT2_EEPKiS8_PKS5_SA_S6_PS5_21rocsparse_index_base_b.numbered_sgpr, 16
	.set _ZN9rocsparseL19gebsrmvn_2xn_kernelILj128ELj13ELj8E21rocsparse_complex_numIfEEEvi20rocsparse_direction_NS_24const_host_device_scalarIT2_EEPKiS8_PKS5_SA_S6_PS5_21rocsparse_index_base_b.num_named_barrier, 0
	.set _ZN9rocsparseL19gebsrmvn_2xn_kernelILj128ELj13ELj8E21rocsparse_complex_numIfEEEvi20rocsparse_direction_NS_24const_host_device_scalarIT2_EEPKiS8_PKS5_SA_S6_PS5_21rocsparse_index_base_b.private_seg_size, 0
	.set _ZN9rocsparseL19gebsrmvn_2xn_kernelILj128ELj13ELj8E21rocsparse_complex_numIfEEEvi20rocsparse_direction_NS_24const_host_device_scalarIT2_EEPKiS8_PKS5_SA_S6_PS5_21rocsparse_index_base_b.uses_vcc, 1
	.set _ZN9rocsparseL19gebsrmvn_2xn_kernelILj128ELj13ELj8E21rocsparse_complex_numIfEEEvi20rocsparse_direction_NS_24const_host_device_scalarIT2_EEPKiS8_PKS5_SA_S6_PS5_21rocsparse_index_base_b.uses_flat_scratch, 0
	.set _ZN9rocsparseL19gebsrmvn_2xn_kernelILj128ELj13ELj8E21rocsparse_complex_numIfEEEvi20rocsparse_direction_NS_24const_host_device_scalarIT2_EEPKiS8_PKS5_SA_S6_PS5_21rocsparse_index_base_b.has_dyn_sized_stack, 0
	.set _ZN9rocsparseL19gebsrmvn_2xn_kernelILj128ELj13ELj8E21rocsparse_complex_numIfEEEvi20rocsparse_direction_NS_24const_host_device_scalarIT2_EEPKiS8_PKS5_SA_S6_PS5_21rocsparse_index_base_b.has_recursion, 0
	.set _ZN9rocsparseL19gebsrmvn_2xn_kernelILj128ELj13ELj8E21rocsparse_complex_numIfEEEvi20rocsparse_direction_NS_24const_host_device_scalarIT2_EEPKiS8_PKS5_SA_S6_PS5_21rocsparse_index_base_b.has_indirect_call, 0
	.section	.AMDGPU.csdata,"",@progbits
; Kernel info:
; codeLenInByte = 3708
; TotalNumSgprs: 18
; NumVgprs: 66
; ScratchSize: 0
; MemoryBound: 0
; FloatMode: 240
; IeeeMode: 1
; LDSByteSize: 0 bytes/workgroup (compile time only)
; SGPRBlocks: 0
; VGPRBlocks: 8
; NumSGPRsForWavesPerEU: 18
; NumVGPRsForWavesPerEU: 66
; Occupancy: 12
; WaveLimiterHint : 1
; COMPUTE_PGM_RSRC2:SCRATCH_EN: 0
; COMPUTE_PGM_RSRC2:USER_SGPR: 6
; COMPUTE_PGM_RSRC2:TRAP_HANDLER: 0
; COMPUTE_PGM_RSRC2:TGID_X_EN: 1
; COMPUTE_PGM_RSRC2:TGID_Y_EN: 0
; COMPUTE_PGM_RSRC2:TGID_Z_EN: 0
; COMPUTE_PGM_RSRC2:TIDIG_COMP_CNT: 0
	.section	.text._ZN9rocsparseL19gebsrmvn_2xn_kernelILj128ELj13ELj16E21rocsparse_complex_numIfEEEvi20rocsparse_direction_NS_24const_host_device_scalarIT2_EEPKiS8_PKS5_SA_S6_PS5_21rocsparse_index_base_b,"axG",@progbits,_ZN9rocsparseL19gebsrmvn_2xn_kernelILj128ELj13ELj16E21rocsparse_complex_numIfEEEvi20rocsparse_direction_NS_24const_host_device_scalarIT2_EEPKiS8_PKS5_SA_S6_PS5_21rocsparse_index_base_b,comdat
	.globl	_ZN9rocsparseL19gebsrmvn_2xn_kernelILj128ELj13ELj16E21rocsparse_complex_numIfEEEvi20rocsparse_direction_NS_24const_host_device_scalarIT2_EEPKiS8_PKS5_SA_S6_PS5_21rocsparse_index_base_b ; -- Begin function _ZN9rocsparseL19gebsrmvn_2xn_kernelILj128ELj13ELj16E21rocsparse_complex_numIfEEEvi20rocsparse_direction_NS_24const_host_device_scalarIT2_EEPKiS8_PKS5_SA_S6_PS5_21rocsparse_index_base_b
	.p2align	8
	.type	_ZN9rocsparseL19gebsrmvn_2xn_kernelILj128ELj13ELj16E21rocsparse_complex_numIfEEEvi20rocsparse_direction_NS_24const_host_device_scalarIT2_EEPKiS8_PKS5_SA_S6_PS5_21rocsparse_index_base_b,@function
_ZN9rocsparseL19gebsrmvn_2xn_kernelILj128ELj13ELj16E21rocsparse_complex_numIfEEEvi20rocsparse_direction_NS_24const_host_device_scalarIT2_EEPKiS8_PKS5_SA_S6_PS5_21rocsparse_index_base_b: ; @_ZN9rocsparseL19gebsrmvn_2xn_kernelILj128ELj13ELj16E21rocsparse_complex_numIfEEEvi20rocsparse_direction_NS_24const_host_device_scalarIT2_EEPKiS8_PKS5_SA_S6_PS5_21rocsparse_index_base_b
; %bb.0:
	s_clause 0x2
	s_load_dwordx2 s[2:3], s[4:5], 0x40
	s_load_dwordx2 s[0:1], s[4:5], 0x8
	s_load_dwordx2 s[8:9], s[4:5], 0x30
	s_add_u32 s7, s4, 8
	s_addc_u32 s10, s5, 0
	s_add_u32 s11, s4, 48
	s_addc_u32 s12, s5, 0
	s_waitcnt lgkmcnt(0)
	s_bitcmp1_b32 s3, 0
	s_cselect_b32 s0, s7, s0
	s_cselect_b32 s1, s10, s1
	v_mov_b32_e32 v1, s0
	v_mov_b32_e32 v2, s1
	s_cselect_b32 s0, s11, s8
	s_cselect_b32 s1, s12, s9
	v_mov_b32_e32 v3, s0
	v_mov_b32_e32 v4, s1
	flat_load_dwordx2 v[1:2], v[1:2]
	flat_load_dwordx2 v[3:4], v[3:4]
	s_waitcnt vmcnt(1) lgkmcnt(1)
	v_cmp_eq_f32_e32 vcc_lo, 0, v1
	v_cmp_eq_f32_e64 s0, 0, v2
	s_and_b32 s3, vcc_lo, s0
	s_mov_b32 s0, -1
	s_and_saveexec_b32 s1, s3
	s_cbranch_execz .LBB209_2
; %bb.1:
	s_waitcnt vmcnt(0) lgkmcnt(0)
	v_cmp_neq_f32_e32 vcc_lo, 1.0, v3
	v_cmp_neq_f32_e64 s0, 0, v4
	s_or_b32 s0, vcc_lo, s0
	s_orn2_b32 s0, s0, exec_lo
.LBB209_2:
	s_or_b32 exec_lo, exec_lo, s1
	s_and_saveexec_b32 s1, s0
	s_cbranch_execz .LBB209_25
; %bb.3:
	s_load_dwordx2 s[0:1], s[4:5], 0x0
	v_lshrrev_b32_e32 v5, 4, v0
	v_lshl_or_b32 v5, s6, 3, v5
	s_waitcnt lgkmcnt(0)
	v_cmp_gt_i32_e32 vcc_lo, s0, v5
	s_and_b32 exec_lo, exec_lo, vcc_lo
	s_cbranch_execz .LBB209_25
; %bb.4:
	s_load_dwordx8 s[8:15], s[4:5], 0x10
	v_ashrrev_i32_e32 v6, 31, v5
	v_and_b32_e32 v0, 15, v0
	s_cmp_lg_u32 s1, 0
	v_lshlrev_b64 v[6:7], 2, v[5:6]
	s_waitcnt lgkmcnt(0)
	v_add_co_u32 v6, vcc_lo, s8, v6
	v_add_co_ci_u32_e64 v7, null, s9, v7, vcc_lo
	global_load_dwordx2 v[7:8], v[6:7], off
	s_waitcnt vmcnt(0)
	v_subrev_nc_u32_e32 v6, s2, v7
	v_subrev_nc_u32_e32 v16, s2, v8
	v_add_nc_u32_e32 v6, v6, v0
	v_cmp_lt_i32_e64 s0, v6, v16
	s_cbranch_scc0 .LBB209_12
; %bb.5:
	v_mov_b32_e32 v17, 0
	v_mov_b32_e32 v19, 0
	;; [unrolled: 1-line block ×4, first 2 shown]
	s_and_saveexec_b32 s1, s0
	s_cbranch_execz .LBB209_14
; %bb.6:
	v_mul_lo_u32 v7, v7, 26
	v_mul_lo_u32 v12, v6, 26
	s_mul_i32 s3, s2, 26
	v_mov_b32_e32 v8, 0
	v_mov_b32_e32 v9, v6
	;; [unrolled: 1-line block ×5, first 2 shown]
	v_mad_u32_u24 v7, v0, 26, v7
	v_mov_b32_e32 v18, 0
	v_subrev_nc_u32_e32 v13, s3, v7
	s_mov_b32 s3, 0
	s_branch .LBB209_8
.LBB209_7:                              ;   in Loop: Header=BB209_8 Depth=1
	v_add_nc_u32_e32 v9, 16, v9
	v_add_nc_u32_e32 v12, 0x1a0, v12
	;; [unrolled: 1-line block ×3, first 2 shown]
	v_cmp_ge_i32_e32 vcc_lo, v9, v16
	s_or_b32 s3, vcc_lo, s3
	s_andn2_b32 exec_lo, exec_lo, s3
	s_cbranch_execz .LBB209_13
.LBB209_8:                              ; =>This Loop Header: Depth=1
                                        ;     Child Loop BB209_10 Depth 2
	v_ashrrev_i32_e32 v10, 31, v9
	v_mov_b32_e32 v14, v17
	v_mov_b32_e32 v21, v19
	;; [unrolled: 1-line block ×4, first 2 shown]
	v_lshlrev_b64 v[10:11], 2, v[9:10]
	s_mov_b32 s6, 0
	v_add_co_u32 v10, vcc_lo, s10, v10
	v_add_co_ci_u32_e64 v11, null, s11, v11, vcc_lo
	global_load_dword v7, v[10:11], off
	s_waitcnt vmcnt(0)
	v_subrev_nc_u32_e32 v7, s2, v7
	v_mul_lo_u32 v10, v7, 13
	s_branch .LBB209_10
.LBB209_9:                              ;   in Loop: Header=BB209_8 Depth=1
                                        ; implicit-def: $vgpr15
                                        ; implicit-def: $vgpr22
                                        ; implicit-def: $vgpr21
                                        ; implicit-def: $vgpr14
                                        ; implicit-def: $sgpr6
                                        ; implicit-def: $vgpr10
	s_branch .LBB209_7
.LBB209_10:                             ;   Parent Loop BB209_8 Depth=1
                                        ; =>  This Inner Loop Header: Depth=2
	v_add_nc_u32_e32 v7, s6, v13
	v_mov_b32_e32 v11, v8
	s_cmp_eq_u32 s6, 24
	v_lshlrev_b64 v[17:18], 3, v[7:8]
	v_lshlrev_b64 v[19:20], 3, v[10:11]
	v_add_co_u32 v17, vcc_lo, s12, v17
	v_add_co_ci_u32_e64 v18, null, s13, v18, vcc_lo
	v_add_co_u32 v19, vcc_lo, s14, v19
	v_add_co_ci_u32_e64 v20, null, s15, v20, vcc_lo
	global_load_dwordx4 v[23:26], v[17:18], off
	global_load_dwordx2 v[27:28], v[19:20], off
	s_waitcnt vmcnt(0)
	v_fmac_f32_e32 v14, v24, v27
	v_fmac_f32_e32 v15, v26, v27
	;; [unrolled: 1-line block ×4, first 2 shown]
	v_mov_b32_e32 v17, v14
	v_mov_b32_e32 v18, v15
	v_fma_f32 v19, -v24, v28, v21
	v_fma_f32 v20, -v26, v28, v22
	v_fmac_f32_e32 v17, v23, v28
	v_fmac_f32_e32 v18, v25, v28
	s_cbranch_scc1 .LBB209_9
; %bb.11:                               ;   in Loop: Header=BB209_10 Depth=2
	v_add_nc_u32_e32 v11, s6, v12
	s_add_i32 s6, s6, 8
	v_add_nc_u32_e32 v7, 2, v11
	v_lshlrev_b64 v[14:15], 3, v[7:8]
	v_add_nc_u32_e32 v7, 1, v10
	v_lshlrev_b64 v[21:22], 3, v[7:8]
	v_add_nc_u32_e32 v7, 4, v11
	v_add_co_u32 v14, vcc_lo, s12, v14
	v_add_co_ci_u32_e64 v15, null, s13, v15, vcc_lo
	v_lshlrev_b64 v[25:26], 3, v[7:8]
	v_add_co_u32 v27, vcc_lo, s14, v21
	v_add_co_ci_u32_e64 v28, null, s15, v22, vcc_lo
	v_add_nc_u32_e32 v7, 2, v10
	v_add_co_u32 v25, vcc_lo, s12, v25
	v_add_co_ci_u32_e64 v26, null, s13, v26, vcc_lo
	global_load_dwordx4 v[21:24], v[14:15], off
	global_load_dwordx2 v[33:34], v[27:28], off
	global_load_dwordx4 v[25:28], v[25:26], off
	v_lshlrev_b64 v[14:15], 3, v[7:8]
	v_add_nc_u32_e32 v7, 6, v11
	v_lshlrev_b64 v[29:30], 3, v[7:8]
	v_add_nc_u32_e32 v7, 3, v10
	v_add_co_u32 v14, vcc_lo, s14, v14
	v_add_co_ci_u32_e64 v15, null, s15, v15, vcc_lo
	v_lshlrev_b64 v[31:32], 3, v[7:8]
	v_add_nc_u32_e32 v10, 4, v10
	global_load_dwordx2 v[35:36], v[14:15], off
	v_add_co_u32 v14, vcc_lo, s12, v29
	v_add_co_ci_u32_e64 v15, null, s13, v30, vcc_lo
	v_add_co_u32 v37, vcc_lo, s14, v31
	v_add_co_ci_u32_e64 v38, null, s15, v32, vcc_lo
	global_load_dwordx4 v[29:32], v[14:15], off
	global_load_dwordx2 v[37:38], v[37:38], off
	s_waitcnt vmcnt(4)
	v_fma_f32 v7, v21, v33, v19
	v_fma_f32 v14, v22, v33, v17
	v_fma_f32 v11, v23, v33, v20
	v_fma_f32 v15, v24, v33, v18
	v_fma_f32 v7, -v22, v34, v7
	v_fmac_f32_e32 v14, v21, v34
	v_fma_f32 v11, -v24, v34, v11
	v_fmac_f32_e32 v15, v23, v34
	s_waitcnt vmcnt(2)
	v_fmac_f32_e32 v7, v25, v35
	v_fmac_f32_e32 v14, v26, v35
	;; [unrolled: 1-line block ×4, first 2 shown]
	v_fma_f32 v7, -v26, v36, v7
	v_fmac_f32_e32 v14, v25, v36
	v_fma_f32 v11, -v28, v36, v11
	v_fmac_f32_e32 v15, v27, v36
	s_waitcnt vmcnt(0)
	v_fmac_f32_e32 v7, v29, v37
	v_fmac_f32_e32 v14, v30, v37
	;; [unrolled: 1-line block ×4, first 2 shown]
	v_fma_f32 v21, -v30, v38, v7
	v_fmac_f32_e32 v14, v29, v38
	v_fma_f32 v22, -v32, v38, v11
	v_fmac_f32_e32 v15, v31, v38
	s_cbranch_execnz .LBB209_10
	s_branch .LBB209_7
.LBB209_12:
                                        ; implicit-def: $vgpr17
                                        ; implicit-def: $vgpr19
                                        ; implicit-def: $vgpr20
                                        ; implicit-def: $vgpr18
	s_branch .LBB209_15
.LBB209_13:
	s_or_b32 exec_lo, exec_lo, s3
.LBB209_14:
	s_or_b32 exec_lo, exec_lo, s1
	s_cbranch_execnz .LBB209_20
.LBB209_15:
	v_mov_b32_e32 v17, 0
	v_mov_b32_e32 v19, 0
	;; [unrolled: 1-line block ×4, first 2 shown]
	s_and_saveexec_b32 s1, s0
	s_cbranch_execz .LBB209_19
; %bb.16:
	v_mad_u64_u32 v[8:9], null, v6, 26, 25
	v_mov_b32_e32 v11, 0
	v_mov_b32_e32 v17, 0
	;; [unrolled: 1-line block ×5, first 2 shown]
	s_mov_b32 s0, 0
.LBB209_17:                             ; =>This Inner Loop Header: Depth=1
	v_ashrrev_i32_e32 v7, 31, v6
	v_subrev_nc_u32_e32 v10, 25, v8
	v_add_nc_u32_e32 v14, -12, v8
	v_mov_b32_e32 v15, v11
	v_mov_b32_e32 v9, v11
	v_lshlrev_b64 v[21:22], 2, v[6:7]
	v_lshlrev_b64 v[23:24], 3, v[10:11]
	v_mov_b32_e32 v13, v11
	v_lshlrev_b64 v[14:15], 3, v[14:15]
	v_lshlrev_b64 v[9:10], 3, v[8:9]
	v_add_nc_u32_e32 v6, 16, v6
	v_add_co_u32 v21, vcc_lo, s10, v21
	v_add_co_ci_u32_e64 v22, null, s11, v22, vcc_lo
	v_add_co_u32 v23, vcc_lo, s12, v23
	v_add_co_ci_u32_e64 v24, null, s13, v24, vcc_lo
	global_load_dword v7, v[21:22], off
	v_add_co_u32 v14, vcc_lo, s12, v14
	v_add_co_ci_u32_e64 v15, null, s13, v15, vcc_lo
	v_add_co_u32 v25, vcc_lo, s12, v9
	v_add_co_ci_u32_e64 v26, null, s13, v10, vcc_lo
	s_waitcnt vmcnt(0)
	v_subrev_nc_u32_e32 v7, s2, v7
	v_mul_lo_u32 v12, v7, 13
	v_add_nc_u32_e32 v10, 1, v12
	v_lshlrev_b64 v[21:22], 3, v[12:13]
	v_lshlrev_b64 v[27:28], 3, v[10:11]
	v_add_nc_u32_e32 v10, -11, v8
	v_add_co_u32 v21, vcc_lo, s14, v21
	v_add_co_ci_u32_e64 v22, null, s15, v22, vcc_lo
	v_lshlrev_b64 v[29:30], 3, v[10:11]
	v_subrev_nc_u32_e32 v10, 23, v8
	v_add_co_u32 v27, vcc_lo, s14, v27
	v_add_co_ci_u32_e64 v28, null, s15, v28, vcc_lo
	v_lshlrev_b64 v[31:32], 3, v[10:11]
	v_add_nc_u32_e32 v10, 2, v12
	v_add_co_u32 v29, vcc_lo, s12, v29
	v_add_co_ci_u32_e64 v30, null, s13, v30, vcc_lo
	v_lshlrev_b64 v[33:34], 3, v[10:11]
	v_add_nc_u32_e32 v10, -10, v8
	v_add_co_u32 v31, vcc_lo, s12, v31
	v_add_co_ci_u32_e64 v32, null, s13, v32, vcc_lo
	v_lshlrev_b64 v[35:36], 3, v[10:11]
	v_subrev_nc_u32_e32 v10, 22, v8
	v_add_co_u32 v33, vcc_lo, s14, v33
	v_add_co_ci_u32_e64 v34, null, s15, v34, vcc_lo
	v_lshlrev_b64 v[37:38], 3, v[10:11]
	v_add_nc_u32_e32 v10, 3, v12
	v_add_co_u32 v35, vcc_lo, s12, v35
	v_add_co_ci_u32_e64 v36, null, s13, v36, vcc_lo
	v_lshlrev_b64 v[39:40], 3, v[10:11]
	v_add_nc_u32_e32 v10, -9, v8
	v_add_co_u32 v37, vcc_lo, s12, v37
	v_add_co_ci_u32_e64 v38, null, s13, v38, vcc_lo
	v_lshlrev_b64 v[41:42], 3, v[10:11]
	v_subrev_nc_u32_e32 v10, 21, v8
	v_add_co_u32 v39, vcc_lo, s14, v39
	v_add_co_ci_u32_e64 v40, null, s15, v40, vcc_lo
	v_lshlrev_b64 v[43:44], 3, v[10:11]
	v_add_nc_u32_e32 v10, 4, v12
	v_add_co_u32 v41, vcc_lo, s12, v41
	v_add_co_ci_u32_e64 v42, null, s13, v42, vcc_lo
	v_lshlrev_b64 v[45:46], 3, v[10:11]
	v_add_nc_u32_e32 v10, -8, v8
	v_add_co_u32 v43, vcc_lo, s12, v43
	v_add_co_ci_u32_e64 v44, null, s13, v44, vcc_lo
	v_lshlrev_b64 v[47:48], 3, v[10:11]
	v_subrev_nc_u32_e32 v10, 20, v8
	v_add_co_u32 v45, vcc_lo, s14, v45
	v_add_co_ci_u32_e64 v46, null, s15, v46, vcc_lo
	v_lshlrev_b64 v[49:50], 3, v[10:11]
	v_add_nc_u32_e32 v10, 5, v12
	v_add_co_u32 v47, vcc_lo, s12, v47
	v_add_co_ci_u32_e64 v48, null, s13, v48, vcc_lo
	v_lshlrev_b64 v[51:52], 3, v[10:11]
	v_add_nc_u32_e32 v10, -7, v8
	v_add_co_u32 v49, vcc_lo, s12, v49
	v_add_co_ci_u32_e64 v50, null, s13, v50, vcc_lo
	v_lshlrev_b64 v[53:54], 3, v[10:11]
	v_subrev_nc_u32_e32 v10, 19, v8
	v_add_co_u32 v51, vcc_lo, s14, v51
	v_add_co_ci_u32_e64 v52, null, s15, v52, vcc_lo
	v_lshlrev_b64 v[55:56], 3, v[10:11]
	v_add_nc_u32_e32 v10, 6, v12
	v_add_co_u32 v53, vcc_lo, s12, v53
	v_add_co_ci_u32_e64 v54, null, s13, v54, vcc_lo
	v_lshlrev_b64 v[57:58], 3, v[10:11]
	v_add_nc_u32_e32 v10, -6, v8
	v_add_co_u32 v55, vcc_lo, s12, v55
	v_add_co_ci_u32_e64 v56, null, s13, v56, vcc_lo
	v_lshlrev_b64 v[59:60], 3, v[10:11]
	v_subrev_nc_u32_e32 v10, 18, v8
	v_add_co_u32 v57, vcc_lo, s14, v57
	v_add_co_ci_u32_e64 v58, null, s15, v58, vcc_lo
	v_lshlrev_b64 v[61:62], 3, v[10:11]
	v_add_nc_u32_e32 v10, 7, v12
	v_add_co_u32 v59, vcc_lo, s12, v59
	v_add_co_ci_u32_e64 v60, null, s13, v60, vcc_lo
	v_lshlrev_b64 v[9:10], 3, v[10:11]
	v_add_co_u32 v61, vcc_lo, s12, v61
	v_add_co_ci_u32_e64 v62, null, s13, v62, vcc_lo
	v_add_co_u32 v63, vcc_lo, s14, v9
	v_add_co_ci_u32_e64 v64, null, s15, v10, vcc_lo
	global_load_dwordx2 v[9:10], v[14:15], off
	global_load_dwordx2 v[13:14], v[21:22], off
	s_waitcnt vmcnt(0)
	v_fmac_f32_e32 v20, v9, v13
	v_fmac_f32_e32 v18, v10, v13
	v_fma_f32 v7, -v10, v14, v20
	global_load_dwordx4 v[20:23], v[23:24], off
	global_load_dwordx2 v[27:28], v[27:28], off
	s_clause 0x1
	global_load_dwordx2 v[29:30], v[29:30], off
	global_load_dwordx2 v[31:32], v[31:32], off
	v_fmac_f32_e32 v18, v9, v14
	v_add_nc_u32_e32 v10, -5, v8
	s_waitcnt vmcnt(3)
	v_fmac_f32_e32 v19, v20, v13
	v_fmac_f32_e32 v17, v21, v13
	s_waitcnt vmcnt(1)
	v_fmac_f32_e32 v7, v29, v27
	v_fmac_f32_e32 v18, v30, v27
	v_fma_f32 v9, -v21, v14, v19
	v_fmac_f32_e32 v17, v20, v14
	v_fma_f32 v7, -v30, v28, v7
	v_fmac_f32_e32 v18, v29, v28
	global_load_dwordx2 v[29:30], v[33:34], off
	s_clause 0x1
	global_load_dwordx2 v[33:34], v[35:36], off
	global_load_dwordx2 v[35:36], v[37:38], off
	global_load_dwordx2 v[37:38], v[39:40], off
	s_clause 0x1
	global_load_dwordx2 v[39:40], v[41:42], off
	global_load_dwordx2 v[41:42], v[43:44], off
	;; [unrolled: 4-line block ×3, first 2 shown]
	v_lshlrev_b64 v[13:14], 3, v[10:11]
	v_subrev_nc_u32_e32 v10, 17, v8
	v_fmac_f32_e32 v17, v23, v27
	v_fmac_f32_e32 v9, v22, v27
	v_lshlrev_b64 v[19:20], 3, v[10:11]
	v_add_nc_u32_e32 v10, 8, v12
	v_fmac_f32_e32 v17, v22, v28
	v_fma_f32 v15, -v23, v28, v9
	v_add_co_u32 v13, vcc_lo, s12, v13
	v_lshlrev_b64 v[21:22], 3, v[10:11]
	v_add_nc_u32_e32 v10, -4, v8
	v_add_co_ci_u32_e64 v14, null, s13, v14, vcc_lo
	v_add_co_u32 v19, vcc_lo, s12, v19
	v_lshlrev_b64 v[23:24], 3, v[10:11]
	v_add_nc_u32_e32 v10, -16, v8
	v_add_co_ci_u32_e64 v20, null, s13, v20, vcc_lo
	v_add_co_u32 v21, vcc_lo, s14, v21
	v_lshlrev_b64 v[9:10], 3, v[10:11]
	v_add_co_ci_u32_e64 v22, null, s15, v22, vcc_lo
	v_add_co_u32 v23, vcc_lo, s12, v23
	v_add_co_ci_u32_e64 v24, null, s13, v24, vcc_lo
	v_add_co_u32 v27, vcc_lo, s12, v9
	v_add_co_ci_u32_e64 v28, null, s13, v10, vcc_lo
	v_add_nc_u32_e32 v10, 9, v12
	s_waitcnt vmcnt(8)
	v_fmac_f32_e32 v15, v31, v29
	v_fmac_f32_e32 v17, v32, v29
	s_waitcnt vmcnt(7)
	v_fmac_f32_e32 v7, v33, v29
	v_fmac_f32_e32 v18, v34, v29
	v_fma_f32 v15, -v32, v30, v15
	v_fmac_f32_e32 v17, v31, v30
	v_lshlrev_b64 v[31:32], 3, v[10:11]
	v_add_nc_u32_e32 v10, -3, v8
	v_fma_f32 v7, -v34, v30, v7
	v_fmac_f32_e32 v18, v33, v30
	s_waitcnt vmcnt(5)
	v_fmac_f32_e32 v15, v35, v37
	v_fmac_f32_e32 v17, v36, v37
	v_lshlrev_b64 v[29:30], 3, v[10:11]
	v_add_nc_u32_e32 v10, -15, v8
	v_add_co_u32 v31, vcc_lo, s14, v31
	v_add_co_ci_u32_e64 v32, null, s15, v32, vcc_lo
	v_lshlrev_b64 v[9:10], 3, v[10:11]
	v_add_co_u32 v29, vcc_lo, s12, v29
	v_add_co_ci_u32_e64 v30, null, s13, v30, vcc_lo
	v_fma_f32 v15, -v36, v38, v15
	v_add_co_u32 v33, vcc_lo, s12, v9
	v_add_co_ci_u32_e64 v34, null, s13, v10, vcc_lo
	v_add_nc_u32_e32 v10, 10, v12
	v_fmac_f32_e32 v17, v35, v38
	s_waitcnt vmcnt(4)
	v_fmac_f32_e32 v7, v39, v37
	v_fmac_f32_e32 v18, v40, v37
	s_waitcnt vmcnt(2)
	v_fmac_f32_e32 v15, v41, v43
	v_lshlrev_b64 v[35:36], 3, v[10:11]
	v_add_nc_u32_e32 v10, -2, v8
	v_fma_f32 v7, -v40, v38, v7
	v_fmac_f32_e32 v18, v39, v38
	v_fmac_f32_e32 v17, v42, v43
	v_fma_f32 v65, -v42, v44, v15
	v_lshlrev_b64 v[37:38], 3, v[10:11]
	v_add_nc_u32_e32 v10, -14, v8
	v_add_co_u32 v35, vcc_lo, s14, v35
	v_add_co_ci_u32_e64 v36, null, s15, v36, vcc_lo
	v_lshlrev_b64 v[9:10], 3, v[10:11]
	v_add_co_u32 v37, vcc_lo, s12, v37
	v_add_co_ci_u32_e64 v38, null, s13, v38, vcc_lo
	v_fmac_f32_e32 v17, v41, v44
	v_add_co_u32 v39, vcc_lo, s12, v9
	v_add_co_ci_u32_e64 v40, null, s13, v10, vcc_lo
	v_add_nc_u32_e32 v10, 11, v12
	s_waitcnt vmcnt(1)
	v_fmac_f32_e32 v7, v45, v43
	v_fmac_f32_e32 v18, v46, v43
	v_lshlrev_b64 v[41:42], 3, v[10:11]
	v_add_nc_u32_e32 v10, -1, v8
	v_fma_f32 v7, -v46, v44, v7
	v_fmac_f32_e32 v18, v45, v44
	v_lshlrev_b64 v[43:44], 3, v[10:11]
	v_add_nc_u32_e32 v10, -13, v8
	v_add_co_u32 v41, vcc_lo, s14, v41
	v_add_co_ci_u32_e64 v42, null, s15, v42, vcc_lo
	v_lshlrev_b64 v[45:46], 3, v[10:11]
	v_add_nc_u32_e32 v10, 12, v12
	v_add_co_u32 v43, vcc_lo, s12, v43
	v_add_co_ci_u32_e64 v44, null, s13, v44, vcc_lo
	v_lshlrev_b64 v[9:10], 3, v[10:11]
	v_add_co_u32 v45, vcc_lo, s12, v45
	v_add_co_ci_u32_e64 v46, null, s13, v46, vcc_lo
	v_add_nc_u32_e32 v8, 0x1a0, v8
	v_add_co_u32 v9, vcc_lo, s14, v9
	v_add_co_ci_u32_e64 v10, null, s15, v10, vcc_lo
	global_load_dwordx2 v[49:50], v[51:52], off
	s_clause 0x1
	global_load_dwordx2 v[51:52], v[53:54], off
	global_load_dwordx2 v[53:54], v[55:56], off
	global_load_dwordx2 v[55:56], v[57:58], off
	s_clause 0x1
	global_load_dwordx2 v[57:58], v[59:60], off
	global_load_dwordx2 v[59:60], v[61:62], off
	;; [unrolled: 4-line block ×7, first 2 shown]
	global_load_dwordx2 v[43:44], v[45:46], off
	global_load_dwordx2 v[9:10], v[9:10], off
	v_cmp_ge_i32_e32 vcc_lo, v6, v16
	s_or_b32 s0, vcc_lo, s0
	s_waitcnt vmcnt(22)
	v_fmac_f32_e32 v65, v47, v49
	v_fmac_f32_e32 v17, v48, v49
	s_waitcnt vmcnt(21)
	v_fmac_f32_e32 v7, v51, v49
	v_fmac_f32_e32 v18, v52, v49
	v_fma_f32 v45, -v48, v50, v65
	v_fmac_f32_e32 v17, v47, v50
	v_fma_f32 v7, -v52, v50, v7
	v_fmac_f32_e32 v18, v51, v50
	s_waitcnt vmcnt(19)
	v_fmac_f32_e32 v45, v53, v55
	v_fmac_f32_e32 v17, v54, v55
	s_waitcnt vmcnt(18)
	v_fmac_f32_e32 v7, v57, v55
	v_fmac_f32_e32 v18, v58, v55
	v_fma_f32 v45, -v54, v56, v45
	v_fmac_f32_e32 v17, v53, v56
	v_fma_f32 v7, -v58, v56, v7
	v_fmac_f32_e32 v18, v57, v56
	;; [unrolled: 10-line block ×7, first 2 shown]
	s_waitcnt vmcnt(0)
	v_fmac_f32_e32 v12, v43, v9
	v_fmac_f32_e32 v17, v44, v9
	;; [unrolled: 1-line block ×4, first 2 shown]
	v_fma_f32 v19, -v44, v10, v12
	v_fmac_f32_e32 v17, v43, v10
	v_fma_f32 v20, -v26, v10, v7
	v_fmac_f32_e32 v18, v25, v10
	s_andn2_b32 exec_lo, exec_lo, s0
	s_cbranch_execnz .LBB209_17
; %bb.18:
	s_or_b32 exec_lo, exec_lo, s0
.LBB209_19:
	s_or_b32 exec_lo, exec_lo, s1
.LBB209_20:
	v_mbcnt_lo_u32_b32 v6, -1, 0
	v_xor_b32_e32 v7, 8, v6
	v_xor_b32_e32 v11, 4, v6
	;; [unrolled: 1-line block ×3, first 2 shown]
	v_cmp_gt_i32_e32 vcc_lo, 32, v7
	v_cndmask_b32_e32 v7, v6, v7, vcc_lo
	v_cmp_gt_i32_e32 vcc_lo, 32, v11
	v_lshlrev_b32_e32 v7, 2, v7
	v_cndmask_b32_e32 v11, v6, v11, vcc_lo
	v_cmp_gt_i32_e32 vcc_lo, 32, v15
	ds_bpermute_b32 v8, v7, v19
	ds_bpermute_b32 v9, v7, v17
	;; [unrolled: 1-line block ×4, first 2 shown]
	v_lshlrev_b32_e32 v11, 2, v11
	v_cndmask_b32_e32 v15, v6, v15, vcc_lo
	v_lshlrev_b32_e32 v15, 2, v15
	s_waitcnt lgkmcnt(3)
	v_add_f32_e32 v8, v19, v8
	s_waitcnt lgkmcnt(2)
	v_add_f32_e32 v9, v17, v9
	;; [unrolled: 2-line block ×4, first 2 shown]
	ds_bpermute_b32 v12, v11, v8
	ds_bpermute_b32 v13, v11, v9
	;; [unrolled: 1-line block ×4, first 2 shown]
	s_waitcnt lgkmcnt(3)
	v_add_f32_e32 v8, v8, v12
	s_waitcnt lgkmcnt(2)
	v_add_f32_e32 v9, v9, v13
	;; [unrolled: 2-line block ×4, first 2 shown]
	ds_bpermute_b32 v11, v15, v8
	ds_bpermute_b32 v12, v15, v9
	;; [unrolled: 1-line block ×4, first 2 shown]
	v_xor_b32_e32 v15, 1, v6
	v_cmp_gt_i32_e32 vcc_lo, 32, v15
	v_cndmask_b32_e32 v6, v6, v15, vcc_lo
	v_cmp_eq_u32_e32 vcc_lo, 15, v0
	v_lshlrev_b32_e32 v15, 2, v6
	s_waitcnt lgkmcnt(3)
	v_add_f32_e32 v8, v8, v11
	s_waitcnt lgkmcnt(2)
	v_add_f32_e32 v9, v9, v12
	;; [unrolled: 2-line block ×4, first 2 shown]
	ds_bpermute_b32 v12, v15, v8
	ds_bpermute_b32 v13, v15, v9
	;; [unrolled: 1-line block ×4, first 2 shown]
	s_and_b32 exec_lo, exec_lo, vcc_lo
	s_cbranch_execz .LBB209_25
; %bb.21:
	s_load_dwordx2 s[2:3], s[4:5], 0x38
	v_cmp_eq_f32_e32 vcc_lo, 0, v3
	v_cmp_eq_f32_e64 s0, 0, v4
	s_waitcnt lgkmcnt(0)
	v_add_f32_e32 v0, v8, v12
	v_add_f32_e32 v8, v9, v13
	;; [unrolled: 1-line block ×4, first 2 shown]
	s_and_b32 s0, vcc_lo, s0
	s_and_saveexec_b32 s1, s0
	s_xor_b32 s0, exec_lo, s1
	s_cbranch_execz .LBB209_23
; %bb.22:
	v_lshlrev_b32_e32 v3, 1, v5
	v_mul_f32_e64 v9, v8, -v2
	v_mul_f32_e32 v10, v1, v8
	v_mul_f32_e64 v11, v7, -v2
	v_mul_f32_e32 v12, v1, v7
	v_ashrrev_i32_e32 v4, 31, v3
	v_fmac_f32_e32 v9, v1, v0
	v_fmac_f32_e32 v10, v2, v0
	;; [unrolled: 1-line block ×4, first 2 shown]
	v_lshlrev_b64 v[3:4], 3, v[3:4]
                                        ; implicit-def: $vgpr5
                                        ; implicit-def: $vgpr8
                                        ; implicit-def: $vgpr7
                                        ; implicit-def: $vgpr6
	v_add_co_u32 v0, vcc_lo, s2, v3
	v_add_co_ci_u32_e64 v1, null, s3, v4, vcc_lo
                                        ; implicit-def: $vgpr3_vgpr4
	global_store_dwordx4 v[0:1], v[9:12], off
                                        ; implicit-def: $vgpr1_vgpr2
                                        ; implicit-def: $vgpr0
.LBB209_23:
	s_andn2_saveexec_b32 s0, s0
	s_cbranch_execz .LBB209_25
; %bb.24:
	v_lshlrev_b32_e32 v9, 1, v5
	v_mul_f32_e64 v5, v8, -v2
	v_mul_f32_e32 v14, v1, v8
	v_mul_f32_e64 v8, v7, -v2
	v_mul_f32_e32 v16, v1, v7
	v_ashrrev_i32_e32 v10, 31, v9
	v_fmac_f32_e32 v5, v1, v0
	v_fmac_f32_e32 v14, v2, v0
	;; [unrolled: 1-line block ×4, first 2 shown]
	v_lshlrev_b64 v[9:10], 3, v[9:10]
	v_add_co_u32 v17, vcc_lo, s2, v9
	v_add_co_ci_u32_e64 v18, null, s3, v10, vcc_lo
	global_load_dwordx4 v[9:12], v[17:18], off
	s_waitcnt vmcnt(0)
	v_fmac_f32_e32 v5, v3, v9
	v_fmac_f32_e32 v14, v4, v9
	;; [unrolled: 1-line block ×4, first 2 shown]
	v_fma_f32 v13, -v4, v10, v5
	v_fmac_f32_e32 v14, v3, v10
	v_fma_f32 v15, -v4, v12, v8
	v_fmac_f32_e32 v16, v3, v12
	global_store_dwordx4 v[17:18], v[13:16], off
.LBB209_25:
	s_endpgm
	.section	.rodata,"a",@progbits
	.p2align	6, 0x0
	.amdhsa_kernel _ZN9rocsparseL19gebsrmvn_2xn_kernelILj128ELj13ELj16E21rocsparse_complex_numIfEEEvi20rocsparse_direction_NS_24const_host_device_scalarIT2_EEPKiS8_PKS5_SA_S6_PS5_21rocsparse_index_base_b
		.amdhsa_group_segment_fixed_size 0
		.amdhsa_private_segment_fixed_size 0
		.amdhsa_kernarg_size 72
		.amdhsa_user_sgpr_count 6
		.amdhsa_user_sgpr_private_segment_buffer 1
		.amdhsa_user_sgpr_dispatch_ptr 0
		.amdhsa_user_sgpr_queue_ptr 0
		.amdhsa_user_sgpr_kernarg_segment_ptr 1
		.amdhsa_user_sgpr_dispatch_id 0
		.amdhsa_user_sgpr_flat_scratch_init 0
		.amdhsa_user_sgpr_private_segment_size 0
		.amdhsa_wavefront_size32 1
		.amdhsa_uses_dynamic_stack 0
		.amdhsa_system_sgpr_private_segment_wavefront_offset 0
		.amdhsa_system_sgpr_workgroup_id_x 1
		.amdhsa_system_sgpr_workgroup_id_y 0
		.amdhsa_system_sgpr_workgroup_id_z 0
		.amdhsa_system_sgpr_workgroup_info 0
		.amdhsa_system_vgpr_workitem_id 0
		.amdhsa_next_free_vgpr 66
		.amdhsa_next_free_sgpr 16
		.amdhsa_reserve_vcc 1
		.amdhsa_reserve_flat_scratch 0
		.amdhsa_float_round_mode_32 0
		.amdhsa_float_round_mode_16_64 0
		.amdhsa_float_denorm_mode_32 3
		.amdhsa_float_denorm_mode_16_64 3
		.amdhsa_dx10_clamp 1
		.amdhsa_ieee_mode 1
		.amdhsa_fp16_overflow 0
		.amdhsa_workgroup_processor_mode 1
		.amdhsa_memory_ordered 1
		.amdhsa_forward_progress 1
		.amdhsa_shared_vgpr_count 0
		.amdhsa_exception_fp_ieee_invalid_op 0
		.amdhsa_exception_fp_denorm_src 0
		.amdhsa_exception_fp_ieee_div_zero 0
		.amdhsa_exception_fp_ieee_overflow 0
		.amdhsa_exception_fp_ieee_underflow 0
		.amdhsa_exception_fp_ieee_inexact 0
		.amdhsa_exception_int_div_zero 0
	.end_amdhsa_kernel
	.section	.text._ZN9rocsparseL19gebsrmvn_2xn_kernelILj128ELj13ELj16E21rocsparse_complex_numIfEEEvi20rocsparse_direction_NS_24const_host_device_scalarIT2_EEPKiS8_PKS5_SA_S6_PS5_21rocsparse_index_base_b,"axG",@progbits,_ZN9rocsparseL19gebsrmvn_2xn_kernelILj128ELj13ELj16E21rocsparse_complex_numIfEEEvi20rocsparse_direction_NS_24const_host_device_scalarIT2_EEPKiS8_PKS5_SA_S6_PS5_21rocsparse_index_base_b,comdat
.Lfunc_end209:
	.size	_ZN9rocsparseL19gebsrmvn_2xn_kernelILj128ELj13ELj16E21rocsparse_complex_numIfEEEvi20rocsparse_direction_NS_24const_host_device_scalarIT2_EEPKiS8_PKS5_SA_S6_PS5_21rocsparse_index_base_b, .Lfunc_end209-_ZN9rocsparseL19gebsrmvn_2xn_kernelILj128ELj13ELj16E21rocsparse_complex_numIfEEEvi20rocsparse_direction_NS_24const_host_device_scalarIT2_EEPKiS8_PKS5_SA_S6_PS5_21rocsparse_index_base_b
                                        ; -- End function
	.set _ZN9rocsparseL19gebsrmvn_2xn_kernelILj128ELj13ELj16E21rocsparse_complex_numIfEEEvi20rocsparse_direction_NS_24const_host_device_scalarIT2_EEPKiS8_PKS5_SA_S6_PS5_21rocsparse_index_base_b.num_vgpr, 66
	.set _ZN9rocsparseL19gebsrmvn_2xn_kernelILj128ELj13ELj16E21rocsparse_complex_numIfEEEvi20rocsparse_direction_NS_24const_host_device_scalarIT2_EEPKiS8_PKS5_SA_S6_PS5_21rocsparse_index_base_b.num_agpr, 0
	.set _ZN9rocsparseL19gebsrmvn_2xn_kernelILj128ELj13ELj16E21rocsparse_complex_numIfEEEvi20rocsparse_direction_NS_24const_host_device_scalarIT2_EEPKiS8_PKS5_SA_S6_PS5_21rocsparse_index_base_b.numbered_sgpr, 16
	.set _ZN9rocsparseL19gebsrmvn_2xn_kernelILj128ELj13ELj16E21rocsparse_complex_numIfEEEvi20rocsparse_direction_NS_24const_host_device_scalarIT2_EEPKiS8_PKS5_SA_S6_PS5_21rocsparse_index_base_b.num_named_barrier, 0
	.set _ZN9rocsparseL19gebsrmvn_2xn_kernelILj128ELj13ELj16E21rocsparse_complex_numIfEEEvi20rocsparse_direction_NS_24const_host_device_scalarIT2_EEPKiS8_PKS5_SA_S6_PS5_21rocsparse_index_base_b.private_seg_size, 0
	.set _ZN9rocsparseL19gebsrmvn_2xn_kernelILj128ELj13ELj16E21rocsparse_complex_numIfEEEvi20rocsparse_direction_NS_24const_host_device_scalarIT2_EEPKiS8_PKS5_SA_S6_PS5_21rocsparse_index_base_b.uses_vcc, 1
	.set _ZN9rocsparseL19gebsrmvn_2xn_kernelILj128ELj13ELj16E21rocsparse_complex_numIfEEEvi20rocsparse_direction_NS_24const_host_device_scalarIT2_EEPKiS8_PKS5_SA_S6_PS5_21rocsparse_index_base_b.uses_flat_scratch, 0
	.set _ZN9rocsparseL19gebsrmvn_2xn_kernelILj128ELj13ELj16E21rocsparse_complex_numIfEEEvi20rocsparse_direction_NS_24const_host_device_scalarIT2_EEPKiS8_PKS5_SA_S6_PS5_21rocsparse_index_base_b.has_dyn_sized_stack, 0
	.set _ZN9rocsparseL19gebsrmvn_2xn_kernelILj128ELj13ELj16E21rocsparse_complex_numIfEEEvi20rocsparse_direction_NS_24const_host_device_scalarIT2_EEPKiS8_PKS5_SA_S6_PS5_21rocsparse_index_base_b.has_recursion, 0
	.set _ZN9rocsparseL19gebsrmvn_2xn_kernelILj128ELj13ELj16E21rocsparse_complex_numIfEEEvi20rocsparse_direction_NS_24const_host_device_scalarIT2_EEPKiS8_PKS5_SA_S6_PS5_21rocsparse_index_base_b.has_indirect_call, 0
	.section	.AMDGPU.csdata,"",@progbits
; Kernel info:
; codeLenInByte = 3788
; TotalNumSgprs: 18
; NumVgprs: 66
; ScratchSize: 0
; MemoryBound: 0
; FloatMode: 240
; IeeeMode: 1
; LDSByteSize: 0 bytes/workgroup (compile time only)
; SGPRBlocks: 0
; VGPRBlocks: 8
; NumSGPRsForWavesPerEU: 18
; NumVGPRsForWavesPerEU: 66
; Occupancy: 12
; WaveLimiterHint : 1
; COMPUTE_PGM_RSRC2:SCRATCH_EN: 0
; COMPUTE_PGM_RSRC2:USER_SGPR: 6
; COMPUTE_PGM_RSRC2:TRAP_HANDLER: 0
; COMPUTE_PGM_RSRC2:TGID_X_EN: 1
; COMPUTE_PGM_RSRC2:TGID_Y_EN: 0
; COMPUTE_PGM_RSRC2:TGID_Z_EN: 0
; COMPUTE_PGM_RSRC2:TIDIG_COMP_CNT: 0
	.section	.text._ZN9rocsparseL19gebsrmvn_2xn_kernelILj128ELj13ELj32E21rocsparse_complex_numIfEEEvi20rocsparse_direction_NS_24const_host_device_scalarIT2_EEPKiS8_PKS5_SA_S6_PS5_21rocsparse_index_base_b,"axG",@progbits,_ZN9rocsparseL19gebsrmvn_2xn_kernelILj128ELj13ELj32E21rocsparse_complex_numIfEEEvi20rocsparse_direction_NS_24const_host_device_scalarIT2_EEPKiS8_PKS5_SA_S6_PS5_21rocsparse_index_base_b,comdat
	.globl	_ZN9rocsparseL19gebsrmvn_2xn_kernelILj128ELj13ELj32E21rocsparse_complex_numIfEEEvi20rocsparse_direction_NS_24const_host_device_scalarIT2_EEPKiS8_PKS5_SA_S6_PS5_21rocsparse_index_base_b ; -- Begin function _ZN9rocsparseL19gebsrmvn_2xn_kernelILj128ELj13ELj32E21rocsparse_complex_numIfEEEvi20rocsparse_direction_NS_24const_host_device_scalarIT2_EEPKiS8_PKS5_SA_S6_PS5_21rocsparse_index_base_b
	.p2align	8
	.type	_ZN9rocsparseL19gebsrmvn_2xn_kernelILj128ELj13ELj32E21rocsparse_complex_numIfEEEvi20rocsparse_direction_NS_24const_host_device_scalarIT2_EEPKiS8_PKS5_SA_S6_PS5_21rocsparse_index_base_b,@function
_ZN9rocsparseL19gebsrmvn_2xn_kernelILj128ELj13ELj32E21rocsparse_complex_numIfEEEvi20rocsparse_direction_NS_24const_host_device_scalarIT2_EEPKiS8_PKS5_SA_S6_PS5_21rocsparse_index_base_b: ; @_ZN9rocsparseL19gebsrmvn_2xn_kernelILj128ELj13ELj32E21rocsparse_complex_numIfEEEvi20rocsparse_direction_NS_24const_host_device_scalarIT2_EEPKiS8_PKS5_SA_S6_PS5_21rocsparse_index_base_b
; %bb.0:
	s_clause 0x2
	s_load_dwordx2 s[2:3], s[4:5], 0x40
	s_load_dwordx2 s[0:1], s[4:5], 0x8
	;; [unrolled: 1-line block ×3, first 2 shown]
	s_add_u32 s7, s4, 8
	s_addc_u32 s10, s5, 0
	s_add_u32 s11, s4, 48
	s_addc_u32 s12, s5, 0
	s_waitcnt lgkmcnt(0)
	s_bitcmp1_b32 s3, 0
	s_cselect_b32 s0, s7, s0
	s_cselect_b32 s1, s10, s1
	v_mov_b32_e32 v1, s0
	v_mov_b32_e32 v2, s1
	s_cselect_b32 s0, s11, s8
	s_cselect_b32 s1, s12, s9
	v_mov_b32_e32 v3, s0
	v_mov_b32_e32 v4, s1
	flat_load_dwordx2 v[1:2], v[1:2]
	flat_load_dwordx2 v[3:4], v[3:4]
	s_waitcnt vmcnt(1) lgkmcnt(1)
	v_cmp_eq_f32_e32 vcc_lo, 0, v1
	v_cmp_eq_f32_e64 s0, 0, v2
	s_and_b32 s3, vcc_lo, s0
	s_mov_b32 s0, -1
	s_and_saveexec_b32 s1, s3
	s_cbranch_execz .LBB210_2
; %bb.1:
	s_waitcnt vmcnt(0) lgkmcnt(0)
	v_cmp_neq_f32_e32 vcc_lo, 1.0, v3
	v_cmp_neq_f32_e64 s0, 0, v4
	s_or_b32 s0, vcc_lo, s0
	s_orn2_b32 s0, s0, exec_lo
.LBB210_2:
	s_or_b32 exec_lo, exec_lo, s1
	s_and_saveexec_b32 s1, s0
	s_cbranch_execz .LBB210_25
; %bb.3:
	s_load_dwordx2 s[0:1], s[4:5], 0x0
	v_lshrrev_b32_e32 v5, 5, v0
	v_lshl_or_b32 v5, s6, 2, v5
	s_waitcnt lgkmcnt(0)
	v_cmp_gt_i32_e32 vcc_lo, s0, v5
	s_and_b32 exec_lo, exec_lo, vcc_lo
	s_cbranch_execz .LBB210_25
; %bb.4:
	s_load_dwordx8 s[8:15], s[4:5], 0x10
	v_ashrrev_i32_e32 v6, 31, v5
	v_and_b32_e32 v0, 31, v0
	s_cmp_lg_u32 s1, 0
	v_lshlrev_b64 v[6:7], 2, v[5:6]
	s_waitcnt lgkmcnt(0)
	v_add_co_u32 v6, vcc_lo, s8, v6
	v_add_co_ci_u32_e64 v7, null, s9, v7, vcc_lo
	global_load_dwordx2 v[7:8], v[6:7], off
	s_waitcnt vmcnt(0)
	v_subrev_nc_u32_e32 v6, s2, v7
	v_subrev_nc_u32_e32 v16, s2, v8
	v_add_nc_u32_e32 v6, v6, v0
	v_cmp_lt_i32_e64 s0, v6, v16
	s_cbranch_scc0 .LBB210_12
; %bb.5:
	v_mov_b32_e32 v17, 0
	v_mov_b32_e32 v19, 0
	;; [unrolled: 1-line block ×4, first 2 shown]
	s_and_saveexec_b32 s1, s0
	s_cbranch_execz .LBB210_14
; %bb.6:
	v_mul_lo_u32 v7, v7, 26
	v_mul_lo_u32 v12, v6, 26
	s_mul_i32 s3, s2, 26
	v_mov_b32_e32 v8, 0
	v_mov_b32_e32 v9, v6
	;; [unrolled: 1-line block ×5, first 2 shown]
	v_mad_u32_u24 v7, v0, 26, v7
	v_mov_b32_e32 v18, 0
	v_subrev_nc_u32_e32 v13, s3, v7
	s_mov_b32 s3, 0
	s_branch .LBB210_8
.LBB210_7:                              ;   in Loop: Header=BB210_8 Depth=1
	v_add_nc_u32_e32 v9, 32, v9
	v_add_nc_u32_e32 v12, 0x340, v12
	;; [unrolled: 1-line block ×3, first 2 shown]
	v_cmp_ge_i32_e32 vcc_lo, v9, v16
	s_or_b32 s3, vcc_lo, s3
	s_andn2_b32 exec_lo, exec_lo, s3
	s_cbranch_execz .LBB210_13
.LBB210_8:                              ; =>This Loop Header: Depth=1
                                        ;     Child Loop BB210_10 Depth 2
	v_ashrrev_i32_e32 v10, 31, v9
	v_mov_b32_e32 v14, v17
	v_mov_b32_e32 v21, v19
	;; [unrolled: 1-line block ×4, first 2 shown]
	v_lshlrev_b64 v[10:11], 2, v[9:10]
	s_mov_b32 s6, 0
	v_add_co_u32 v10, vcc_lo, s10, v10
	v_add_co_ci_u32_e64 v11, null, s11, v11, vcc_lo
	global_load_dword v7, v[10:11], off
	s_waitcnt vmcnt(0)
	v_subrev_nc_u32_e32 v7, s2, v7
	v_mul_lo_u32 v10, v7, 13
	s_branch .LBB210_10
.LBB210_9:                              ;   in Loop: Header=BB210_8 Depth=1
                                        ; implicit-def: $vgpr15
                                        ; implicit-def: $vgpr22
                                        ; implicit-def: $vgpr21
                                        ; implicit-def: $vgpr14
                                        ; implicit-def: $sgpr6
                                        ; implicit-def: $vgpr10
	s_branch .LBB210_7
.LBB210_10:                             ;   Parent Loop BB210_8 Depth=1
                                        ; =>  This Inner Loop Header: Depth=2
	v_add_nc_u32_e32 v7, s6, v13
	v_mov_b32_e32 v11, v8
	s_cmp_eq_u32 s6, 24
	v_lshlrev_b64 v[17:18], 3, v[7:8]
	v_lshlrev_b64 v[19:20], 3, v[10:11]
	v_add_co_u32 v17, vcc_lo, s12, v17
	v_add_co_ci_u32_e64 v18, null, s13, v18, vcc_lo
	v_add_co_u32 v19, vcc_lo, s14, v19
	v_add_co_ci_u32_e64 v20, null, s15, v20, vcc_lo
	global_load_dwordx4 v[23:26], v[17:18], off
	global_load_dwordx2 v[27:28], v[19:20], off
	s_waitcnt vmcnt(0)
	v_fmac_f32_e32 v14, v24, v27
	v_fmac_f32_e32 v15, v26, v27
	;; [unrolled: 1-line block ×4, first 2 shown]
	v_mov_b32_e32 v17, v14
	v_mov_b32_e32 v18, v15
	v_fma_f32 v19, -v24, v28, v21
	v_fma_f32 v20, -v26, v28, v22
	v_fmac_f32_e32 v17, v23, v28
	v_fmac_f32_e32 v18, v25, v28
	s_cbranch_scc1 .LBB210_9
; %bb.11:                               ;   in Loop: Header=BB210_10 Depth=2
	v_add_nc_u32_e32 v11, s6, v12
	s_add_i32 s6, s6, 8
	v_add_nc_u32_e32 v7, 2, v11
	v_lshlrev_b64 v[14:15], 3, v[7:8]
	v_add_nc_u32_e32 v7, 1, v10
	v_lshlrev_b64 v[21:22], 3, v[7:8]
	v_add_nc_u32_e32 v7, 4, v11
	v_add_co_u32 v14, vcc_lo, s12, v14
	v_add_co_ci_u32_e64 v15, null, s13, v15, vcc_lo
	v_lshlrev_b64 v[25:26], 3, v[7:8]
	v_add_co_u32 v27, vcc_lo, s14, v21
	v_add_co_ci_u32_e64 v28, null, s15, v22, vcc_lo
	v_add_nc_u32_e32 v7, 2, v10
	v_add_co_u32 v25, vcc_lo, s12, v25
	v_add_co_ci_u32_e64 v26, null, s13, v26, vcc_lo
	global_load_dwordx4 v[21:24], v[14:15], off
	global_load_dwordx2 v[33:34], v[27:28], off
	global_load_dwordx4 v[25:28], v[25:26], off
	v_lshlrev_b64 v[14:15], 3, v[7:8]
	v_add_nc_u32_e32 v7, 6, v11
	v_lshlrev_b64 v[29:30], 3, v[7:8]
	v_add_nc_u32_e32 v7, 3, v10
	v_add_co_u32 v14, vcc_lo, s14, v14
	v_add_co_ci_u32_e64 v15, null, s15, v15, vcc_lo
	v_lshlrev_b64 v[31:32], 3, v[7:8]
	v_add_nc_u32_e32 v10, 4, v10
	global_load_dwordx2 v[35:36], v[14:15], off
	v_add_co_u32 v14, vcc_lo, s12, v29
	v_add_co_ci_u32_e64 v15, null, s13, v30, vcc_lo
	v_add_co_u32 v37, vcc_lo, s14, v31
	v_add_co_ci_u32_e64 v38, null, s15, v32, vcc_lo
	global_load_dwordx4 v[29:32], v[14:15], off
	global_load_dwordx2 v[37:38], v[37:38], off
	s_waitcnt vmcnt(4)
	v_fma_f32 v7, v21, v33, v19
	v_fma_f32 v14, v22, v33, v17
	;; [unrolled: 1-line block ×4, first 2 shown]
	v_fma_f32 v7, -v22, v34, v7
	v_fmac_f32_e32 v14, v21, v34
	v_fma_f32 v11, -v24, v34, v11
	v_fmac_f32_e32 v15, v23, v34
	s_waitcnt vmcnt(2)
	v_fmac_f32_e32 v7, v25, v35
	v_fmac_f32_e32 v14, v26, v35
	;; [unrolled: 1-line block ×4, first 2 shown]
	v_fma_f32 v7, -v26, v36, v7
	v_fmac_f32_e32 v14, v25, v36
	v_fma_f32 v11, -v28, v36, v11
	v_fmac_f32_e32 v15, v27, v36
	s_waitcnt vmcnt(0)
	v_fmac_f32_e32 v7, v29, v37
	v_fmac_f32_e32 v14, v30, v37
	;; [unrolled: 1-line block ×4, first 2 shown]
	v_fma_f32 v21, -v30, v38, v7
	v_fmac_f32_e32 v14, v29, v38
	v_fma_f32 v22, -v32, v38, v11
	v_fmac_f32_e32 v15, v31, v38
	s_cbranch_execnz .LBB210_10
	s_branch .LBB210_7
.LBB210_12:
                                        ; implicit-def: $vgpr17
                                        ; implicit-def: $vgpr19
                                        ; implicit-def: $vgpr20
                                        ; implicit-def: $vgpr18
	s_branch .LBB210_15
.LBB210_13:
	s_or_b32 exec_lo, exec_lo, s3
.LBB210_14:
	s_or_b32 exec_lo, exec_lo, s1
	s_cbranch_execnz .LBB210_20
.LBB210_15:
	v_mov_b32_e32 v17, 0
	v_mov_b32_e32 v19, 0
	;; [unrolled: 1-line block ×4, first 2 shown]
	s_and_saveexec_b32 s1, s0
	s_cbranch_execz .LBB210_19
; %bb.16:
	v_mad_u64_u32 v[8:9], null, v6, 26, 25
	v_mov_b32_e32 v11, 0
	v_mov_b32_e32 v17, 0
	;; [unrolled: 1-line block ×5, first 2 shown]
	s_mov_b32 s0, 0
.LBB210_17:                             ; =>This Inner Loop Header: Depth=1
	v_ashrrev_i32_e32 v7, 31, v6
	v_subrev_nc_u32_e32 v10, 25, v8
	v_add_nc_u32_e32 v14, -12, v8
	v_mov_b32_e32 v15, v11
	v_mov_b32_e32 v9, v11
	v_lshlrev_b64 v[21:22], 2, v[6:7]
	v_lshlrev_b64 v[23:24], 3, v[10:11]
	v_mov_b32_e32 v13, v11
	v_lshlrev_b64 v[14:15], 3, v[14:15]
	v_lshlrev_b64 v[9:10], 3, v[8:9]
	v_add_nc_u32_e32 v6, 32, v6
	v_add_co_u32 v21, vcc_lo, s10, v21
	v_add_co_ci_u32_e64 v22, null, s11, v22, vcc_lo
	v_add_co_u32 v23, vcc_lo, s12, v23
	v_add_co_ci_u32_e64 v24, null, s13, v24, vcc_lo
	global_load_dword v7, v[21:22], off
	v_add_co_u32 v14, vcc_lo, s12, v14
	v_add_co_ci_u32_e64 v15, null, s13, v15, vcc_lo
	v_add_co_u32 v25, vcc_lo, s12, v9
	v_add_co_ci_u32_e64 v26, null, s13, v10, vcc_lo
	s_waitcnt vmcnt(0)
	v_subrev_nc_u32_e32 v7, s2, v7
	v_mul_lo_u32 v12, v7, 13
	v_add_nc_u32_e32 v10, 1, v12
	v_lshlrev_b64 v[21:22], 3, v[12:13]
	v_lshlrev_b64 v[27:28], 3, v[10:11]
	v_add_nc_u32_e32 v10, -11, v8
	v_add_co_u32 v21, vcc_lo, s14, v21
	v_add_co_ci_u32_e64 v22, null, s15, v22, vcc_lo
	v_lshlrev_b64 v[29:30], 3, v[10:11]
	v_subrev_nc_u32_e32 v10, 23, v8
	v_add_co_u32 v27, vcc_lo, s14, v27
	v_add_co_ci_u32_e64 v28, null, s15, v28, vcc_lo
	v_lshlrev_b64 v[31:32], 3, v[10:11]
	v_add_nc_u32_e32 v10, 2, v12
	v_add_co_u32 v29, vcc_lo, s12, v29
	v_add_co_ci_u32_e64 v30, null, s13, v30, vcc_lo
	v_lshlrev_b64 v[33:34], 3, v[10:11]
	v_add_nc_u32_e32 v10, -10, v8
	v_add_co_u32 v31, vcc_lo, s12, v31
	v_add_co_ci_u32_e64 v32, null, s13, v32, vcc_lo
	v_lshlrev_b64 v[35:36], 3, v[10:11]
	v_subrev_nc_u32_e32 v10, 22, v8
	v_add_co_u32 v33, vcc_lo, s14, v33
	v_add_co_ci_u32_e64 v34, null, s15, v34, vcc_lo
	v_lshlrev_b64 v[37:38], 3, v[10:11]
	v_add_nc_u32_e32 v10, 3, v12
	v_add_co_u32 v35, vcc_lo, s12, v35
	v_add_co_ci_u32_e64 v36, null, s13, v36, vcc_lo
	;; [unrolled: 12-line block ×6, first 2 shown]
	v_lshlrev_b64 v[9:10], 3, v[10:11]
	v_add_co_u32 v61, vcc_lo, s12, v61
	v_add_co_ci_u32_e64 v62, null, s13, v62, vcc_lo
	v_add_co_u32 v63, vcc_lo, s14, v9
	v_add_co_ci_u32_e64 v64, null, s15, v10, vcc_lo
	global_load_dwordx2 v[9:10], v[14:15], off
	global_load_dwordx2 v[13:14], v[21:22], off
	s_waitcnt vmcnt(0)
	v_fmac_f32_e32 v20, v9, v13
	v_fmac_f32_e32 v18, v10, v13
	v_fma_f32 v7, -v10, v14, v20
	global_load_dwordx4 v[20:23], v[23:24], off
	global_load_dwordx2 v[27:28], v[27:28], off
	s_clause 0x1
	global_load_dwordx2 v[29:30], v[29:30], off
	global_load_dwordx2 v[31:32], v[31:32], off
	v_fmac_f32_e32 v18, v9, v14
	v_add_nc_u32_e32 v10, -5, v8
	s_waitcnt vmcnt(3)
	v_fmac_f32_e32 v19, v20, v13
	v_fmac_f32_e32 v17, v21, v13
	s_waitcnt vmcnt(1)
	v_fmac_f32_e32 v7, v29, v27
	v_fmac_f32_e32 v18, v30, v27
	v_fma_f32 v9, -v21, v14, v19
	v_fmac_f32_e32 v17, v20, v14
	v_fma_f32 v7, -v30, v28, v7
	v_fmac_f32_e32 v18, v29, v28
	global_load_dwordx2 v[29:30], v[33:34], off
	s_clause 0x1
	global_load_dwordx2 v[33:34], v[35:36], off
	global_load_dwordx2 v[35:36], v[37:38], off
	global_load_dwordx2 v[37:38], v[39:40], off
	s_clause 0x1
	global_load_dwordx2 v[39:40], v[41:42], off
	global_load_dwordx2 v[41:42], v[43:44], off
	;; [unrolled: 4-line block ×3, first 2 shown]
	v_lshlrev_b64 v[13:14], 3, v[10:11]
	v_subrev_nc_u32_e32 v10, 17, v8
	v_fmac_f32_e32 v17, v23, v27
	v_fmac_f32_e32 v9, v22, v27
	v_lshlrev_b64 v[19:20], 3, v[10:11]
	v_add_nc_u32_e32 v10, 8, v12
	v_fmac_f32_e32 v17, v22, v28
	v_fma_f32 v15, -v23, v28, v9
	v_add_co_u32 v13, vcc_lo, s12, v13
	v_lshlrev_b64 v[21:22], 3, v[10:11]
	v_add_nc_u32_e32 v10, -4, v8
	v_add_co_ci_u32_e64 v14, null, s13, v14, vcc_lo
	v_add_co_u32 v19, vcc_lo, s12, v19
	v_lshlrev_b64 v[23:24], 3, v[10:11]
	v_add_nc_u32_e32 v10, -16, v8
	v_add_co_ci_u32_e64 v20, null, s13, v20, vcc_lo
	v_add_co_u32 v21, vcc_lo, s14, v21
	v_lshlrev_b64 v[9:10], 3, v[10:11]
	v_add_co_ci_u32_e64 v22, null, s15, v22, vcc_lo
	v_add_co_u32 v23, vcc_lo, s12, v23
	v_add_co_ci_u32_e64 v24, null, s13, v24, vcc_lo
	v_add_co_u32 v27, vcc_lo, s12, v9
	v_add_co_ci_u32_e64 v28, null, s13, v10, vcc_lo
	v_add_nc_u32_e32 v10, 9, v12
	s_waitcnt vmcnt(8)
	v_fmac_f32_e32 v15, v31, v29
	v_fmac_f32_e32 v17, v32, v29
	s_waitcnt vmcnt(7)
	v_fmac_f32_e32 v7, v33, v29
	v_fmac_f32_e32 v18, v34, v29
	v_fma_f32 v15, -v32, v30, v15
	v_fmac_f32_e32 v17, v31, v30
	v_lshlrev_b64 v[31:32], 3, v[10:11]
	v_add_nc_u32_e32 v10, -3, v8
	v_fma_f32 v7, -v34, v30, v7
	v_fmac_f32_e32 v18, v33, v30
	s_waitcnt vmcnt(5)
	v_fmac_f32_e32 v15, v35, v37
	v_fmac_f32_e32 v17, v36, v37
	v_lshlrev_b64 v[29:30], 3, v[10:11]
	v_add_nc_u32_e32 v10, -15, v8
	v_add_co_u32 v31, vcc_lo, s14, v31
	v_add_co_ci_u32_e64 v32, null, s15, v32, vcc_lo
	v_lshlrev_b64 v[9:10], 3, v[10:11]
	v_add_co_u32 v29, vcc_lo, s12, v29
	v_add_co_ci_u32_e64 v30, null, s13, v30, vcc_lo
	v_fma_f32 v15, -v36, v38, v15
	v_add_co_u32 v33, vcc_lo, s12, v9
	v_add_co_ci_u32_e64 v34, null, s13, v10, vcc_lo
	v_add_nc_u32_e32 v10, 10, v12
	v_fmac_f32_e32 v17, v35, v38
	s_waitcnt vmcnt(4)
	v_fmac_f32_e32 v7, v39, v37
	v_fmac_f32_e32 v18, v40, v37
	s_waitcnt vmcnt(2)
	v_fmac_f32_e32 v15, v41, v43
	v_lshlrev_b64 v[35:36], 3, v[10:11]
	v_add_nc_u32_e32 v10, -2, v8
	v_fma_f32 v7, -v40, v38, v7
	v_fmac_f32_e32 v18, v39, v38
	v_fmac_f32_e32 v17, v42, v43
	v_fma_f32 v65, -v42, v44, v15
	v_lshlrev_b64 v[37:38], 3, v[10:11]
	v_add_nc_u32_e32 v10, -14, v8
	v_add_co_u32 v35, vcc_lo, s14, v35
	v_add_co_ci_u32_e64 v36, null, s15, v36, vcc_lo
	v_lshlrev_b64 v[9:10], 3, v[10:11]
	v_add_co_u32 v37, vcc_lo, s12, v37
	v_add_co_ci_u32_e64 v38, null, s13, v38, vcc_lo
	v_fmac_f32_e32 v17, v41, v44
	v_add_co_u32 v39, vcc_lo, s12, v9
	v_add_co_ci_u32_e64 v40, null, s13, v10, vcc_lo
	v_add_nc_u32_e32 v10, 11, v12
	s_waitcnt vmcnt(1)
	v_fmac_f32_e32 v7, v45, v43
	v_fmac_f32_e32 v18, v46, v43
	v_lshlrev_b64 v[41:42], 3, v[10:11]
	v_add_nc_u32_e32 v10, -1, v8
	v_fma_f32 v7, -v46, v44, v7
	v_fmac_f32_e32 v18, v45, v44
	v_lshlrev_b64 v[43:44], 3, v[10:11]
	v_add_nc_u32_e32 v10, -13, v8
	v_add_co_u32 v41, vcc_lo, s14, v41
	v_add_co_ci_u32_e64 v42, null, s15, v42, vcc_lo
	v_lshlrev_b64 v[45:46], 3, v[10:11]
	v_add_nc_u32_e32 v10, 12, v12
	v_add_co_u32 v43, vcc_lo, s12, v43
	v_add_co_ci_u32_e64 v44, null, s13, v44, vcc_lo
	v_lshlrev_b64 v[9:10], 3, v[10:11]
	v_add_co_u32 v45, vcc_lo, s12, v45
	v_add_co_ci_u32_e64 v46, null, s13, v46, vcc_lo
	v_add_nc_u32_e32 v8, 0x340, v8
	v_add_co_u32 v9, vcc_lo, s14, v9
	v_add_co_ci_u32_e64 v10, null, s15, v10, vcc_lo
	global_load_dwordx2 v[49:50], v[51:52], off
	s_clause 0x1
	global_load_dwordx2 v[51:52], v[53:54], off
	global_load_dwordx2 v[53:54], v[55:56], off
	global_load_dwordx2 v[55:56], v[57:58], off
	s_clause 0x1
	global_load_dwordx2 v[57:58], v[59:60], off
	global_load_dwordx2 v[59:60], v[61:62], off
	;; [unrolled: 4-line block ×7, first 2 shown]
	global_load_dwordx2 v[43:44], v[45:46], off
	global_load_dwordx2 v[9:10], v[9:10], off
	v_cmp_ge_i32_e32 vcc_lo, v6, v16
	s_or_b32 s0, vcc_lo, s0
	s_waitcnt vmcnt(22)
	v_fmac_f32_e32 v65, v47, v49
	v_fmac_f32_e32 v17, v48, v49
	s_waitcnt vmcnt(21)
	v_fmac_f32_e32 v7, v51, v49
	v_fmac_f32_e32 v18, v52, v49
	v_fma_f32 v45, -v48, v50, v65
	v_fmac_f32_e32 v17, v47, v50
	v_fma_f32 v7, -v52, v50, v7
	v_fmac_f32_e32 v18, v51, v50
	s_waitcnt vmcnt(19)
	v_fmac_f32_e32 v45, v53, v55
	v_fmac_f32_e32 v17, v54, v55
	s_waitcnt vmcnt(18)
	v_fmac_f32_e32 v7, v57, v55
	v_fmac_f32_e32 v18, v58, v55
	v_fma_f32 v45, -v54, v56, v45
	v_fmac_f32_e32 v17, v53, v56
	v_fma_f32 v7, -v58, v56, v7
	v_fmac_f32_e32 v18, v57, v56
	;; [unrolled: 10-line block ×7, first 2 shown]
	s_waitcnt vmcnt(0)
	v_fmac_f32_e32 v12, v43, v9
	v_fmac_f32_e32 v17, v44, v9
	;; [unrolled: 1-line block ×4, first 2 shown]
	v_fma_f32 v19, -v44, v10, v12
	v_fmac_f32_e32 v17, v43, v10
	v_fma_f32 v20, -v26, v10, v7
	v_fmac_f32_e32 v18, v25, v10
	s_andn2_b32 exec_lo, exec_lo, s0
	s_cbranch_execnz .LBB210_17
; %bb.18:
	s_or_b32 exec_lo, exec_lo, s0
.LBB210_19:
	s_or_b32 exec_lo, exec_lo, s1
.LBB210_20:
	v_mbcnt_lo_u32_b32 v6, -1, 0
	v_xor_b32_e32 v7, 16, v6
	v_xor_b32_e32 v11, 8, v6
	;; [unrolled: 1-line block ×3, first 2 shown]
	v_cmp_gt_i32_e32 vcc_lo, 32, v7
	v_cndmask_b32_e32 v7, v6, v7, vcc_lo
	v_cmp_gt_i32_e32 vcc_lo, 32, v11
	v_lshlrev_b32_e32 v7, 2, v7
	v_cndmask_b32_e32 v11, v6, v11, vcc_lo
	v_cmp_gt_i32_e32 vcc_lo, 32, v15
	ds_bpermute_b32 v8, v7, v19
	ds_bpermute_b32 v9, v7, v17
	;; [unrolled: 1-line block ×4, first 2 shown]
	v_lshlrev_b32_e32 v11, 2, v11
	v_cndmask_b32_e32 v15, v6, v15, vcc_lo
	v_lshlrev_b32_e32 v15, 2, v15
	s_waitcnt lgkmcnt(3)
	v_add_f32_e32 v8, v19, v8
	s_waitcnt lgkmcnt(2)
	v_add_f32_e32 v9, v17, v9
	;; [unrolled: 2-line block ×4, first 2 shown]
	ds_bpermute_b32 v12, v11, v8
	ds_bpermute_b32 v13, v11, v9
	;; [unrolled: 1-line block ×4, first 2 shown]
	s_waitcnt lgkmcnt(3)
	v_add_f32_e32 v8, v8, v12
	s_waitcnt lgkmcnt(2)
	v_add_f32_e32 v9, v9, v13
	;; [unrolled: 2-line block ×4, first 2 shown]
	ds_bpermute_b32 v11, v15, v8
	ds_bpermute_b32 v12, v15, v9
	;; [unrolled: 1-line block ×4, first 2 shown]
	v_xor_b32_e32 v15, 2, v6
	v_cmp_gt_i32_e32 vcc_lo, 32, v15
	v_cndmask_b32_e32 v15, v6, v15, vcc_lo
	v_lshlrev_b32_e32 v15, 2, v15
	s_waitcnt lgkmcnt(3)
	v_add_f32_e32 v8, v8, v11
	s_waitcnt lgkmcnt(2)
	v_add_f32_e32 v9, v9, v12
	;; [unrolled: 2-line block ×4, first 2 shown]
	ds_bpermute_b32 v11, v15, v8
	ds_bpermute_b32 v12, v15, v9
	ds_bpermute_b32 v13, v15, v10
	ds_bpermute_b32 v14, v15, v7
	v_xor_b32_e32 v15, 1, v6
	v_cmp_gt_i32_e32 vcc_lo, 32, v15
	v_cndmask_b32_e32 v6, v6, v15, vcc_lo
	v_cmp_eq_u32_e32 vcc_lo, 31, v0
	v_lshlrev_b32_e32 v15, 2, v6
	s_waitcnt lgkmcnt(3)
	v_add_f32_e32 v8, v8, v11
	s_waitcnt lgkmcnt(2)
	v_add_f32_e32 v9, v9, v12
	;; [unrolled: 2-line block ×4, first 2 shown]
	ds_bpermute_b32 v12, v15, v8
	ds_bpermute_b32 v13, v15, v9
	;; [unrolled: 1-line block ×4, first 2 shown]
	s_and_b32 exec_lo, exec_lo, vcc_lo
	s_cbranch_execz .LBB210_25
; %bb.21:
	s_load_dwordx2 s[2:3], s[4:5], 0x38
	v_cmp_eq_f32_e32 vcc_lo, 0, v3
	v_cmp_eq_f32_e64 s0, 0, v4
	s_waitcnt lgkmcnt(0)
	v_add_f32_e32 v0, v8, v12
	v_add_f32_e32 v8, v9, v13
	;; [unrolled: 1-line block ×4, first 2 shown]
	s_and_b32 s0, vcc_lo, s0
	s_and_saveexec_b32 s1, s0
	s_xor_b32 s0, exec_lo, s1
	s_cbranch_execz .LBB210_23
; %bb.22:
	v_lshlrev_b32_e32 v3, 1, v5
	v_mul_f32_e64 v9, v8, -v2
	v_mul_f32_e32 v10, v1, v8
	v_mul_f32_e64 v11, v7, -v2
	v_mul_f32_e32 v12, v1, v7
	v_ashrrev_i32_e32 v4, 31, v3
	v_fmac_f32_e32 v9, v1, v0
	v_fmac_f32_e32 v10, v2, v0
	;; [unrolled: 1-line block ×4, first 2 shown]
	v_lshlrev_b64 v[3:4], 3, v[3:4]
                                        ; implicit-def: $vgpr5
                                        ; implicit-def: $vgpr8
                                        ; implicit-def: $vgpr7
                                        ; implicit-def: $vgpr6
	v_add_co_u32 v0, vcc_lo, s2, v3
	v_add_co_ci_u32_e64 v1, null, s3, v4, vcc_lo
                                        ; implicit-def: $vgpr3_vgpr4
	global_store_dwordx4 v[0:1], v[9:12], off
                                        ; implicit-def: $vgpr1_vgpr2
                                        ; implicit-def: $vgpr0
.LBB210_23:
	s_andn2_saveexec_b32 s0, s0
	s_cbranch_execz .LBB210_25
; %bb.24:
	v_lshlrev_b32_e32 v9, 1, v5
	v_mul_f32_e64 v5, v8, -v2
	v_mul_f32_e32 v14, v1, v8
	v_mul_f32_e64 v8, v7, -v2
	v_mul_f32_e32 v16, v1, v7
	v_ashrrev_i32_e32 v10, 31, v9
	v_fmac_f32_e32 v5, v1, v0
	v_fmac_f32_e32 v14, v2, v0
	;; [unrolled: 1-line block ×4, first 2 shown]
	v_lshlrev_b64 v[9:10], 3, v[9:10]
	v_add_co_u32 v17, vcc_lo, s2, v9
	v_add_co_ci_u32_e64 v18, null, s3, v10, vcc_lo
	global_load_dwordx4 v[9:12], v[17:18], off
	s_waitcnt vmcnt(0)
	v_fmac_f32_e32 v5, v3, v9
	v_fmac_f32_e32 v14, v4, v9
	;; [unrolled: 1-line block ×4, first 2 shown]
	v_fma_f32 v13, -v4, v10, v5
	v_fmac_f32_e32 v14, v3, v10
	v_fma_f32 v15, -v4, v12, v8
	v_fmac_f32_e32 v16, v3, v12
	global_store_dwordx4 v[17:18], v[13:16], off
.LBB210_25:
	s_endpgm
	.section	.rodata,"a",@progbits
	.p2align	6, 0x0
	.amdhsa_kernel _ZN9rocsparseL19gebsrmvn_2xn_kernelILj128ELj13ELj32E21rocsparse_complex_numIfEEEvi20rocsparse_direction_NS_24const_host_device_scalarIT2_EEPKiS8_PKS5_SA_S6_PS5_21rocsparse_index_base_b
		.amdhsa_group_segment_fixed_size 0
		.amdhsa_private_segment_fixed_size 0
		.amdhsa_kernarg_size 72
		.amdhsa_user_sgpr_count 6
		.amdhsa_user_sgpr_private_segment_buffer 1
		.amdhsa_user_sgpr_dispatch_ptr 0
		.amdhsa_user_sgpr_queue_ptr 0
		.amdhsa_user_sgpr_kernarg_segment_ptr 1
		.amdhsa_user_sgpr_dispatch_id 0
		.amdhsa_user_sgpr_flat_scratch_init 0
		.amdhsa_user_sgpr_private_segment_size 0
		.amdhsa_wavefront_size32 1
		.amdhsa_uses_dynamic_stack 0
		.amdhsa_system_sgpr_private_segment_wavefront_offset 0
		.amdhsa_system_sgpr_workgroup_id_x 1
		.amdhsa_system_sgpr_workgroup_id_y 0
		.amdhsa_system_sgpr_workgroup_id_z 0
		.amdhsa_system_sgpr_workgroup_info 0
		.amdhsa_system_vgpr_workitem_id 0
		.amdhsa_next_free_vgpr 66
		.amdhsa_next_free_sgpr 16
		.amdhsa_reserve_vcc 1
		.amdhsa_reserve_flat_scratch 0
		.amdhsa_float_round_mode_32 0
		.amdhsa_float_round_mode_16_64 0
		.amdhsa_float_denorm_mode_32 3
		.amdhsa_float_denorm_mode_16_64 3
		.amdhsa_dx10_clamp 1
		.amdhsa_ieee_mode 1
		.amdhsa_fp16_overflow 0
		.amdhsa_workgroup_processor_mode 1
		.amdhsa_memory_ordered 1
		.amdhsa_forward_progress 1
		.amdhsa_shared_vgpr_count 0
		.amdhsa_exception_fp_ieee_invalid_op 0
		.amdhsa_exception_fp_denorm_src 0
		.amdhsa_exception_fp_ieee_div_zero 0
		.amdhsa_exception_fp_ieee_overflow 0
		.amdhsa_exception_fp_ieee_underflow 0
		.amdhsa_exception_fp_ieee_inexact 0
		.amdhsa_exception_int_div_zero 0
	.end_amdhsa_kernel
	.section	.text._ZN9rocsparseL19gebsrmvn_2xn_kernelILj128ELj13ELj32E21rocsparse_complex_numIfEEEvi20rocsparse_direction_NS_24const_host_device_scalarIT2_EEPKiS8_PKS5_SA_S6_PS5_21rocsparse_index_base_b,"axG",@progbits,_ZN9rocsparseL19gebsrmvn_2xn_kernelILj128ELj13ELj32E21rocsparse_complex_numIfEEEvi20rocsparse_direction_NS_24const_host_device_scalarIT2_EEPKiS8_PKS5_SA_S6_PS5_21rocsparse_index_base_b,comdat
.Lfunc_end210:
	.size	_ZN9rocsparseL19gebsrmvn_2xn_kernelILj128ELj13ELj32E21rocsparse_complex_numIfEEEvi20rocsparse_direction_NS_24const_host_device_scalarIT2_EEPKiS8_PKS5_SA_S6_PS5_21rocsparse_index_base_b, .Lfunc_end210-_ZN9rocsparseL19gebsrmvn_2xn_kernelILj128ELj13ELj32E21rocsparse_complex_numIfEEEvi20rocsparse_direction_NS_24const_host_device_scalarIT2_EEPKiS8_PKS5_SA_S6_PS5_21rocsparse_index_base_b
                                        ; -- End function
	.set _ZN9rocsparseL19gebsrmvn_2xn_kernelILj128ELj13ELj32E21rocsparse_complex_numIfEEEvi20rocsparse_direction_NS_24const_host_device_scalarIT2_EEPKiS8_PKS5_SA_S6_PS5_21rocsparse_index_base_b.num_vgpr, 66
	.set _ZN9rocsparseL19gebsrmvn_2xn_kernelILj128ELj13ELj32E21rocsparse_complex_numIfEEEvi20rocsparse_direction_NS_24const_host_device_scalarIT2_EEPKiS8_PKS5_SA_S6_PS5_21rocsparse_index_base_b.num_agpr, 0
	.set _ZN9rocsparseL19gebsrmvn_2xn_kernelILj128ELj13ELj32E21rocsparse_complex_numIfEEEvi20rocsparse_direction_NS_24const_host_device_scalarIT2_EEPKiS8_PKS5_SA_S6_PS5_21rocsparse_index_base_b.numbered_sgpr, 16
	.set _ZN9rocsparseL19gebsrmvn_2xn_kernelILj128ELj13ELj32E21rocsparse_complex_numIfEEEvi20rocsparse_direction_NS_24const_host_device_scalarIT2_EEPKiS8_PKS5_SA_S6_PS5_21rocsparse_index_base_b.num_named_barrier, 0
	.set _ZN9rocsparseL19gebsrmvn_2xn_kernelILj128ELj13ELj32E21rocsparse_complex_numIfEEEvi20rocsparse_direction_NS_24const_host_device_scalarIT2_EEPKiS8_PKS5_SA_S6_PS5_21rocsparse_index_base_b.private_seg_size, 0
	.set _ZN9rocsparseL19gebsrmvn_2xn_kernelILj128ELj13ELj32E21rocsparse_complex_numIfEEEvi20rocsparse_direction_NS_24const_host_device_scalarIT2_EEPKiS8_PKS5_SA_S6_PS5_21rocsparse_index_base_b.uses_vcc, 1
	.set _ZN9rocsparseL19gebsrmvn_2xn_kernelILj128ELj13ELj32E21rocsparse_complex_numIfEEEvi20rocsparse_direction_NS_24const_host_device_scalarIT2_EEPKiS8_PKS5_SA_S6_PS5_21rocsparse_index_base_b.uses_flat_scratch, 0
	.set _ZN9rocsparseL19gebsrmvn_2xn_kernelILj128ELj13ELj32E21rocsparse_complex_numIfEEEvi20rocsparse_direction_NS_24const_host_device_scalarIT2_EEPKiS8_PKS5_SA_S6_PS5_21rocsparse_index_base_b.has_dyn_sized_stack, 0
	.set _ZN9rocsparseL19gebsrmvn_2xn_kernelILj128ELj13ELj32E21rocsparse_complex_numIfEEEvi20rocsparse_direction_NS_24const_host_device_scalarIT2_EEPKiS8_PKS5_SA_S6_PS5_21rocsparse_index_base_b.has_recursion, 0
	.set _ZN9rocsparseL19gebsrmvn_2xn_kernelILj128ELj13ELj32E21rocsparse_complex_numIfEEEvi20rocsparse_direction_NS_24const_host_device_scalarIT2_EEPKiS8_PKS5_SA_S6_PS5_21rocsparse_index_base_b.has_indirect_call, 0
	.section	.AMDGPU.csdata,"",@progbits
; Kernel info:
; codeLenInByte = 3868
; TotalNumSgprs: 18
; NumVgprs: 66
; ScratchSize: 0
; MemoryBound: 0
; FloatMode: 240
; IeeeMode: 1
; LDSByteSize: 0 bytes/workgroup (compile time only)
; SGPRBlocks: 0
; VGPRBlocks: 8
; NumSGPRsForWavesPerEU: 18
; NumVGPRsForWavesPerEU: 66
; Occupancy: 12
; WaveLimiterHint : 1
; COMPUTE_PGM_RSRC2:SCRATCH_EN: 0
; COMPUTE_PGM_RSRC2:USER_SGPR: 6
; COMPUTE_PGM_RSRC2:TRAP_HANDLER: 0
; COMPUTE_PGM_RSRC2:TGID_X_EN: 1
; COMPUTE_PGM_RSRC2:TGID_Y_EN: 0
; COMPUTE_PGM_RSRC2:TGID_Z_EN: 0
; COMPUTE_PGM_RSRC2:TIDIG_COMP_CNT: 0
	.section	.text._ZN9rocsparseL19gebsrmvn_2xn_kernelILj128ELj13ELj64E21rocsparse_complex_numIfEEEvi20rocsparse_direction_NS_24const_host_device_scalarIT2_EEPKiS8_PKS5_SA_S6_PS5_21rocsparse_index_base_b,"axG",@progbits,_ZN9rocsparseL19gebsrmvn_2xn_kernelILj128ELj13ELj64E21rocsparse_complex_numIfEEEvi20rocsparse_direction_NS_24const_host_device_scalarIT2_EEPKiS8_PKS5_SA_S6_PS5_21rocsparse_index_base_b,comdat
	.globl	_ZN9rocsparseL19gebsrmvn_2xn_kernelILj128ELj13ELj64E21rocsparse_complex_numIfEEEvi20rocsparse_direction_NS_24const_host_device_scalarIT2_EEPKiS8_PKS5_SA_S6_PS5_21rocsparse_index_base_b ; -- Begin function _ZN9rocsparseL19gebsrmvn_2xn_kernelILj128ELj13ELj64E21rocsparse_complex_numIfEEEvi20rocsparse_direction_NS_24const_host_device_scalarIT2_EEPKiS8_PKS5_SA_S6_PS5_21rocsparse_index_base_b
	.p2align	8
	.type	_ZN9rocsparseL19gebsrmvn_2xn_kernelILj128ELj13ELj64E21rocsparse_complex_numIfEEEvi20rocsparse_direction_NS_24const_host_device_scalarIT2_EEPKiS8_PKS5_SA_S6_PS5_21rocsparse_index_base_b,@function
_ZN9rocsparseL19gebsrmvn_2xn_kernelILj128ELj13ELj64E21rocsparse_complex_numIfEEEvi20rocsparse_direction_NS_24const_host_device_scalarIT2_EEPKiS8_PKS5_SA_S6_PS5_21rocsparse_index_base_b: ; @_ZN9rocsparseL19gebsrmvn_2xn_kernelILj128ELj13ELj64E21rocsparse_complex_numIfEEEvi20rocsparse_direction_NS_24const_host_device_scalarIT2_EEPKiS8_PKS5_SA_S6_PS5_21rocsparse_index_base_b
; %bb.0:
	s_clause 0x2
	s_load_dwordx2 s[2:3], s[4:5], 0x40
	s_load_dwordx2 s[0:1], s[4:5], 0x8
	s_load_dwordx2 s[8:9], s[4:5], 0x30
	s_add_u32 s7, s4, 8
	s_addc_u32 s10, s5, 0
	s_add_u32 s11, s4, 48
	s_addc_u32 s12, s5, 0
	s_waitcnt lgkmcnt(0)
	s_bitcmp1_b32 s3, 0
	s_cselect_b32 s0, s7, s0
	s_cselect_b32 s1, s10, s1
	v_mov_b32_e32 v1, s0
	v_mov_b32_e32 v2, s1
	s_cselect_b32 s0, s11, s8
	s_cselect_b32 s1, s12, s9
	v_mov_b32_e32 v3, s0
	v_mov_b32_e32 v4, s1
	flat_load_dwordx2 v[1:2], v[1:2]
	flat_load_dwordx2 v[3:4], v[3:4]
	s_waitcnt vmcnt(1) lgkmcnt(1)
	v_cmp_eq_f32_e32 vcc_lo, 0, v1
	v_cmp_eq_f32_e64 s0, 0, v2
	s_and_b32 s3, vcc_lo, s0
	s_mov_b32 s0, -1
	s_and_saveexec_b32 s1, s3
	s_cbranch_execz .LBB211_2
; %bb.1:
	s_waitcnt vmcnt(0) lgkmcnt(0)
	v_cmp_neq_f32_e32 vcc_lo, 1.0, v3
	v_cmp_neq_f32_e64 s0, 0, v4
	s_or_b32 s0, vcc_lo, s0
	s_orn2_b32 s0, s0, exec_lo
.LBB211_2:
	s_or_b32 exec_lo, exec_lo, s1
	s_and_saveexec_b32 s1, s0
	s_cbranch_execz .LBB211_25
; %bb.3:
	s_load_dwordx2 s[0:1], s[4:5], 0x0
	v_lshrrev_b32_e32 v5, 6, v0
	v_lshl_or_b32 v5, s6, 1, v5
	s_waitcnt lgkmcnt(0)
	v_cmp_gt_i32_e32 vcc_lo, s0, v5
	s_and_b32 exec_lo, exec_lo, vcc_lo
	s_cbranch_execz .LBB211_25
; %bb.4:
	s_load_dwordx8 s[8:15], s[4:5], 0x10
	v_ashrrev_i32_e32 v6, 31, v5
	v_and_b32_e32 v0, 63, v0
	s_cmp_lg_u32 s1, 0
	v_lshlrev_b64 v[6:7], 2, v[5:6]
	s_waitcnt lgkmcnt(0)
	v_add_co_u32 v6, vcc_lo, s8, v6
	v_add_co_ci_u32_e64 v7, null, s9, v7, vcc_lo
	global_load_dwordx2 v[7:8], v[6:7], off
	s_waitcnt vmcnt(0)
	v_subrev_nc_u32_e32 v6, s2, v7
	v_subrev_nc_u32_e32 v17, s2, v8
	v_add_nc_u32_e32 v6, v6, v0
	v_cmp_lt_i32_e64 s0, v6, v17
	s_cbranch_scc0 .LBB211_12
; %bb.5:
	v_mov_b32_e32 v16, 0
	v_mov_b32_e32 v19, 0
	;; [unrolled: 1-line block ×4, first 2 shown]
	s_and_saveexec_b32 s1, s0
	s_cbranch_execz .LBB211_14
; %bb.6:
	v_mul_lo_u32 v7, v7, 26
	v_mul_lo_u32 v12, v6, 26
	s_mul_i32 s3, s2, 26
	v_mov_b32_e32 v8, 0
	v_mov_b32_e32 v9, v6
	;; [unrolled: 1-line block ×5, first 2 shown]
	v_mad_u32_u24 v7, v0, 26, v7
	v_mov_b32_e32 v18, 0
	v_subrev_nc_u32_e32 v13, s3, v7
	s_mov_b32 s3, 0
	s_branch .LBB211_8
.LBB211_7:                              ;   in Loop: Header=BB211_8 Depth=1
	v_add_nc_u32_e32 v9, 64, v9
	v_add_nc_u32_e32 v12, 0x680, v12
	;; [unrolled: 1-line block ×3, first 2 shown]
	v_cmp_ge_i32_e32 vcc_lo, v9, v17
	s_or_b32 s3, vcc_lo, s3
	s_andn2_b32 exec_lo, exec_lo, s3
	s_cbranch_execz .LBB211_13
.LBB211_8:                              ; =>This Loop Header: Depth=1
                                        ;     Child Loop BB211_10 Depth 2
	v_ashrrev_i32_e32 v10, 31, v9
	v_mov_b32_e32 v14, v16
	v_mov_b32_e32 v21, v19
	;; [unrolled: 1-line block ×4, first 2 shown]
	v_lshlrev_b64 v[10:11], 2, v[9:10]
	s_mov_b32 s6, 0
	v_add_co_u32 v10, vcc_lo, s10, v10
	v_add_co_ci_u32_e64 v11, null, s11, v11, vcc_lo
	global_load_dword v7, v[10:11], off
	s_waitcnt vmcnt(0)
	v_subrev_nc_u32_e32 v7, s2, v7
	v_mul_lo_u32 v10, v7, 13
	s_branch .LBB211_10
.LBB211_9:                              ;   in Loop: Header=BB211_8 Depth=1
                                        ; implicit-def: $vgpr15
                                        ; implicit-def: $vgpr22
                                        ; implicit-def: $vgpr21
                                        ; implicit-def: $vgpr14
                                        ; implicit-def: $sgpr6
                                        ; implicit-def: $vgpr10
	s_branch .LBB211_7
.LBB211_10:                             ;   Parent Loop BB211_8 Depth=1
                                        ; =>  This Inner Loop Header: Depth=2
	v_add_nc_u32_e32 v7, s6, v13
	v_mov_b32_e32 v11, v8
	s_cmp_eq_u32 s6, 24
	v_lshlrev_b64 v[18:19], 3, v[7:8]
	v_lshlrev_b64 v[23:24], 3, v[10:11]
	v_add_co_u32 v18, vcc_lo, s12, v18
	v_add_co_ci_u32_e64 v19, null, s13, v19, vcc_lo
	v_add_co_u32 v27, vcc_lo, s14, v23
	v_add_co_ci_u32_e64 v28, null, s15, v24, vcc_lo
	global_load_dwordx4 v[23:26], v[18:19], off
	global_load_dwordx2 v[27:28], v[27:28], off
	s_waitcnt vmcnt(0)
	v_fmac_f32_e32 v14, v24, v27
	v_fmac_f32_e32 v15, v26, v27
	;; [unrolled: 1-line block ×4, first 2 shown]
	v_mov_b32_e32 v16, v14
	v_mov_b32_e32 v18, v15
	v_fma_f32 v19, -v24, v28, v21
	v_fma_f32 v20, -v26, v28, v22
	v_fmac_f32_e32 v16, v23, v28
	v_fmac_f32_e32 v18, v25, v28
	s_cbranch_scc1 .LBB211_9
; %bb.11:                               ;   in Loop: Header=BB211_10 Depth=2
	v_add_nc_u32_e32 v11, s6, v12
	s_add_i32 s6, s6, 8
	v_add_nc_u32_e32 v7, 2, v11
	v_lshlrev_b64 v[14:15], 3, v[7:8]
	v_add_nc_u32_e32 v7, 1, v10
	v_lshlrev_b64 v[21:22], 3, v[7:8]
	v_add_nc_u32_e32 v7, 4, v11
	v_add_co_u32 v14, vcc_lo, s12, v14
	v_add_co_ci_u32_e64 v15, null, s13, v15, vcc_lo
	v_lshlrev_b64 v[25:26], 3, v[7:8]
	v_add_co_u32 v27, vcc_lo, s14, v21
	v_add_co_ci_u32_e64 v28, null, s15, v22, vcc_lo
	v_add_nc_u32_e32 v7, 2, v10
	v_add_co_u32 v25, vcc_lo, s12, v25
	v_add_co_ci_u32_e64 v26, null, s13, v26, vcc_lo
	global_load_dwordx4 v[21:24], v[14:15], off
	global_load_dwordx2 v[33:34], v[27:28], off
	global_load_dwordx4 v[25:28], v[25:26], off
	v_lshlrev_b64 v[14:15], 3, v[7:8]
	v_add_nc_u32_e32 v7, 6, v11
	v_lshlrev_b64 v[29:30], 3, v[7:8]
	v_add_nc_u32_e32 v7, 3, v10
	v_add_co_u32 v14, vcc_lo, s14, v14
	v_add_co_ci_u32_e64 v15, null, s15, v15, vcc_lo
	v_lshlrev_b64 v[31:32], 3, v[7:8]
	v_add_nc_u32_e32 v10, 4, v10
	global_load_dwordx2 v[35:36], v[14:15], off
	v_add_co_u32 v14, vcc_lo, s12, v29
	v_add_co_ci_u32_e64 v15, null, s13, v30, vcc_lo
	v_add_co_u32 v37, vcc_lo, s14, v31
	v_add_co_ci_u32_e64 v38, null, s15, v32, vcc_lo
	global_load_dwordx4 v[29:32], v[14:15], off
	global_load_dwordx2 v[37:38], v[37:38], off
	s_waitcnt vmcnt(4)
	v_fma_f32 v7, v21, v33, v19
	v_fma_f32 v14, v22, v33, v16
	v_fma_f32 v11, v23, v33, v20
	v_fma_f32 v15, v24, v33, v18
	v_fma_f32 v7, -v22, v34, v7
	v_fmac_f32_e32 v14, v21, v34
	v_fma_f32 v11, -v24, v34, v11
	v_fmac_f32_e32 v15, v23, v34
	s_waitcnt vmcnt(2)
	v_fmac_f32_e32 v7, v25, v35
	v_fmac_f32_e32 v14, v26, v35
	;; [unrolled: 1-line block ×4, first 2 shown]
	v_fma_f32 v7, -v26, v36, v7
	v_fmac_f32_e32 v14, v25, v36
	v_fma_f32 v11, -v28, v36, v11
	v_fmac_f32_e32 v15, v27, v36
	s_waitcnt vmcnt(0)
	v_fmac_f32_e32 v7, v29, v37
	v_fmac_f32_e32 v14, v30, v37
	;; [unrolled: 1-line block ×4, first 2 shown]
	v_fma_f32 v21, -v30, v38, v7
	v_fmac_f32_e32 v14, v29, v38
	v_fma_f32 v22, -v32, v38, v11
	v_fmac_f32_e32 v15, v31, v38
	s_cbranch_execnz .LBB211_10
	s_branch .LBB211_7
.LBB211_12:
                                        ; implicit-def: $vgpr16
                                        ; implicit-def: $vgpr19
                                        ; implicit-def: $vgpr20
                                        ; implicit-def: $vgpr18
	s_branch .LBB211_15
.LBB211_13:
	s_or_b32 exec_lo, exec_lo, s3
.LBB211_14:
	s_or_b32 exec_lo, exec_lo, s1
	s_cbranch_execnz .LBB211_20
.LBB211_15:
	v_mov_b32_e32 v16, 0
	v_mov_b32_e32 v19, 0
	;; [unrolled: 1-line block ×4, first 2 shown]
	s_and_saveexec_b32 s1, s0
	s_cbranch_execz .LBB211_19
; %bb.16:
	v_mad_u64_u32 v[8:9], null, v6, 26, 25
	v_mov_b32_e32 v11, 0
	v_mov_b32_e32 v16, 0
	;; [unrolled: 1-line block ×5, first 2 shown]
	s_mov_b32 s0, 0
.LBB211_17:                             ; =>This Inner Loop Header: Depth=1
	v_ashrrev_i32_e32 v7, 31, v6
	v_subrev_nc_u32_e32 v10, 25, v8
	v_add_nc_u32_e32 v14, -12, v8
	v_mov_b32_e32 v15, v11
	v_mov_b32_e32 v9, v11
	v_lshlrev_b64 v[21:22], 2, v[6:7]
	v_lshlrev_b64 v[23:24], 3, v[10:11]
	v_mov_b32_e32 v13, v11
	v_lshlrev_b64 v[14:15], 3, v[14:15]
	v_lshlrev_b64 v[9:10], 3, v[8:9]
	v_add_nc_u32_e32 v6, 64, v6
	v_add_co_u32 v21, vcc_lo, s10, v21
	v_add_co_ci_u32_e64 v22, null, s11, v22, vcc_lo
	v_add_co_u32 v23, vcc_lo, s12, v23
	v_add_co_ci_u32_e64 v24, null, s13, v24, vcc_lo
	global_load_dword v7, v[21:22], off
	v_add_co_u32 v14, vcc_lo, s12, v14
	v_add_co_ci_u32_e64 v15, null, s13, v15, vcc_lo
	v_add_co_u32 v25, vcc_lo, s12, v9
	v_add_co_ci_u32_e64 v26, null, s13, v10, vcc_lo
	s_waitcnt vmcnt(0)
	v_subrev_nc_u32_e32 v7, s2, v7
	v_mul_lo_u32 v12, v7, 13
	v_add_nc_u32_e32 v10, 1, v12
	v_lshlrev_b64 v[21:22], 3, v[12:13]
	v_lshlrev_b64 v[27:28], 3, v[10:11]
	v_add_nc_u32_e32 v10, -11, v8
	v_add_co_u32 v21, vcc_lo, s14, v21
	v_add_co_ci_u32_e64 v22, null, s15, v22, vcc_lo
	v_lshlrev_b64 v[29:30], 3, v[10:11]
	v_subrev_nc_u32_e32 v10, 23, v8
	v_add_co_u32 v27, vcc_lo, s14, v27
	v_add_co_ci_u32_e64 v28, null, s15, v28, vcc_lo
	v_lshlrev_b64 v[31:32], 3, v[10:11]
	v_add_nc_u32_e32 v10, 2, v12
	v_add_co_u32 v29, vcc_lo, s12, v29
	v_add_co_ci_u32_e64 v30, null, s13, v30, vcc_lo
	v_lshlrev_b64 v[33:34], 3, v[10:11]
	v_add_nc_u32_e32 v10, -10, v8
	v_add_co_u32 v31, vcc_lo, s12, v31
	v_add_co_ci_u32_e64 v32, null, s13, v32, vcc_lo
	v_lshlrev_b64 v[35:36], 3, v[10:11]
	v_subrev_nc_u32_e32 v10, 22, v8
	v_add_co_u32 v33, vcc_lo, s14, v33
	v_add_co_ci_u32_e64 v34, null, s15, v34, vcc_lo
	v_lshlrev_b64 v[37:38], 3, v[10:11]
	v_add_nc_u32_e32 v10, 3, v12
	v_add_co_u32 v35, vcc_lo, s12, v35
	v_add_co_ci_u32_e64 v36, null, s13, v36, vcc_lo
	v_lshlrev_b64 v[39:40], 3, v[10:11]
	v_add_nc_u32_e32 v10, -9, v8
	v_add_co_u32 v37, vcc_lo, s12, v37
	v_add_co_ci_u32_e64 v38, null, s13, v38, vcc_lo
	v_lshlrev_b64 v[41:42], 3, v[10:11]
	v_subrev_nc_u32_e32 v10, 21, v8
	v_add_co_u32 v39, vcc_lo, s14, v39
	v_add_co_ci_u32_e64 v40, null, s15, v40, vcc_lo
	v_lshlrev_b64 v[43:44], 3, v[10:11]
	v_add_nc_u32_e32 v10, 4, v12
	v_add_co_u32 v41, vcc_lo, s12, v41
	v_add_co_ci_u32_e64 v42, null, s13, v42, vcc_lo
	v_lshlrev_b64 v[45:46], 3, v[10:11]
	v_add_nc_u32_e32 v10, -8, v8
	v_add_co_u32 v43, vcc_lo, s12, v43
	v_add_co_ci_u32_e64 v44, null, s13, v44, vcc_lo
	v_lshlrev_b64 v[47:48], 3, v[10:11]
	v_subrev_nc_u32_e32 v10, 20, v8
	v_add_co_u32 v45, vcc_lo, s14, v45
	v_add_co_ci_u32_e64 v46, null, s15, v46, vcc_lo
	v_lshlrev_b64 v[49:50], 3, v[10:11]
	v_add_nc_u32_e32 v10, 5, v12
	v_add_co_u32 v47, vcc_lo, s12, v47
	v_add_co_ci_u32_e64 v48, null, s13, v48, vcc_lo
	v_lshlrev_b64 v[51:52], 3, v[10:11]
	v_add_nc_u32_e32 v10, -7, v8
	v_add_co_u32 v49, vcc_lo, s12, v49
	v_add_co_ci_u32_e64 v50, null, s13, v50, vcc_lo
	v_lshlrev_b64 v[53:54], 3, v[10:11]
	v_subrev_nc_u32_e32 v10, 19, v8
	v_add_co_u32 v51, vcc_lo, s14, v51
	v_add_co_ci_u32_e64 v52, null, s15, v52, vcc_lo
	v_lshlrev_b64 v[55:56], 3, v[10:11]
	v_add_nc_u32_e32 v10, 6, v12
	v_add_co_u32 v53, vcc_lo, s12, v53
	v_add_co_ci_u32_e64 v54, null, s13, v54, vcc_lo
	v_lshlrev_b64 v[57:58], 3, v[10:11]
	v_add_nc_u32_e32 v10, -6, v8
	v_add_co_u32 v55, vcc_lo, s12, v55
	v_add_co_ci_u32_e64 v56, null, s13, v56, vcc_lo
	v_lshlrev_b64 v[59:60], 3, v[10:11]
	v_subrev_nc_u32_e32 v10, 18, v8
	v_add_co_u32 v57, vcc_lo, s14, v57
	v_add_co_ci_u32_e64 v58, null, s15, v58, vcc_lo
	v_lshlrev_b64 v[61:62], 3, v[10:11]
	v_add_nc_u32_e32 v10, 7, v12
	v_add_co_u32 v59, vcc_lo, s12, v59
	v_add_co_ci_u32_e64 v60, null, s13, v60, vcc_lo
	v_lshlrev_b64 v[9:10], 3, v[10:11]
	v_add_co_u32 v61, vcc_lo, s12, v61
	v_add_co_ci_u32_e64 v62, null, s13, v62, vcc_lo
	v_add_co_u32 v63, vcc_lo, s14, v9
	v_add_co_ci_u32_e64 v64, null, s15, v10, vcc_lo
	global_load_dwordx2 v[9:10], v[14:15], off
	global_load_dwordx2 v[13:14], v[21:22], off
	s_waitcnt vmcnt(0)
	v_fmac_f32_e32 v20, v9, v13
	v_fmac_f32_e32 v18, v10, v13
	v_fma_f32 v7, -v10, v14, v20
	global_load_dwordx4 v[20:23], v[23:24], off
	global_load_dwordx2 v[27:28], v[27:28], off
	s_clause 0x1
	global_load_dwordx2 v[29:30], v[29:30], off
	global_load_dwordx2 v[31:32], v[31:32], off
	v_fmac_f32_e32 v18, v9, v14
	v_add_nc_u32_e32 v10, -5, v8
	s_waitcnt vmcnt(3)
	v_fmac_f32_e32 v19, v20, v13
	v_fmac_f32_e32 v16, v21, v13
	s_waitcnt vmcnt(1)
	v_fmac_f32_e32 v7, v29, v27
	v_fmac_f32_e32 v18, v30, v27
	v_fma_f32 v9, -v21, v14, v19
	v_fmac_f32_e32 v16, v20, v14
	v_fma_f32 v7, -v30, v28, v7
	v_fmac_f32_e32 v18, v29, v28
	global_load_dwordx2 v[29:30], v[33:34], off
	s_clause 0x1
	global_load_dwordx2 v[33:34], v[35:36], off
	global_load_dwordx2 v[35:36], v[37:38], off
	global_load_dwordx2 v[37:38], v[39:40], off
	s_clause 0x1
	global_load_dwordx2 v[39:40], v[41:42], off
	global_load_dwordx2 v[41:42], v[43:44], off
	;; [unrolled: 4-line block ×3, first 2 shown]
	v_lshlrev_b64 v[13:14], 3, v[10:11]
	v_subrev_nc_u32_e32 v10, 17, v8
	v_fmac_f32_e32 v16, v23, v27
	v_fmac_f32_e32 v9, v22, v27
	v_lshlrev_b64 v[19:20], 3, v[10:11]
	v_add_nc_u32_e32 v10, 8, v12
	v_fmac_f32_e32 v16, v22, v28
	v_fma_f32 v15, -v23, v28, v9
	v_add_co_u32 v13, vcc_lo, s12, v13
	v_lshlrev_b64 v[21:22], 3, v[10:11]
	v_add_nc_u32_e32 v10, -4, v8
	v_add_co_ci_u32_e64 v14, null, s13, v14, vcc_lo
	v_add_co_u32 v19, vcc_lo, s12, v19
	v_lshlrev_b64 v[23:24], 3, v[10:11]
	v_add_nc_u32_e32 v10, -16, v8
	v_add_co_ci_u32_e64 v20, null, s13, v20, vcc_lo
	v_add_co_u32 v21, vcc_lo, s14, v21
	v_lshlrev_b64 v[9:10], 3, v[10:11]
	v_add_co_ci_u32_e64 v22, null, s15, v22, vcc_lo
	v_add_co_u32 v23, vcc_lo, s12, v23
	v_add_co_ci_u32_e64 v24, null, s13, v24, vcc_lo
	v_add_co_u32 v27, vcc_lo, s12, v9
	v_add_co_ci_u32_e64 v28, null, s13, v10, vcc_lo
	v_add_nc_u32_e32 v10, 9, v12
	s_waitcnt vmcnt(8)
	v_fmac_f32_e32 v15, v31, v29
	v_fmac_f32_e32 v16, v32, v29
	s_waitcnt vmcnt(7)
	v_fmac_f32_e32 v7, v33, v29
	v_fmac_f32_e32 v18, v34, v29
	v_fma_f32 v15, -v32, v30, v15
	v_fmac_f32_e32 v16, v31, v30
	v_lshlrev_b64 v[31:32], 3, v[10:11]
	v_add_nc_u32_e32 v10, -3, v8
	v_fma_f32 v7, -v34, v30, v7
	v_fmac_f32_e32 v18, v33, v30
	s_waitcnt vmcnt(5)
	v_fmac_f32_e32 v15, v35, v37
	v_fmac_f32_e32 v16, v36, v37
	v_lshlrev_b64 v[29:30], 3, v[10:11]
	v_add_nc_u32_e32 v10, -15, v8
	v_add_co_u32 v31, vcc_lo, s14, v31
	v_add_co_ci_u32_e64 v32, null, s15, v32, vcc_lo
	v_lshlrev_b64 v[9:10], 3, v[10:11]
	v_add_co_u32 v29, vcc_lo, s12, v29
	v_add_co_ci_u32_e64 v30, null, s13, v30, vcc_lo
	v_fma_f32 v15, -v36, v38, v15
	v_add_co_u32 v33, vcc_lo, s12, v9
	v_add_co_ci_u32_e64 v34, null, s13, v10, vcc_lo
	v_add_nc_u32_e32 v10, 10, v12
	v_fmac_f32_e32 v16, v35, v38
	s_waitcnt vmcnt(4)
	v_fmac_f32_e32 v7, v39, v37
	v_fmac_f32_e32 v18, v40, v37
	s_waitcnt vmcnt(2)
	v_fmac_f32_e32 v15, v41, v43
	v_lshlrev_b64 v[35:36], 3, v[10:11]
	v_add_nc_u32_e32 v10, -2, v8
	v_fma_f32 v7, -v40, v38, v7
	v_fmac_f32_e32 v18, v39, v38
	v_fmac_f32_e32 v16, v42, v43
	v_fma_f32 v65, -v42, v44, v15
	v_lshlrev_b64 v[37:38], 3, v[10:11]
	v_add_nc_u32_e32 v10, -14, v8
	v_add_co_u32 v35, vcc_lo, s14, v35
	v_add_co_ci_u32_e64 v36, null, s15, v36, vcc_lo
	v_lshlrev_b64 v[9:10], 3, v[10:11]
	v_add_co_u32 v37, vcc_lo, s12, v37
	v_add_co_ci_u32_e64 v38, null, s13, v38, vcc_lo
	v_fmac_f32_e32 v16, v41, v44
	v_add_co_u32 v39, vcc_lo, s12, v9
	v_add_co_ci_u32_e64 v40, null, s13, v10, vcc_lo
	v_add_nc_u32_e32 v10, 11, v12
	s_waitcnt vmcnt(1)
	v_fmac_f32_e32 v7, v45, v43
	v_fmac_f32_e32 v18, v46, v43
	v_lshlrev_b64 v[41:42], 3, v[10:11]
	v_add_nc_u32_e32 v10, -1, v8
	v_fma_f32 v7, -v46, v44, v7
	v_fmac_f32_e32 v18, v45, v44
	v_lshlrev_b64 v[43:44], 3, v[10:11]
	v_add_nc_u32_e32 v10, -13, v8
	v_add_co_u32 v41, vcc_lo, s14, v41
	v_add_co_ci_u32_e64 v42, null, s15, v42, vcc_lo
	v_lshlrev_b64 v[45:46], 3, v[10:11]
	v_add_nc_u32_e32 v10, 12, v12
	v_add_co_u32 v43, vcc_lo, s12, v43
	v_add_co_ci_u32_e64 v44, null, s13, v44, vcc_lo
	v_lshlrev_b64 v[9:10], 3, v[10:11]
	v_add_co_u32 v45, vcc_lo, s12, v45
	v_add_co_ci_u32_e64 v46, null, s13, v46, vcc_lo
	v_add_nc_u32_e32 v8, 0x680, v8
	v_add_co_u32 v9, vcc_lo, s14, v9
	v_add_co_ci_u32_e64 v10, null, s15, v10, vcc_lo
	global_load_dwordx2 v[49:50], v[51:52], off
	s_clause 0x1
	global_load_dwordx2 v[51:52], v[53:54], off
	global_load_dwordx2 v[53:54], v[55:56], off
	global_load_dwordx2 v[55:56], v[57:58], off
	s_clause 0x1
	global_load_dwordx2 v[57:58], v[59:60], off
	global_load_dwordx2 v[59:60], v[61:62], off
	;; [unrolled: 4-line block ×7, first 2 shown]
	global_load_dwordx2 v[43:44], v[45:46], off
	global_load_dwordx2 v[9:10], v[9:10], off
	v_cmp_ge_i32_e32 vcc_lo, v6, v17
	s_or_b32 s0, vcc_lo, s0
	s_waitcnt vmcnt(22)
	v_fmac_f32_e32 v65, v47, v49
	v_fmac_f32_e32 v16, v48, v49
	s_waitcnt vmcnt(21)
	v_fmac_f32_e32 v7, v51, v49
	v_fmac_f32_e32 v18, v52, v49
	v_fma_f32 v45, -v48, v50, v65
	v_fmac_f32_e32 v16, v47, v50
	v_fma_f32 v7, -v52, v50, v7
	v_fmac_f32_e32 v18, v51, v50
	s_waitcnt vmcnt(19)
	v_fmac_f32_e32 v45, v53, v55
	v_fmac_f32_e32 v16, v54, v55
	s_waitcnt vmcnt(18)
	v_fmac_f32_e32 v7, v57, v55
	v_fmac_f32_e32 v18, v58, v55
	v_fma_f32 v45, -v54, v56, v45
	v_fmac_f32_e32 v16, v53, v56
	v_fma_f32 v7, -v58, v56, v7
	v_fmac_f32_e32 v18, v57, v56
	;; [unrolled: 10-line block ×7, first 2 shown]
	s_waitcnt vmcnt(0)
	v_fmac_f32_e32 v12, v43, v9
	v_fmac_f32_e32 v16, v44, v9
	;; [unrolled: 1-line block ×4, first 2 shown]
	v_fma_f32 v19, -v44, v10, v12
	v_fmac_f32_e32 v16, v43, v10
	v_fma_f32 v20, -v26, v10, v7
	v_fmac_f32_e32 v18, v25, v10
	s_andn2_b32 exec_lo, exec_lo, s0
	s_cbranch_execnz .LBB211_17
; %bb.18:
	s_or_b32 exec_lo, exec_lo, s0
.LBB211_19:
	s_or_b32 exec_lo, exec_lo, s1
.LBB211_20:
	v_mbcnt_lo_u32_b32 v6, -1, 0
	v_or_b32_e32 v7, 32, v6
	v_xor_b32_e32 v11, 16, v6
	v_xor_b32_e32 v15, 8, v6
	v_cmp_gt_i32_e32 vcc_lo, 32, v7
	v_cndmask_b32_e32 v7, v6, v7, vcc_lo
	v_cmp_gt_i32_e32 vcc_lo, 32, v11
	v_lshlrev_b32_e32 v7, 2, v7
	v_cndmask_b32_e32 v11, v6, v11, vcc_lo
	v_cmp_gt_i32_e32 vcc_lo, 32, v15
	ds_bpermute_b32 v8, v7, v19
	ds_bpermute_b32 v9, v7, v16
	ds_bpermute_b32 v10, v7, v20
	ds_bpermute_b32 v7, v7, v18
	v_lshlrev_b32_e32 v11, 2, v11
	v_cndmask_b32_e32 v15, v6, v15, vcc_lo
	v_lshlrev_b32_e32 v15, 2, v15
	s_waitcnt lgkmcnt(3)
	v_add_f32_e32 v8, v19, v8
	s_waitcnt lgkmcnt(2)
	v_add_f32_e32 v9, v16, v9
	;; [unrolled: 2-line block ×4, first 2 shown]
	ds_bpermute_b32 v12, v11, v8
	ds_bpermute_b32 v13, v11, v9
	;; [unrolled: 1-line block ×4, first 2 shown]
	s_waitcnt lgkmcnt(3)
	v_add_f32_e32 v8, v8, v12
	s_waitcnt lgkmcnt(2)
	v_add_f32_e32 v9, v9, v13
	s_waitcnt lgkmcnt(1)
	v_add_f32_e32 v10, v10, v14
	s_waitcnt lgkmcnt(0)
	v_add_f32_e32 v7, v7, v11
	ds_bpermute_b32 v11, v15, v8
	ds_bpermute_b32 v12, v15, v9
	;; [unrolled: 1-line block ×4, first 2 shown]
	v_xor_b32_e32 v15, 4, v6
	v_cmp_gt_i32_e32 vcc_lo, 32, v15
	v_cndmask_b32_e32 v15, v6, v15, vcc_lo
	v_lshlrev_b32_e32 v15, 2, v15
	s_waitcnt lgkmcnt(3)
	v_add_f32_e32 v8, v8, v11
	s_waitcnt lgkmcnt(2)
	v_add_f32_e32 v9, v9, v12
	;; [unrolled: 2-line block ×4, first 2 shown]
	ds_bpermute_b32 v11, v15, v8
	ds_bpermute_b32 v12, v15, v9
	;; [unrolled: 1-line block ×4, first 2 shown]
	v_xor_b32_e32 v15, 2, v6
	v_cmp_gt_i32_e32 vcc_lo, 32, v15
	v_cndmask_b32_e32 v15, v6, v15, vcc_lo
	v_lshlrev_b32_e32 v15, 2, v15
	s_waitcnt lgkmcnt(3)
	v_add_f32_e32 v8, v8, v11
	s_waitcnt lgkmcnt(2)
	v_add_f32_e32 v9, v9, v12
	;; [unrolled: 2-line block ×4, first 2 shown]
	ds_bpermute_b32 v11, v15, v8
	ds_bpermute_b32 v12, v15, v9
	;; [unrolled: 1-line block ×4, first 2 shown]
	v_xor_b32_e32 v15, 1, v6
	v_cmp_gt_i32_e32 vcc_lo, 32, v15
	v_cndmask_b32_e32 v6, v6, v15, vcc_lo
	v_cmp_eq_u32_e32 vcc_lo, 63, v0
	v_lshlrev_b32_e32 v15, 2, v6
	s_waitcnt lgkmcnt(3)
	v_add_f32_e32 v8, v8, v11
	s_waitcnt lgkmcnt(2)
	v_add_f32_e32 v9, v9, v12
	;; [unrolled: 2-line block ×4, first 2 shown]
	ds_bpermute_b32 v12, v15, v8
	ds_bpermute_b32 v13, v15, v9
	;; [unrolled: 1-line block ×4, first 2 shown]
	s_and_b32 exec_lo, exec_lo, vcc_lo
	s_cbranch_execz .LBB211_25
; %bb.21:
	s_load_dwordx2 s[2:3], s[4:5], 0x38
	v_cmp_eq_f32_e32 vcc_lo, 0, v3
	v_cmp_eq_f32_e64 s0, 0, v4
	s_waitcnt lgkmcnt(0)
	v_add_f32_e32 v0, v8, v12
	v_add_f32_e32 v8, v9, v13
	;; [unrolled: 1-line block ×4, first 2 shown]
	s_and_b32 s0, vcc_lo, s0
	s_and_saveexec_b32 s1, s0
	s_xor_b32 s0, exec_lo, s1
	s_cbranch_execz .LBB211_23
; %bb.22:
	v_lshlrev_b32_e32 v3, 1, v5
	v_mul_f32_e64 v9, v8, -v2
	v_mul_f32_e32 v10, v1, v8
	v_mul_f32_e64 v11, v7, -v2
	v_mul_f32_e32 v12, v1, v7
	v_ashrrev_i32_e32 v4, 31, v3
	v_fmac_f32_e32 v9, v1, v0
	v_fmac_f32_e32 v10, v2, v0
	v_fmac_f32_e32 v11, v1, v6
	v_fmac_f32_e32 v12, v2, v6
	v_lshlrev_b64 v[3:4], 3, v[3:4]
                                        ; implicit-def: $vgpr5
                                        ; implicit-def: $vgpr8
                                        ; implicit-def: $vgpr7
                                        ; implicit-def: $vgpr6
	v_add_co_u32 v0, vcc_lo, s2, v3
	v_add_co_ci_u32_e64 v1, null, s3, v4, vcc_lo
                                        ; implicit-def: $vgpr3_vgpr4
	global_store_dwordx4 v[0:1], v[9:12], off
                                        ; implicit-def: $vgpr1_vgpr2
                                        ; implicit-def: $vgpr0
.LBB211_23:
	s_andn2_saveexec_b32 s0, s0
	s_cbranch_execz .LBB211_25
; %bb.24:
	v_lshlrev_b32_e32 v9, 1, v5
	v_mul_f32_e64 v5, v8, -v2
	v_mul_f32_e32 v14, v1, v8
	v_mul_f32_e64 v8, v7, -v2
	v_mul_f32_e32 v16, v1, v7
	v_ashrrev_i32_e32 v10, 31, v9
	v_fmac_f32_e32 v5, v1, v0
	v_fmac_f32_e32 v14, v2, v0
	;; [unrolled: 1-line block ×4, first 2 shown]
	v_lshlrev_b64 v[9:10], 3, v[9:10]
	v_add_co_u32 v17, vcc_lo, s2, v9
	v_add_co_ci_u32_e64 v18, null, s3, v10, vcc_lo
	global_load_dwordx4 v[9:12], v[17:18], off
	s_waitcnt vmcnt(0)
	v_fmac_f32_e32 v5, v3, v9
	v_fmac_f32_e32 v14, v4, v9
	;; [unrolled: 1-line block ×4, first 2 shown]
	v_fma_f32 v13, -v4, v10, v5
	v_fmac_f32_e32 v14, v3, v10
	v_fma_f32 v15, -v4, v12, v8
	v_fmac_f32_e32 v16, v3, v12
	global_store_dwordx4 v[17:18], v[13:16], off
.LBB211_25:
	s_endpgm
	.section	.rodata,"a",@progbits
	.p2align	6, 0x0
	.amdhsa_kernel _ZN9rocsparseL19gebsrmvn_2xn_kernelILj128ELj13ELj64E21rocsparse_complex_numIfEEEvi20rocsparse_direction_NS_24const_host_device_scalarIT2_EEPKiS8_PKS5_SA_S6_PS5_21rocsparse_index_base_b
		.amdhsa_group_segment_fixed_size 0
		.amdhsa_private_segment_fixed_size 0
		.amdhsa_kernarg_size 72
		.amdhsa_user_sgpr_count 6
		.amdhsa_user_sgpr_private_segment_buffer 1
		.amdhsa_user_sgpr_dispatch_ptr 0
		.amdhsa_user_sgpr_queue_ptr 0
		.amdhsa_user_sgpr_kernarg_segment_ptr 1
		.amdhsa_user_sgpr_dispatch_id 0
		.amdhsa_user_sgpr_flat_scratch_init 0
		.amdhsa_user_sgpr_private_segment_size 0
		.amdhsa_wavefront_size32 1
		.amdhsa_uses_dynamic_stack 0
		.amdhsa_system_sgpr_private_segment_wavefront_offset 0
		.amdhsa_system_sgpr_workgroup_id_x 1
		.amdhsa_system_sgpr_workgroup_id_y 0
		.amdhsa_system_sgpr_workgroup_id_z 0
		.amdhsa_system_sgpr_workgroup_info 0
		.amdhsa_system_vgpr_workitem_id 0
		.amdhsa_next_free_vgpr 66
		.amdhsa_next_free_sgpr 16
		.amdhsa_reserve_vcc 1
		.amdhsa_reserve_flat_scratch 0
		.amdhsa_float_round_mode_32 0
		.amdhsa_float_round_mode_16_64 0
		.amdhsa_float_denorm_mode_32 3
		.amdhsa_float_denorm_mode_16_64 3
		.amdhsa_dx10_clamp 1
		.amdhsa_ieee_mode 1
		.amdhsa_fp16_overflow 0
		.amdhsa_workgroup_processor_mode 1
		.amdhsa_memory_ordered 1
		.amdhsa_forward_progress 1
		.amdhsa_shared_vgpr_count 0
		.amdhsa_exception_fp_ieee_invalid_op 0
		.amdhsa_exception_fp_denorm_src 0
		.amdhsa_exception_fp_ieee_div_zero 0
		.amdhsa_exception_fp_ieee_overflow 0
		.amdhsa_exception_fp_ieee_underflow 0
		.amdhsa_exception_fp_ieee_inexact 0
		.amdhsa_exception_int_div_zero 0
	.end_amdhsa_kernel
	.section	.text._ZN9rocsparseL19gebsrmvn_2xn_kernelILj128ELj13ELj64E21rocsparse_complex_numIfEEEvi20rocsparse_direction_NS_24const_host_device_scalarIT2_EEPKiS8_PKS5_SA_S6_PS5_21rocsparse_index_base_b,"axG",@progbits,_ZN9rocsparseL19gebsrmvn_2xn_kernelILj128ELj13ELj64E21rocsparse_complex_numIfEEEvi20rocsparse_direction_NS_24const_host_device_scalarIT2_EEPKiS8_PKS5_SA_S6_PS5_21rocsparse_index_base_b,comdat
.Lfunc_end211:
	.size	_ZN9rocsparseL19gebsrmvn_2xn_kernelILj128ELj13ELj64E21rocsparse_complex_numIfEEEvi20rocsparse_direction_NS_24const_host_device_scalarIT2_EEPKiS8_PKS5_SA_S6_PS5_21rocsparse_index_base_b, .Lfunc_end211-_ZN9rocsparseL19gebsrmvn_2xn_kernelILj128ELj13ELj64E21rocsparse_complex_numIfEEEvi20rocsparse_direction_NS_24const_host_device_scalarIT2_EEPKiS8_PKS5_SA_S6_PS5_21rocsparse_index_base_b
                                        ; -- End function
	.set _ZN9rocsparseL19gebsrmvn_2xn_kernelILj128ELj13ELj64E21rocsparse_complex_numIfEEEvi20rocsparse_direction_NS_24const_host_device_scalarIT2_EEPKiS8_PKS5_SA_S6_PS5_21rocsparse_index_base_b.num_vgpr, 66
	.set _ZN9rocsparseL19gebsrmvn_2xn_kernelILj128ELj13ELj64E21rocsparse_complex_numIfEEEvi20rocsparse_direction_NS_24const_host_device_scalarIT2_EEPKiS8_PKS5_SA_S6_PS5_21rocsparse_index_base_b.num_agpr, 0
	.set _ZN9rocsparseL19gebsrmvn_2xn_kernelILj128ELj13ELj64E21rocsparse_complex_numIfEEEvi20rocsparse_direction_NS_24const_host_device_scalarIT2_EEPKiS8_PKS5_SA_S6_PS5_21rocsparse_index_base_b.numbered_sgpr, 16
	.set _ZN9rocsparseL19gebsrmvn_2xn_kernelILj128ELj13ELj64E21rocsparse_complex_numIfEEEvi20rocsparse_direction_NS_24const_host_device_scalarIT2_EEPKiS8_PKS5_SA_S6_PS5_21rocsparse_index_base_b.num_named_barrier, 0
	.set _ZN9rocsparseL19gebsrmvn_2xn_kernelILj128ELj13ELj64E21rocsparse_complex_numIfEEEvi20rocsparse_direction_NS_24const_host_device_scalarIT2_EEPKiS8_PKS5_SA_S6_PS5_21rocsparse_index_base_b.private_seg_size, 0
	.set _ZN9rocsparseL19gebsrmvn_2xn_kernelILj128ELj13ELj64E21rocsparse_complex_numIfEEEvi20rocsparse_direction_NS_24const_host_device_scalarIT2_EEPKiS8_PKS5_SA_S6_PS5_21rocsparse_index_base_b.uses_vcc, 1
	.set _ZN9rocsparseL19gebsrmvn_2xn_kernelILj128ELj13ELj64E21rocsparse_complex_numIfEEEvi20rocsparse_direction_NS_24const_host_device_scalarIT2_EEPKiS8_PKS5_SA_S6_PS5_21rocsparse_index_base_b.uses_flat_scratch, 0
	.set _ZN9rocsparseL19gebsrmvn_2xn_kernelILj128ELj13ELj64E21rocsparse_complex_numIfEEEvi20rocsparse_direction_NS_24const_host_device_scalarIT2_EEPKiS8_PKS5_SA_S6_PS5_21rocsparse_index_base_b.has_dyn_sized_stack, 0
	.set _ZN9rocsparseL19gebsrmvn_2xn_kernelILj128ELj13ELj64E21rocsparse_complex_numIfEEEvi20rocsparse_direction_NS_24const_host_device_scalarIT2_EEPKiS8_PKS5_SA_S6_PS5_21rocsparse_index_base_b.has_recursion, 0
	.set _ZN9rocsparseL19gebsrmvn_2xn_kernelILj128ELj13ELj64E21rocsparse_complex_numIfEEEvi20rocsparse_direction_NS_24const_host_device_scalarIT2_EEPKiS8_PKS5_SA_S6_PS5_21rocsparse_index_base_b.has_indirect_call, 0
	.section	.AMDGPU.csdata,"",@progbits
; Kernel info:
; codeLenInByte = 3948
; TotalNumSgprs: 18
; NumVgprs: 66
; ScratchSize: 0
; MemoryBound: 0
; FloatMode: 240
; IeeeMode: 1
; LDSByteSize: 0 bytes/workgroup (compile time only)
; SGPRBlocks: 0
; VGPRBlocks: 8
; NumSGPRsForWavesPerEU: 18
; NumVGPRsForWavesPerEU: 66
; Occupancy: 12
; WaveLimiterHint : 1
; COMPUTE_PGM_RSRC2:SCRATCH_EN: 0
; COMPUTE_PGM_RSRC2:USER_SGPR: 6
; COMPUTE_PGM_RSRC2:TRAP_HANDLER: 0
; COMPUTE_PGM_RSRC2:TGID_X_EN: 1
; COMPUTE_PGM_RSRC2:TGID_Y_EN: 0
; COMPUTE_PGM_RSRC2:TGID_Z_EN: 0
; COMPUTE_PGM_RSRC2:TIDIG_COMP_CNT: 0
	.section	.text._ZN9rocsparseL19gebsrmvn_2xn_kernelILj128ELj14ELj4E21rocsparse_complex_numIfEEEvi20rocsparse_direction_NS_24const_host_device_scalarIT2_EEPKiS8_PKS5_SA_S6_PS5_21rocsparse_index_base_b,"axG",@progbits,_ZN9rocsparseL19gebsrmvn_2xn_kernelILj128ELj14ELj4E21rocsparse_complex_numIfEEEvi20rocsparse_direction_NS_24const_host_device_scalarIT2_EEPKiS8_PKS5_SA_S6_PS5_21rocsparse_index_base_b,comdat
	.globl	_ZN9rocsparseL19gebsrmvn_2xn_kernelILj128ELj14ELj4E21rocsparse_complex_numIfEEEvi20rocsparse_direction_NS_24const_host_device_scalarIT2_EEPKiS8_PKS5_SA_S6_PS5_21rocsparse_index_base_b ; -- Begin function _ZN9rocsparseL19gebsrmvn_2xn_kernelILj128ELj14ELj4E21rocsparse_complex_numIfEEEvi20rocsparse_direction_NS_24const_host_device_scalarIT2_EEPKiS8_PKS5_SA_S6_PS5_21rocsparse_index_base_b
	.p2align	8
	.type	_ZN9rocsparseL19gebsrmvn_2xn_kernelILj128ELj14ELj4E21rocsparse_complex_numIfEEEvi20rocsparse_direction_NS_24const_host_device_scalarIT2_EEPKiS8_PKS5_SA_S6_PS5_21rocsparse_index_base_b,@function
_ZN9rocsparseL19gebsrmvn_2xn_kernelILj128ELj14ELj4E21rocsparse_complex_numIfEEEvi20rocsparse_direction_NS_24const_host_device_scalarIT2_EEPKiS8_PKS5_SA_S6_PS5_21rocsparse_index_base_b: ; @_ZN9rocsparseL19gebsrmvn_2xn_kernelILj128ELj14ELj4E21rocsparse_complex_numIfEEEvi20rocsparse_direction_NS_24const_host_device_scalarIT2_EEPKiS8_PKS5_SA_S6_PS5_21rocsparse_index_base_b
; %bb.0:
	s_clause 0x2
	s_load_dwordx2 s[2:3], s[4:5], 0x40
	s_load_dwordx2 s[0:1], s[4:5], 0x8
	;; [unrolled: 1-line block ×3, first 2 shown]
	s_add_u32 s7, s4, 8
	s_addc_u32 s10, s5, 0
	s_add_u32 s11, s4, 48
	s_addc_u32 s12, s5, 0
	s_waitcnt lgkmcnt(0)
	s_bitcmp1_b32 s3, 0
	s_cselect_b32 s0, s7, s0
	s_cselect_b32 s1, s10, s1
	v_mov_b32_e32 v1, s0
	v_mov_b32_e32 v2, s1
	s_cselect_b32 s0, s11, s8
	s_cselect_b32 s1, s12, s9
	v_mov_b32_e32 v3, s0
	v_mov_b32_e32 v4, s1
	flat_load_dwordx2 v[1:2], v[1:2]
	flat_load_dwordx2 v[3:4], v[3:4]
	s_waitcnt vmcnt(1) lgkmcnt(1)
	v_cmp_eq_f32_e32 vcc_lo, 0, v1
	v_cmp_eq_f32_e64 s0, 0, v2
	s_and_b32 s3, vcc_lo, s0
	s_mov_b32 s0, -1
	s_and_saveexec_b32 s1, s3
	s_cbranch_execz .LBB212_2
; %bb.1:
	s_waitcnt vmcnt(0) lgkmcnt(0)
	v_cmp_neq_f32_e32 vcc_lo, 1.0, v3
	v_cmp_neq_f32_e64 s0, 0, v4
	s_or_b32 s0, vcc_lo, s0
	s_orn2_b32 s0, s0, exec_lo
.LBB212_2:
	s_or_b32 exec_lo, exec_lo, s1
	s_and_saveexec_b32 s1, s0
	s_cbranch_execz .LBB212_25
; %bb.3:
	s_load_dwordx2 s[0:1], s[4:5], 0x0
	v_lshrrev_b32_e32 v5, 2, v0
	v_lshl_or_b32 v5, s6, 5, v5
	s_waitcnt lgkmcnt(0)
	v_cmp_gt_i32_e32 vcc_lo, s0, v5
	s_and_b32 exec_lo, exec_lo, vcc_lo
	s_cbranch_execz .LBB212_25
; %bb.4:
	s_load_dwordx8 s[8:15], s[4:5], 0x10
	v_ashrrev_i32_e32 v6, 31, v5
	v_and_b32_e32 v0, 3, v0
	s_cmp_lg_u32 s1, 0
	v_lshlrev_b64 v[6:7], 2, v[5:6]
	s_waitcnt lgkmcnt(0)
	v_add_co_u32 v6, vcc_lo, s8, v6
	v_add_co_ci_u32_e64 v7, null, s9, v7, vcc_lo
	global_load_dwordx2 v[7:8], v[6:7], off
	s_waitcnt vmcnt(0)
	v_subrev_nc_u32_e32 v6, s2, v7
	v_subrev_nc_u32_e32 v13, s2, v8
	v_add_nc_u32_e32 v6, v6, v0
	v_cmp_lt_i32_e64 s0, v6, v13
	s_cbranch_scc0 .LBB212_12
; %bb.5:
	v_mov_b32_e32 v12, 0
	v_mov_b32_e32 v15, 0
	;; [unrolled: 1-line block ×4, first 2 shown]
	s_and_saveexec_b32 s1, s0
	s_cbranch_execz .LBB212_11
; %bb.6:
	v_mul_lo_u32 v17, v6, 28
	v_mov_b32_e32 v9, 0
	v_mov_b32_e32 v10, v6
	;; [unrolled: 1-line block ×6, first 2 shown]
	s_mov_b32 s3, 0
.LBB212_7:                              ; =>This Loop Header: Depth=1
                                        ;     Child Loop BB212_8 Depth 2
	v_ashrrev_i32_e32 v11, 31, v10
	s_mov_b32 s6, 0
	v_lshlrev_b64 v[18:19], 2, v[10:11]
	v_add_co_u32 v18, vcc_lo, s10, v18
	v_add_co_ci_u32_e64 v19, null, s11, v19, vcc_lo
	global_load_dword v8, v[18:19], off
	s_waitcnt vmcnt(0)
	v_subrev_nc_u32_e32 v8, s2, v8
	v_mul_lo_u32 v11, v8, 14
	v_mov_b32_e32 v8, v17
	s_inst_prefetch 0x1
	.p2align	6
.LBB212_8:                              ;   Parent Loop BB212_7 Depth=1
                                        ; =>  This Inner Loop Header: Depth=2
	v_add_nc_u32_e32 v18, s6, v11
	v_mov_b32_e32 v19, v9
	v_lshlrev_b64 v[20:21], 3, v[8:9]
	v_add_nc_u32_e32 v8, 4, v8
	s_add_i32 s6, s6, 2
	v_lshlrev_b64 v[18:19], 3, v[18:19]
	s_cmp_eq_u32 s6, 14
	v_add_co_u32 v22, vcc_lo, s12, v20
	v_add_co_ci_u32_e64 v23, null, s13, v21, vcc_lo
	v_add_co_u32 v26, vcc_lo, s14, v18
	v_add_co_ci_u32_e64 v27, null, s15, v19, vcc_lo
	s_clause 0x1
	global_load_dwordx4 v[18:21], v[22:23], off offset:16
	global_load_dwordx4 v[22:25], v[22:23], off
	global_load_dwordx4 v[26:29], v[26:27], off
	s_waitcnt vmcnt(0)
	v_fmac_f32_e32 v15, v22, v26
	v_fmac_f32_e32 v12, v23, v26
	;; [unrolled: 1-line block ×4, first 2 shown]
	v_fma_f32 v15, -v23, v27, v15
	v_fmac_f32_e32 v12, v22, v27
	v_fma_f32 v16, -v25, v27, v16
	v_fmac_f32_e32 v14, v24, v27
	v_fmac_f32_e32 v15, v18, v28
	;; [unrolled: 1-line block ×5, first 2 shown]
	v_fma_f32 v15, -v19, v29, v15
	v_fmac_f32_e32 v12, v18, v29
	v_fma_f32 v16, -v21, v29, v16
	v_fmac_f32_e32 v14, v20, v29
	s_cbranch_scc0 .LBB212_8
; %bb.9:                                ;   in Loop: Header=BB212_7 Depth=1
	s_inst_prefetch 0x2
	v_add_nc_u32_e32 v10, 4, v10
	v_add_nc_u32_e32 v17, 0x70, v17
	v_cmp_ge_i32_e32 vcc_lo, v10, v13
	s_or_b32 s3, vcc_lo, s3
	s_andn2_b32 exec_lo, exec_lo, s3
	s_cbranch_execnz .LBB212_7
; %bb.10:
	s_or_b32 exec_lo, exec_lo, s3
.LBB212_11:
	s_or_b32 exec_lo, exec_lo, s1
	s_cbranch_execz .LBB212_13
	s_branch .LBB212_20
.LBB212_12:
                                        ; implicit-def: $vgpr12
                                        ; implicit-def: $vgpr15
                                        ; implicit-def: $vgpr16
                                        ; implicit-def: $vgpr14
.LBB212_13:
	v_mov_b32_e32 v12, 0
	v_mov_b32_e32 v15, 0
	;; [unrolled: 1-line block ×4, first 2 shown]
	s_and_saveexec_b32 s1, s0
	s_cbranch_execz .LBB212_19
; %bb.14:
	v_mul_lo_u32 v7, v7, 28
	v_mul_lo_u32 v9, v6, 28
	s_mul_i32 s0, s2, 28
	v_mov_b32_e32 v8, 0
	v_mov_b32_e32 v12, 0
	;; [unrolled: 1-line block ×5, first 2 shown]
	v_mad_u32_u24 v7, v0, 28, v7
	v_subrev_nc_u32_e32 v10, s0, v7
	s_mov_b32 s0, 0
.LBB212_15:                             ; =>This Loop Header: Depth=1
                                        ;     Child Loop BB212_16 Depth 2
	v_ashrrev_i32_e32 v7, 31, v6
	s_mov_b32 s3, 0
	v_lshlrev_b64 v[17:18], 2, v[6:7]
	v_add_co_u32 v17, vcc_lo, s10, v17
	v_add_co_ci_u32_e64 v18, null, s11, v18, vcc_lo
	global_load_dword v7, v[17:18], off
	s_waitcnt vmcnt(0)
	v_subrev_nc_u32_e32 v7, s2, v7
	v_mul_lo_u32 v11, v7, 14
.LBB212_16:                             ;   Parent Loop BB212_15 Depth=1
                                        ; =>  This Inner Loop Header: Depth=2
	v_add_nc_u32_e32 v7, s3, v10
	v_lshlrev_b64 v[17:18], 3, v[7:8]
	v_add_nc_u32_e32 v7, s3, v11
	v_lshlrev_b64 v[19:20], 3, v[7:8]
	v_add3_u32 v7, v9, s3, 14
	v_add_co_u32 v17, vcc_lo, s12, v17
	v_add_co_ci_u32_e64 v18, null, s13, v18, vcc_lo
	v_lshlrev_b64 v[21:22], 3, v[7:8]
	v_add_co_u32 v23, vcc_lo, s14, v19
	v_add_co_ci_u32_e64 v24, null, s15, v20, vcc_lo
	s_add_i32 s3, s3, 2
	v_add_co_u32 v25, vcc_lo, s12, v21
	v_add_co_ci_u32_e64 v26, null, s13, v22, vcc_lo
	global_load_dwordx4 v[17:20], v[17:18], off
	global_load_dwordx4 v[21:24], v[23:24], off
	;; [unrolled: 1-line block ×3, first 2 shown]
	s_cmp_eq_u32 s3, 14
	s_waitcnt vmcnt(1)
	v_fmac_f32_e32 v15, v17, v21
	v_fmac_f32_e32 v12, v18, v21
	s_waitcnt vmcnt(0)
	v_fmac_f32_e32 v16, v25, v21
	v_fmac_f32_e32 v14, v26, v21
	v_fma_f32 v7, -v18, v22, v15
	v_fmac_f32_e32 v12, v17, v22
	v_fma_f32 v16, -v26, v22, v16
	v_fmac_f32_e32 v14, v25, v22
	v_fmac_f32_e32 v7, v19, v23
	;; [unrolled: 1-line block ×5, first 2 shown]
	v_fma_f32 v15, -v20, v24, v7
	v_fmac_f32_e32 v12, v19, v24
	v_fma_f32 v16, -v28, v24, v16
	v_fmac_f32_e32 v14, v27, v24
	s_cbranch_scc0 .LBB212_16
; %bb.17:                               ;   in Loop: Header=BB212_15 Depth=1
	v_add_nc_u32_e32 v6, 4, v6
	v_add_nc_u32_e32 v9, 0x70, v9
	;; [unrolled: 1-line block ×3, first 2 shown]
	v_cmp_ge_i32_e32 vcc_lo, v6, v13
	s_or_b32 s0, vcc_lo, s0
	s_andn2_b32 exec_lo, exec_lo, s0
	s_cbranch_execnz .LBB212_15
; %bb.18:
	s_or_b32 exec_lo, exec_lo, s0
.LBB212_19:
	s_or_b32 exec_lo, exec_lo, s1
.LBB212_20:
	v_mbcnt_lo_u32_b32 v6, -1, 0
	v_xor_b32_e32 v7, 2, v6
	v_xor_b32_e32 v11, 1, v6
	v_cmp_gt_i32_e32 vcc_lo, 32, v7
	v_cndmask_b32_e32 v7, v6, v7, vcc_lo
	v_cmp_gt_i32_e32 vcc_lo, 32, v11
	v_lshlrev_b32_e32 v7, 2, v7
	v_cndmask_b32_e32 v6, v6, v11, vcc_lo
	v_cmp_eq_u32_e32 vcc_lo, 3, v0
	ds_bpermute_b32 v8, v7, v15
	ds_bpermute_b32 v9, v7, v12
	;; [unrolled: 1-line block ×4, first 2 shown]
	v_lshlrev_b32_e32 v11, 2, v6
	s_waitcnt lgkmcnt(3)
	v_add_f32_e32 v8, v15, v8
	s_waitcnt lgkmcnt(2)
	v_add_f32_e32 v9, v12, v9
	;; [unrolled: 2-line block ×4, first 2 shown]
	ds_bpermute_b32 v12, v11, v8
	ds_bpermute_b32 v13, v11, v9
	;; [unrolled: 1-line block ×4, first 2 shown]
	s_and_b32 exec_lo, exec_lo, vcc_lo
	s_cbranch_execz .LBB212_25
; %bb.21:
	s_load_dwordx2 s[2:3], s[4:5], 0x38
	v_cmp_eq_f32_e32 vcc_lo, 0, v3
	v_cmp_eq_f32_e64 s0, 0, v4
	s_waitcnt lgkmcnt(0)
	v_add_f32_e32 v0, v8, v12
	v_add_f32_e32 v8, v9, v13
	;; [unrolled: 1-line block ×4, first 2 shown]
	s_and_b32 s0, vcc_lo, s0
	s_and_saveexec_b32 s1, s0
	s_xor_b32 s0, exec_lo, s1
	s_cbranch_execz .LBB212_23
; %bb.22:
	v_lshlrev_b32_e32 v3, 1, v5
	v_mul_f32_e64 v9, v8, -v2
	v_mul_f32_e32 v10, v1, v8
	v_mul_f32_e64 v11, v7, -v2
	v_mul_f32_e32 v12, v1, v7
	v_ashrrev_i32_e32 v4, 31, v3
	v_fmac_f32_e32 v9, v1, v0
	v_fmac_f32_e32 v10, v2, v0
	;; [unrolled: 1-line block ×4, first 2 shown]
	v_lshlrev_b64 v[3:4], 3, v[3:4]
                                        ; implicit-def: $vgpr5
                                        ; implicit-def: $vgpr8
                                        ; implicit-def: $vgpr7
                                        ; implicit-def: $vgpr6
	v_add_co_u32 v0, vcc_lo, s2, v3
	v_add_co_ci_u32_e64 v1, null, s3, v4, vcc_lo
                                        ; implicit-def: $vgpr3_vgpr4
	global_store_dwordx4 v[0:1], v[9:12], off
                                        ; implicit-def: $vgpr1_vgpr2
                                        ; implicit-def: $vgpr0
.LBB212_23:
	s_andn2_saveexec_b32 s0, s0
	s_cbranch_execz .LBB212_25
; %bb.24:
	v_lshlrev_b32_e32 v9, 1, v5
	v_mul_f32_e64 v5, v8, -v2
	v_mul_f32_e32 v14, v1, v8
	v_mul_f32_e64 v8, v7, -v2
	v_mul_f32_e32 v16, v1, v7
	v_ashrrev_i32_e32 v10, 31, v9
	v_fmac_f32_e32 v5, v1, v0
	v_fmac_f32_e32 v14, v2, v0
	;; [unrolled: 1-line block ×4, first 2 shown]
	v_lshlrev_b64 v[9:10], 3, v[9:10]
	v_add_co_u32 v17, vcc_lo, s2, v9
	v_add_co_ci_u32_e64 v18, null, s3, v10, vcc_lo
	global_load_dwordx4 v[9:12], v[17:18], off
	s_waitcnt vmcnt(0)
	v_fmac_f32_e32 v5, v3, v9
	v_fmac_f32_e32 v14, v4, v9
	;; [unrolled: 1-line block ×4, first 2 shown]
	v_fma_f32 v13, -v4, v10, v5
	v_fmac_f32_e32 v14, v3, v10
	v_fma_f32 v15, -v4, v12, v8
	v_fmac_f32_e32 v16, v3, v12
	global_store_dwordx4 v[17:18], v[13:16], off
.LBB212_25:
	s_endpgm
	.section	.rodata,"a",@progbits
	.p2align	6, 0x0
	.amdhsa_kernel _ZN9rocsparseL19gebsrmvn_2xn_kernelILj128ELj14ELj4E21rocsparse_complex_numIfEEEvi20rocsparse_direction_NS_24const_host_device_scalarIT2_EEPKiS8_PKS5_SA_S6_PS5_21rocsparse_index_base_b
		.amdhsa_group_segment_fixed_size 0
		.amdhsa_private_segment_fixed_size 0
		.amdhsa_kernarg_size 72
		.amdhsa_user_sgpr_count 6
		.amdhsa_user_sgpr_private_segment_buffer 1
		.amdhsa_user_sgpr_dispatch_ptr 0
		.amdhsa_user_sgpr_queue_ptr 0
		.amdhsa_user_sgpr_kernarg_segment_ptr 1
		.amdhsa_user_sgpr_dispatch_id 0
		.amdhsa_user_sgpr_flat_scratch_init 0
		.amdhsa_user_sgpr_private_segment_size 0
		.amdhsa_wavefront_size32 1
		.amdhsa_uses_dynamic_stack 0
		.amdhsa_system_sgpr_private_segment_wavefront_offset 0
		.amdhsa_system_sgpr_workgroup_id_x 1
		.amdhsa_system_sgpr_workgroup_id_y 0
		.amdhsa_system_sgpr_workgroup_id_z 0
		.amdhsa_system_sgpr_workgroup_info 0
		.amdhsa_system_vgpr_workitem_id 0
		.amdhsa_next_free_vgpr 30
		.amdhsa_next_free_sgpr 16
		.amdhsa_reserve_vcc 1
		.amdhsa_reserve_flat_scratch 0
		.amdhsa_float_round_mode_32 0
		.amdhsa_float_round_mode_16_64 0
		.amdhsa_float_denorm_mode_32 3
		.amdhsa_float_denorm_mode_16_64 3
		.amdhsa_dx10_clamp 1
		.amdhsa_ieee_mode 1
		.amdhsa_fp16_overflow 0
		.amdhsa_workgroup_processor_mode 1
		.amdhsa_memory_ordered 1
		.amdhsa_forward_progress 1
		.amdhsa_shared_vgpr_count 0
		.amdhsa_exception_fp_ieee_invalid_op 0
		.amdhsa_exception_fp_denorm_src 0
		.amdhsa_exception_fp_ieee_div_zero 0
		.amdhsa_exception_fp_ieee_overflow 0
		.amdhsa_exception_fp_ieee_underflow 0
		.amdhsa_exception_fp_ieee_inexact 0
		.amdhsa_exception_int_div_zero 0
	.end_amdhsa_kernel
	.section	.text._ZN9rocsparseL19gebsrmvn_2xn_kernelILj128ELj14ELj4E21rocsparse_complex_numIfEEEvi20rocsparse_direction_NS_24const_host_device_scalarIT2_EEPKiS8_PKS5_SA_S6_PS5_21rocsparse_index_base_b,"axG",@progbits,_ZN9rocsparseL19gebsrmvn_2xn_kernelILj128ELj14ELj4E21rocsparse_complex_numIfEEEvi20rocsparse_direction_NS_24const_host_device_scalarIT2_EEPKiS8_PKS5_SA_S6_PS5_21rocsparse_index_base_b,comdat
.Lfunc_end212:
	.size	_ZN9rocsparseL19gebsrmvn_2xn_kernelILj128ELj14ELj4E21rocsparse_complex_numIfEEEvi20rocsparse_direction_NS_24const_host_device_scalarIT2_EEPKiS8_PKS5_SA_S6_PS5_21rocsparse_index_base_b, .Lfunc_end212-_ZN9rocsparseL19gebsrmvn_2xn_kernelILj128ELj14ELj4E21rocsparse_complex_numIfEEEvi20rocsparse_direction_NS_24const_host_device_scalarIT2_EEPKiS8_PKS5_SA_S6_PS5_21rocsparse_index_base_b
                                        ; -- End function
	.set _ZN9rocsparseL19gebsrmvn_2xn_kernelILj128ELj14ELj4E21rocsparse_complex_numIfEEEvi20rocsparse_direction_NS_24const_host_device_scalarIT2_EEPKiS8_PKS5_SA_S6_PS5_21rocsparse_index_base_b.num_vgpr, 30
	.set _ZN9rocsparseL19gebsrmvn_2xn_kernelILj128ELj14ELj4E21rocsparse_complex_numIfEEEvi20rocsparse_direction_NS_24const_host_device_scalarIT2_EEPKiS8_PKS5_SA_S6_PS5_21rocsparse_index_base_b.num_agpr, 0
	.set _ZN9rocsparseL19gebsrmvn_2xn_kernelILj128ELj14ELj4E21rocsparse_complex_numIfEEEvi20rocsparse_direction_NS_24const_host_device_scalarIT2_EEPKiS8_PKS5_SA_S6_PS5_21rocsparse_index_base_b.numbered_sgpr, 16
	.set _ZN9rocsparseL19gebsrmvn_2xn_kernelILj128ELj14ELj4E21rocsparse_complex_numIfEEEvi20rocsparse_direction_NS_24const_host_device_scalarIT2_EEPKiS8_PKS5_SA_S6_PS5_21rocsparse_index_base_b.num_named_barrier, 0
	.set _ZN9rocsparseL19gebsrmvn_2xn_kernelILj128ELj14ELj4E21rocsparse_complex_numIfEEEvi20rocsparse_direction_NS_24const_host_device_scalarIT2_EEPKiS8_PKS5_SA_S6_PS5_21rocsparse_index_base_b.private_seg_size, 0
	.set _ZN9rocsparseL19gebsrmvn_2xn_kernelILj128ELj14ELj4E21rocsparse_complex_numIfEEEvi20rocsparse_direction_NS_24const_host_device_scalarIT2_EEPKiS8_PKS5_SA_S6_PS5_21rocsparse_index_base_b.uses_vcc, 1
	.set _ZN9rocsparseL19gebsrmvn_2xn_kernelILj128ELj14ELj4E21rocsparse_complex_numIfEEEvi20rocsparse_direction_NS_24const_host_device_scalarIT2_EEPKiS8_PKS5_SA_S6_PS5_21rocsparse_index_base_b.uses_flat_scratch, 0
	.set _ZN9rocsparseL19gebsrmvn_2xn_kernelILj128ELj14ELj4E21rocsparse_complex_numIfEEEvi20rocsparse_direction_NS_24const_host_device_scalarIT2_EEPKiS8_PKS5_SA_S6_PS5_21rocsparse_index_base_b.has_dyn_sized_stack, 0
	.set _ZN9rocsparseL19gebsrmvn_2xn_kernelILj128ELj14ELj4E21rocsparse_complex_numIfEEEvi20rocsparse_direction_NS_24const_host_device_scalarIT2_EEPKiS8_PKS5_SA_S6_PS5_21rocsparse_index_base_b.has_recursion, 0
	.set _ZN9rocsparseL19gebsrmvn_2xn_kernelILj128ELj14ELj4E21rocsparse_complex_numIfEEEvi20rocsparse_direction_NS_24const_host_device_scalarIT2_EEPKiS8_PKS5_SA_S6_PS5_21rocsparse_index_base_b.has_indirect_call, 0
	.section	.AMDGPU.csdata,"",@progbits
; Kernel info:
; codeLenInByte = 1500
; TotalNumSgprs: 18
; NumVgprs: 30
; ScratchSize: 0
; MemoryBound: 0
; FloatMode: 240
; IeeeMode: 1
; LDSByteSize: 0 bytes/workgroup (compile time only)
; SGPRBlocks: 0
; VGPRBlocks: 3
; NumSGPRsForWavesPerEU: 18
; NumVGPRsForWavesPerEU: 30
; Occupancy: 16
; WaveLimiterHint : 1
; COMPUTE_PGM_RSRC2:SCRATCH_EN: 0
; COMPUTE_PGM_RSRC2:USER_SGPR: 6
; COMPUTE_PGM_RSRC2:TRAP_HANDLER: 0
; COMPUTE_PGM_RSRC2:TGID_X_EN: 1
; COMPUTE_PGM_RSRC2:TGID_Y_EN: 0
; COMPUTE_PGM_RSRC2:TGID_Z_EN: 0
; COMPUTE_PGM_RSRC2:TIDIG_COMP_CNT: 0
	.section	.text._ZN9rocsparseL19gebsrmvn_2xn_kernelILj128ELj14ELj8E21rocsparse_complex_numIfEEEvi20rocsparse_direction_NS_24const_host_device_scalarIT2_EEPKiS8_PKS5_SA_S6_PS5_21rocsparse_index_base_b,"axG",@progbits,_ZN9rocsparseL19gebsrmvn_2xn_kernelILj128ELj14ELj8E21rocsparse_complex_numIfEEEvi20rocsparse_direction_NS_24const_host_device_scalarIT2_EEPKiS8_PKS5_SA_S6_PS5_21rocsparse_index_base_b,comdat
	.globl	_ZN9rocsparseL19gebsrmvn_2xn_kernelILj128ELj14ELj8E21rocsparse_complex_numIfEEEvi20rocsparse_direction_NS_24const_host_device_scalarIT2_EEPKiS8_PKS5_SA_S6_PS5_21rocsparse_index_base_b ; -- Begin function _ZN9rocsparseL19gebsrmvn_2xn_kernelILj128ELj14ELj8E21rocsparse_complex_numIfEEEvi20rocsparse_direction_NS_24const_host_device_scalarIT2_EEPKiS8_PKS5_SA_S6_PS5_21rocsparse_index_base_b
	.p2align	8
	.type	_ZN9rocsparseL19gebsrmvn_2xn_kernelILj128ELj14ELj8E21rocsparse_complex_numIfEEEvi20rocsparse_direction_NS_24const_host_device_scalarIT2_EEPKiS8_PKS5_SA_S6_PS5_21rocsparse_index_base_b,@function
_ZN9rocsparseL19gebsrmvn_2xn_kernelILj128ELj14ELj8E21rocsparse_complex_numIfEEEvi20rocsparse_direction_NS_24const_host_device_scalarIT2_EEPKiS8_PKS5_SA_S6_PS5_21rocsparse_index_base_b: ; @_ZN9rocsparseL19gebsrmvn_2xn_kernelILj128ELj14ELj8E21rocsparse_complex_numIfEEEvi20rocsparse_direction_NS_24const_host_device_scalarIT2_EEPKiS8_PKS5_SA_S6_PS5_21rocsparse_index_base_b
; %bb.0:
	s_clause 0x2
	s_load_dwordx2 s[2:3], s[4:5], 0x40
	s_load_dwordx2 s[0:1], s[4:5], 0x8
	;; [unrolled: 1-line block ×3, first 2 shown]
	s_add_u32 s7, s4, 8
	s_addc_u32 s10, s5, 0
	s_add_u32 s11, s4, 48
	s_addc_u32 s12, s5, 0
	s_waitcnt lgkmcnt(0)
	s_bitcmp1_b32 s3, 0
	s_cselect_b32 s0, s7, s0
	s_cselect_b32 s1, s10, s1
	v_mov_b32_e32 v1, s0
	v_mov_b32_e32 v2, s1
	s_cselect_b32 s0, s11, s8
	s_cselect_b32 s1, s12, s9
	v_mov_b32_e32 v3, s0
	v_mov_b32_e32 v4, s1
	flat_load_dwordx2 v[1:2], v[1:2]
	flat_load_dwordx2 v[3:4], v[3:4]
	s_waitcnt vmcnt(1) lgkmcnt(1)
	v_cmp_eq_f32_e32 vcc_lo, 0, v1
	v_cmp_eq_f32_e64 s0, 0, v2
	s_and_b32 s3, vcc_lo, s0
	s_mov_b32 s0, -1
	s_and_saveexec_b32 s1, s3
	s_cbranch_execz .LBB213_2
; %bb.1:
	s_waitcnt vmcnt(0) lgkmcnt(0)
	v_cmp_neq_f32_e32 vcc_lo, 1.0, v3
	v_cmp_neq_f32_e64 s0, 0, v4
	s_or_b32 s0, vcc_lo, s0
	s_orn2_b32 s0, s0, exec_lo
.LBB213_2:
	s_or_b32 exec_lo, exec_lo, s1
	s_and_saveexec_b32 s1, s0
	s_cbranch_execz .LBB213_25
; %bb.3:
	s_load_dwordx2 s[0:1], s[4:5], 0x0
	v_lshrrev_b32_e32 v5, 3, v0
	v_lshl_or_b32 v5, s6, 4, v5
	s_waitcnt lgkmcnt(0)
	v_cmp_gt_i32_e32 vcc_lo, s0, v5
	s_and_b32 exec_lo, exec_lo, vcc_lo
	s_cbranch_execz .LBB213_25
; %bb.4:
	s_load_dwordx8 s[8:15], s[4:5], 0x10
	v_ashrrev_i32_e32 v6, 31, v5
	v_and_b32_e32 v0, 7, v0
	s_cmp_lg_u32 s1, 0
	v_lshlrev_b64 v[6:7], 2, v[5:6]
	s_waitcnt lgkmcnt(0)
	v_add_co_u32 v6, vcc_lo, s8, v6
	v_add_co_ci_u32_e64 v7, null, s9, v7, vcc_lo
	global_load_dwordx2 v[7:8], v[6:7], off
	s_waitcnt vmcnt(0)
	v_subrev_nc_u32_e32 v6, s2, v7
	v_subrev_nc_u32_e32 v14, s2, v8
	v_add_nc_u32_e32 v6, v6, v0
	v_cmp_lt_i32_e64 s0, v6, v14
	s_cbranch_scc0 .LBB213_12
; %bb.5:
	v_mov_b32_e32 v12, 0
	v_mov_b32_e32 v15, 0
	;; [unrolled: 1-line block ×4, first 2 shown]
	s_and_saveexec_b32 s1, s0
	s_cbranch_execz .LBB213_11
; %bb.6:
	v_mul_lo_u32 v17, v6, 28
	v_mov_b32_e32 v9, 0
	v_mov_b32_e32 v10, v6
	;; [unrolled: 1-line block ×6, first 2 shown]
	s_mov_b32 s3, 0
.LBB213_7:                              ; =>This Loop Header: Depth=1
                                        ;     Child Loop BB213_8 Depth 2
	v_ashrrev_i32_e32 v11, 31, v10
	s_mov_b32 s6, 0
	v_lshlrev_b64 v[18:19], 2, v[10:11]
	v_add_co_u32 v18, vcc_lo, s10, v18
	v_add_co_ci_u32_e64 v19, null, s11, v19, vcc_lo
	global_load_dword v8, v[18:19], off
	s_waitcnt vmcnt(0)
	v_subrev_nc_u32_e32 v8, s2, v8
	v_mul_lo_u32 v11, v8, 14
	v_mov_b32_e32 v8, v17
	s_inst_prefetch 0x1
	.p2align	6
.LBB213_8:                              ;   Parent Loop BB213_7 Depth=1
                                        ; =>  This Inner Loop Header: Depth=2
	v_add_nc_u32_e32 v18, s6, v11
	v_mov_b32_e32 v19, v9
	v_lshlrev_b64 v[20:21], 3, v[8:9]
	v_add_nc_u32_e32 v8, 4, v8
	s_add_i32 s6, s6, 2
	v_lshlrev_b64 v[18:19], 3, v[18:19]
	s_cmp_eq_u32 s6, 14
	v_add_co_u32 v22, vcc_lo, s12, v20
	v_add_co_ci_u32_e64 v23, null, s13, v21, vcc_lo
	v_add_co_u32 v26, vcc_lo, s14, v18
	v_add_co_ci_u32_e64 v27, null, s15, v19, vcc_lo
	s_clause 0x1
	global_load_dwordx4 v[18:21], v[22:23], off offset:16
	global_load_dwordx4 v[22:25], v[22:23], off
	global_load_dwordx4 v[26:29], v[26:27], off
	s_waitcnt vmcnt(0)
	v_fmac_f32_e32 v15, v22, v26
	v_fmac_f32_e32 v12, v23, v26
	;; [unrolled: 1-line block ×4, first 2 shown]
	v_fma_f32 v15, -v23, v27, v15
	v_fmac_f32_e32 v12, v22, v27
	v_fma_f32 v16, -v25, v27, v16
	v_fmac_f32_e32 v13, v24, v27
	v_fmac_f32_e32 v15, v18, v28
	;; [unrolled: 1-line block ×5, first 2 shown]
	v_fma_f32 v15, -v19, v29, v15
	v_fmac_f32_e32 v12, v18, v29
	v_fma_f32 v16, -v21, v29, v16
	v_fmac_f32_e32 v13, v20, v29
	s_cbranch_scc0 .LBB213_8
; %bb.9:                                ;   in Loop: Header=BB213_7 Depth=1
	s_inst_prefetch 0x2
	v_add_nc_u32_e32 v10, 8, v10
	v_add_nc_u32_e32 v17, 0xe0, v17
	v_cmp_ge_i32_e32 vcc_lo, v10, v14
	s_or_b32 s3, vcc_lo, s3
	s_andn2_b32 exec_lo, exec_lo, s3
	s_cbranch_execnz .LBB213_7
; %bb.10:
	s_or_b32 exec_lo, exec_lo, s3
.LBB213_11:
	s_or_b32 exec_lo, exec_lo, s1
	s_cbranch_execz .LBB213_13
	s_branch .LBB213_20
.LBB213_12:
                                        ; implicit-def: $vgpr12
                                        ; implicit-def: $vgpr15
                                        ; implicit-def: $vgpr16
                                        ; implicit-def: $vgpr13
.LBB213_13:
	v_mov_b32_e32 v12, 0
	v_mov_b32_e32 v15, 0
	;; [unrolled: 1-line block ×4, first 2 shown]
	s_and_saveexec_b32 s1, s0
	s_cbranch_execz .LBB213_19
; %bb.14:
	v_mul_lo_u32 v7, v7, 28
	v_mul_lo_u32 v9, v6, 28
	s_mul_i32 s0, s2, 28
	v_mov_b32_e32 v8, 0
	v_mov_b32_e32 v12, 0
	v_mov_b32_e32 v15, 0
	v_mov_b32_e32 v16, 0
	v_mov_b32_e32 v13, 0
	v_mad_u32_u24 v7, v0, 28, v7
	v_subrev_nc_u32_e32 v10, s0, v7
	s_mov_b32 s0, 0
.LBB213_15:                             ; =>This Loop Header: Depth=1
                                        ;     Child Loop BB213_16 Depth 2
	v_ashrrev_i32_e32 v7, 31, v6
	s_mov_b32 s3, 0
	v_lshlrev_b64 v[17:18], 2, v[6:7]
	v_add_co_u32 v17, vcc_lo, s10, v17
	v_add_co_ci_u32_e64 v18, null, s11, v18, vcc_lo
	global_load_dword v7, v[17:18], off
	s_waitcnt vmcnt(0)
	v_subrev_nc_u32_e32 v7, s2, v7
	v_mul_lo_u32 v11, v7, 14
.LBB213_16:                             ;   Parent Loop BB213_15 Depth=1
                                        ; =>  This Inner Loop Header: Depth=2
	v_add_nc_u32_e32 v7, s3, v10
	v_lshlrev_b64 v[17:18], 3, v[7:8]
	v_add_nc_u32_e32 v7, s3, v11
	v_lshlrev_b64 v[19:20], 3, v[7:8]
	v_add3_u32 v7, v9, s3, 14
	v_add_co_u32 v17, vcc_lo, s12, v17
	v_add_co_ci_u32_e64 v18, null, s13, v18, vcc_lo
	v_lshlrev_b64 v[21:22], 3, v[7:8]
	v_add_co_u32 v23, vcc_lo, s14, v19
	v_add_co_ci_u32_e64 v24, null, s15, v20, vcc_lo
	s_add_i32 s3, s3, 2
	v_add_co_u32 v25, vcc_lo, s12, v21
	v_add_co_ci_u32_e64 v26, null, s13, v22, vcc_lo
	global_load_dwordx4 v[17:20], v[17:18], off
	global_load_dwordx4 v[21:24], v[23:24], off
	;; [unrolled: 1-line block ×3, first 2 shown]
	s_cmp_eq_u32 s3, 14
	s_waitcnt vmcnt(1)
	v_fmac_f32_e32 v15, v17, v21
	v_fmac_f32_e32 v12, v18, v21
	s_waitcnt vmcnt(0)
	v_fmac_f32_e32 v16, v25, v21
	v_fmac_f32_e32 v13, v26, v21
	v_fma_f32 v7, -v18, v22, v15
	v_fmac_f32_e32 v12, v17, v22
	v_fma_f32 v16, -v26, v22, v16
	v_fmac_f32_e32 v13, v25, v22
	v_fmac_f32_e32 v7, v19, v23
	;; [unrolled: 1-line block ×5, first 2 shown]
	v_fma_f32 v15, -v20, v24, v7
	v_fmac_f32_e32 v12, v19, v24
	v_fma_f32 v16, -v28, v24, v16
	v_fmac_f32_e32 v13, v27, v24
	s_cbranch_scc0 .LBB213_16
; %bb.17:                               ;   in Loop: Header=BB213_15 Depth=1
	v_add_nc_u32_e32 v6, 8, v6
	v_add_nc_u32_e32 v9, 0xe0, v9
	;; [unrolled: 1-line block ×3, first 2 shown]
	v_cmp_ge_i32_e32 vcc_lo, v6, v14
	s_or_b32 s0, vcc_lo, s0
	s_andn2_b32 exec_lo, exec_lo, s0
	s_cbranch_execnz .LBB213_15
; %bb.18:
	s_or_b32 exec_lo, exec_lo, s0
.LBB213_19:
	s_or_b32 exec_lo, exec_lo, s1
.LBB213_20:
	v_mbcnt_lo_u32_b32 v6, -1, 0
	v_xor_b32_e32 v7, 4, v6
	v_xor_b32_e32 v11, 2, v6
	v_cmp_gt_i32_e32 vcc_lo, 32, v7
	v_cndmask_b32_e32 v7, v6, v7, vcc_lo
	v_cmp_gt_i32_e32 vcc_lo, 32, v11
	v_lshlrev_b32_e32 v7, 2, v7
	v_cndmask_b32_e32 v11, v6, v11, vcc_lo
	ds_bpermute_b32 v8, v7, v15
	ds_bpermute_b32 v9, v7, v12
	;; [unrolled: 1-line block ×4, first 2 shown]
	v_lshlrev_b32_e32 v11, 2, v11
	s_waitcnt lgkmcnt(3)
	v_add_f32_e32 v8, v15, v8
	s_waitcnt lgkmcnt(2)
	v_add_f32_e32 v9, v12, v9
	;; [unrolled: 2-line block ×4, first 2 shown]
	v_xor_b32_e32 v15, 1, v6
	ds_bpermute_b32 v12, v11, v8
	ds_bpermute_b32 v13, v11, v9
	;; [unrolled: 1-line block ×4, first 2 shown]
	v_cmp_gt_i32_e32 vcc_lo, 32, v15
	v_cndmask_b32_e32 v6, v6, v15, vcc_lo
	v_cmp_eq_u32_e32 vcc_lo, 7, v0
	v_lshlrev_b32_e32 v15, 2, v6
	s_waitcnt lgkmcnt(3)
	v_add_f32_e32 v8, v8, v12
	s_waitcnt lgkmcnt(2)
	v_add_f32_e32 v9, v9, v13
	;; [unrolled: 2-line block ×4, first 2 shown]
	ds_bpermute_b32 v12, v15, v8
	ds_bpermute_b32 v13, v15, v9
	;; [unrolled: 1-line block ×4, first 2 shown]
	s_and_b32 exec_lo, exec_lo, vcc_lo
	s_cbranch_execz .LBB213_25
; %bb.21:
	s_load_dwordx2 s[2:3], s[4:5], 0x38
	v_cmp_eq_f32_e32 vcc_lo, 0, v3
	v_cmp_eq_f32_e64 s0, 0, v4
	s_waitcnt lgkmcnt(0)
	v_add_f32_e32 v0, v8, v12
	v_add_f32_e32 v8, v9, v13
	;; [unrolled: 1-line block ×4, first 2 shown]
	s_and_b32 s0, vcc_lo, s0
	s_and_saveexec_b32 s1, s0
	s_xor_b32 s0, exec_lo, s1
	s_cbranch_execz .LBB213_23
; %bb.22:
	v_lshlrev_b32_e32 v3, 1, v5
	v_mul_f32_e64 v9, v8, -v2
	v_mul_f32_e32 v10, v1, v8
	v_mul_f32_e64 v11, v7, -v2
	v_mul_f32_e32 v12, v1, v7
	v_ashrrev_i32_e32 v4, 31, v3
	v_fmac_f32_e32 v9, v1, v0
	v_fmac_f32_e32 v10, v2, v0
	;; [unrolled: 1-line block ×4, first 2 shown]
	v_lshlrev_b64 v[3:4], 3, v[3:4]
                                        ; implicit-def: $vgpr5
                                        ; implicit-def: $vgpr8
                                        ; implicit-def: $vgpr7
                                        ; implicit-def: $vgpr6
	v_add_co_u32 v0, vcc_lo, s2, v3
	v_add_co_ci_u32_e64 v1, null, s3, v4, vcc_lo
                                        ; implicit-def: $vgpr3_vgpr4
	global_store_dwordx4 v[0:1], v[9:12], off
                                        ; implicit-def: $vgpr1_vgpr2
                                        ; implicit-def: $vgpr0
.LBB213_23:
	s_andn2_saveexec_b32 s0, s0
	s_cbranch_execz .LBB213_25
; %bb.24:
	v_lshlrev_b32_e32 v9, 1, v5
	v_mul_f32_e64 v5, v8, -v2
	v_mul_f32_e32 v14, v1, v8
	v_mul_f32_e64 v8, v7, -v2
	v_mul_f32_e32 v16, v1, v7
	v_ashrrev_i32_e32 v10, 31, v9
	v_fmac_f32_e32 v5, v1, v0
	v_fmac_f32_e32 v14, v2, v0
	;; [unrolled: 1-line block ×4, first 2 shown]
	v_lshlrev_b64 v[9:10], 3, v[9:10]
	v_add_co_u32 v17, vcc_lo, s2, v9
	v_add_co_ci_u32_e64 v18, null, s3, v10, vcc_lo
	global_load_dwordx4 v[9:12], v[17:18], off
	s_waitcnt vmcnt(0)
	v_fmac_f32_e32 v5, v3, v9
	v_fmac_f32_e32 v14, v4, v9
	;; [unrolled: 1-line block ×4, first 2 shown]
	v_fma_f32 v13, -v4, v10, v5
	v_fmac_f32_e32 v14, v3, v10
	v_fma_f32 v15, -v4, v12, v8
	v_fmac_f32_e32 v16, v3, v12
	global_store_dwordx4 v[17:18], v[13:16], off
.LBB213_25:
	s_endpgm
	.section	.rodata,"a",@progbits
	.p2align	6, 0x0
	.amdhsa_kernel _ZN9rocsparseL19gebsrmvn_2xn_kernelILj128ELj14ELj8E21rocsparse_complex_numIfEEEvi20rocsparse_direction_NS_24const_host_device_scalarIT2_EEPKiS8_PKS5_SA_S6_PS5_21rocsparse_index_base_b
		.amdhsa_group_segment_fixed_size 0
		.amdhsa_private_segment_fixed_size 0
		.amdhsa_kernarg_size 72
		.amdhsa_user_sgpr_count 6
		.amdhsa_user_sgpr_private_segment_buffer 1
		.amdhsa_user_sgpr_dispatch_ptr 0
		.amdhsa_user_sgpr_queue_ptr 0
		.amdhsa_user_sgpr_kernarg_segment_ptr 1
		.amdhsa_user_sgpr_dispatch_id 0
		.amdhsa_user_sgpr_flat_scratch_init 0
		.amdhsa_user_sgpr_private_segment_size 0
		.amdhsa_wavefront_size32 1
		.amdhsa_uses_dynamic_stack 0
		.amdhsa_system_sgpr_private_segment_wavefront_offset 0
		.amdhsa_system_sgpr_workgroup_id_x 1
		.amdhsa_system_sgpr_workgroup_id_y 0
		.amdhsa_system_sgpr_workgroup_id_z 0
		.amdhsa_system_sgpr_workgroup_info 0
		.amdhsa_system_vgpr_workitem_id 0
		.amdhsa_next_free_vgpr 30
		.amdhsa_next_free_sgpr 16
		.amdhsa_reserve_vcc 1
		.amdhsa_reserve_flat_scratch 0
		.amdhsa_float_round_mode_32 0
		.amdhsa_float_round_mode_16_64 0
		.amdhsa_float_denorm_mode_32 3
		.amdhsa_float_denorm_mode_16_64 3
		.amdhsa_dx10_clamp 1
		.amdhsa_ieee_mode 1
		.amdhsa_fp16_overflow 0
		.amdhsa_workgroup_processor_mode 1
		.amdhsa_memory_ordered 1
		.amdhsa_forward_progress 1
		.amdhsa_shared_vgpr_count 0
		.amdhsa_exception_fp_ieee_invalid_op 0
		.amdhsa_exception_fp_denorm_src 0
		.amdhsa_exception_fp_ieee_div_zero 0
		.amdhsa_exception_fp_ieee_overflow 0
		.amdhsa_exception_fp_ieee_underflow 0
		.amdhsa_exception_fp_ieee_inexact 0
		.amdhsa_exception_int_div_zero 0
	.end_amdhsa_kernel
	.section	.text._ZN9rocsparseL19gebsrmvn_2xn_kernelILj128ELj14ELj8E21rocsparse_complex_numIfEEEvi20rocsparse_direction_NS_24const_host_device_scalarIT2_EEPKiS8_PKS5_SA_S6_PS5_21rocsparse_index_base_b,"axG",@progbits,_ZN9rocsparseL19gebsrmvn_2xn_kernelILj128ELj14ELj8E21rocsparse_complex_numIfEEEvi20rocsparse_direction_NS_24const_host_device_scalarIT2_EEPKiS8_PKS5_SA_S6_PS5_21rocsparse_index_base_b,comdat
.Lfunc_end213:
	.size	_ZN9rocsparseL19gebsrmvn_2xn_kernelILj128ELj14ELj8E21rocsparse_complex_numIfEEEvi20rocsparse_direction_NS_24const_host_device_scalarIT2_EEPKiS8_PKS5_SA_S6_PS5_21rocsparse_index_base_b, .Lfunc_end213-_ZN9rocsparseL19gebsrmvn_2xn_kernelILj128ELj14ELj8E21rocsparse_complex_numIfEEEvi20rocsparse_direction_NS_24const_host_device_scalarIT2_EEPKiS8_PKS5_SA_S6_PS5_21rocsparse_index_base_b
                                        ; -- End function
	.set _ZN9rocsparseL19gebsrmvn_2xn_kernelILj128ELj14ELj8E21rocsparse_complex_numIfEEEvi20rocsparse_direction_NS_24const_host_device_scalarIT2_EEPKiS8_PKS5_SA_S6_PS5_21rocsparse_index_base_b.num_vgpr, 30
	.set _ZN9rocsparseL19gebsrmvn_2xn_kernelILj128ELj14ELj8E21rocsparse_complex_numIfEEEvi20rocsparse_direction_NS_24const_host_device_scalarIT2_EEPKiS8_PKS5_SA_S6_PS5_21rocsparse_index_base_b.num_agpr, 0
	.set _ZN9rocsparseL19gebsrmvn_2xn_kernelILj128ELj14ELj8E21rocsparse_complex_numIfEEEvi20rocsparse_direction_NS_24const_host_device_scalarIT2_EEPKiS8_PKS5_SA_S6_PS5_21rocsparse_index_base_b.numbered_sgpr, 16
	.set _ZN9rocsparseL19gebsrmvn_2xn_kernelILj128ELj14ELj8E21rocsparse_complex_numIfEEEvi20rocsparse_direction_NS_24const_host_device_scalarIT2_EEPKiS8_PKS5_SA_S6_PS5_21rocsparse_index_base_b.num_named_barrier, 0
	.set _ZN9rocsparseL19gebsrmvn_2xn_kernelILj128ELj14ELj8E21rocsparse_complex_numIfEEEvi20rocsparse_direction_NS_24const_host_device_scalarIT2_EEPKiS8_PKS5_SA_S6_PS5_21rocsparse_index_base_b.private_seg_size, 0
	.set _ZN9rocsparseL19gebsrmvn_2xn_kernelILj128ELj14ELj8E21rocsparse_complex_numIfEEEvi20rocsparse_direction_NS_24const_host_device_scalarIT2_EEPKiS8_PKS5_SA_S6_PS5_21rocsparse_index_base_b.uses_vcc, 1
	.set _ZN9rocsparseL19gebsrmvn_2xn_kernelILj128ELj14ELj8E21rocsparse_complex_numIfEEEvi20rocsparse_direction_NS_24const_host_device_scalarIT2_EEPKiS8_PKS5_SA_S6_PS5_21rocsparse_index_base_b.uses_flat_scratch, 0
	.set _ZN9rocsparseL19gebsrmvn_2xn_kernelILj128ELj14ELj8E21rocsparse_complex_numIfEEEvi20rocsparse_direction_NS_24const_host_device_scalarIT2_EEPKiS8_PKS5_SA_S6_PS5_21rocsparse_index_base_b.has_dyn_sized_stack, 0
	.set _ZN9rocsparseL19gebsrmvn_2xn_kernelILj128ELj14ELj8E21rocsparse_complex_numIfEEEvi20rocsparse_direction_NS_24const_host_device_scalarIT2_EEPKiS8_PKS5_SA_S6_PS5_21rocsparse_index_base_b.has_recursion, 0
	.set _ZN9rocsparseL19gebsrmvn_2xn_kernelILj128ELj14ELj8E21rocsparse_complex_numIfEEEvi20rocsparse_direction_NS_24const_host_device_scalarIT2_EEPKiS8_PKS5_SA_S6_PS5_21rocsparse_index_base_b.has_indirect_call, 0
	.section	.AMDGPU.csdata,"",@progbits
; Kernel info:
; codeLenInByte = 1580
; TotalNumSgprs: 18
; NumVgprs: 30
; ScratchSize: 0
; MemoryBound: 0
; FloatMode: 240
; IeeeMode: 1
; LDSByteSize: 0 bytes/workgroup (compile time only)
; SGPRBlocks: 0
; VGPRBlocks: 3
; NumSGPRsForWavesPerEU: 18
; NumVGPRsForWavesPerEU: 30
; Occupancy: 16
; WaveLimiterHint : 1
; COMPUTE_PGM_RSRC2:SCRATCH_EN: 0
; COMPUTE_PGM_RSRC2:USER_SGPR: 6
; COMPUTE_PGM_RSRC2:TRAP_HANDLER: 0
; COMPUTE_PGM_RSRC2:TGID_X_EN: 1
; COMPUTE_PGM_RSRC2:TGID_Y_EN: 0
; COMPUTE_PGM_RSRC2:TGID_Z_EN: 0
; COMPUTE_PGM_RSRC2:TIDIG_COMP_CNT: 0
	.section	.text._ZN9rocsparseL19gebsrmvn_2xn_kernelILj128ELj14ELj16E21rocsparse_complex_numIfEEEvi20rocsparse_direction_NS_24const_host_device_scalarIT2_EEPKiS8_PKS5_SA_S6_PS5_21rocsparse_index_base_b,"axG",@progbits,_ZN9rocsparseL19gebsrmvn_2xn_kernelILj128ELj14ELj16E21rocsparse_complex_numIfEEEvi20rocsparse_direction_NS_24const_host_device_scalarIT2_EEPKiS8_PKS5_SA_S6_PS5_21rocsparse_index_base_b,comdat
	.globl	_ZN9rocsparseL19gebsrmvn_2xn_kernelILj128ELj14ELj16E21rocsparse_complex_numIfEEEvi20rocsparse_direction_NS_24const_host_device_scalarIT2_EEPKiS8_PKS5_SA_S6_PS5_21rocsparse_index_base_b ; -- Begin function _ZN9rocsparseL19gebsrmvn_2xn_kernelILj128ELj14ELj16E21rocsparse_complex_numIfEEEvi20rocsparse_direction_NS_24const_host_device_scalarIT2_EEPKiS8_PKS5_SA_S6_PS5_21rocsparse_index_base_b
	.p2align	8
	.type	_ZN9rocsparseL19gebsrmvn_2xn_kernelILj128ELj14ELj16E21rocsparse_complex_numIfEEEvi20rocsparse_direction_NS_24const_host_device_scalarIT2_EEPKiS8_PKS5_SA_S6_PS5_21rocsparse_index_base_b,@function
_ZN9rocsparseL19gebsrmvn_2xn_kernelILj128ELj14ELj16E21rocsparse_complex_numIfEEEvi20rocsparse_direction_NS_24const_host_device_scalarIT2_EEPKiS8_PKS5_SA_S6_PS5_21rocsparse_index_base_b: ; @_ZN9rocsparseL19gebsrmvn_2xn_kernelILj128ELj14ELj16E21rocsparse_complex_numIfEEEvi20rocsparse_direction_NS_24const_host_device_scalarIT2_EEPKiS8_PKS5_SA_S6_PS5_21rocsparse_index_base_b
; %bb.0:
	s_clause 0x2
	s_load_dwordx2 s[2:3], s[4:5], 0x40
	s_load_dwordx2 s[0:1], s[4:5], 0x8
	;; [unrolled: 1-line block ×3, first 2 shown]
	s_add_u32 s7, s4, 8
	s_addc_u32 s10, s5, 0
	s_add_u32 s11, s4, 48
	s_addc_u32 s12, s5, 0
	s_waitcnt lgkmcnt(0)
	s_bitcmp1_b32 s3, 0
	s_cselect_b32 s0, s7, s0
	s_cselect_b32 s1, s10, s1
	v_mov_b32_e32 v1, s0
	v_mov_b32_e32 v2, s1
	s_cselect_b32 s0, s11, s8
	s_cselect_b32 s1, s12, s9
	v_mov_b32_e32 v3, s0
	v_mov_b32_e32 v4, s1
	flat_load_dwordx2 v[1:2], v[1:2]
	flat_load_dwordx2 v[3:4], v[3:4]
	s_waitcnt vmcnt(1) lgkmcnt(1)
	v_cmp_eq_f32_e32 vcc_lo, 0, v1
	v_cmp_eq_f32_e64 s0, 0, v2
	s_and_b32 s3, vcc_lo, s0
	s_mov_b32 s0, -1
	s_and_saveexec_b32 s1, s3
	s_cbranch_execz .LBB214_2
; %bb.1:
	s_waitcnt vmcnt(0) lgkmcnt(0)
	v_cmp_neq_f32_e32 vcc_lo, 1.0, v3
	v_cmp_neq_f32_e64 s0, 0, v4
	s_or_b32 s0, vcc_lo, s0
	s_orn2_b32 s0, s0, exec_lo
.LBB214_2:
	s_or_b32 exec_lo, exec_lo, s1
	s_and_saveexec_b32 s1, s0
	s_cbranch_execz .LBB214_25
; %bb.3:
	s_load_dwordx2 s[0:1], s[4:5], 0x0
	v_lshrrev_b32_e32 v5, 4, v0
	v_lshl_or_b32 v5, s6, 3, v5
	s_waitcnt lgkmcnt(0)
	v_cmp_gt_i32_e32 vcc_lo, s0, v5
	s_and_b32 exec_lo, exec_lo, vcc_lo
	s_cbranch_execz .LBB214_25
; %bb.4:
	s_load_dwordx8 s[8:15], s[4:5], 0x10
	v_ashrrev_i32_e32 v6, 31, v5
	v_and_b32_e32 v0, 15, v0
	s_cmp_lg_u32 s1, 0
	v_lshlrev_b64 v[6:7], 2, v[5:6]
	s_waitcnt lgkmcnt(0)
	v_add_co_u32 v6, vcc_lo, s8, v6
	v_add_co_ci_u32_e64 v7, null, s9, v7, vcc_lo
	global_load_dwordx2 v[7:8], v[6:7], off
	s_waitcnt vmcnt(0)
	v_subrev_nc_u32_e32 v6, s2, v7
	v_subrev_nc_u32_e32 v14, s2, v8
	v_add_nc_u32_e32 v6, v6, v0
	v_cmp_lt_i32_e64 s0, v6, v14
	s_cbranch_scc0 .LBB214_12
; %bb.5:
	v_mov_b32_e32 v12, 0
	v_mov_b32_e32 v15, 0
	;; [unrolled: 1-line block ×4, first 2 shown]
	s_and_saveexec_b32 s1, s0
	s_cbranch_execz .LBB214_11
; %bb.6:
	v_mul_lo_u32 v17, v6, 28
	v_mov_b32_e32 v9, 0
	v_mov_b32_e32 v10, v6
	;; [unrolled: 1-line block ×6, first 2 shown]
	s_mov_b32 s3, 0
.LBB214_7:                              ; =>This Loop Header: Depth=1
                                        ;     Child Loop BB214_8 Depth 2
	v_ashrrev_i32_e32 v11, 31, v10
	s_mov_b32 s6, 0
	v_lshlrev_b64 v[18:19], 2, v[10:11]
	v_add_co_u32 v18, vcc_lo, s10, v18
	v_add_co_ci_u32_e64 v19, null, s11, v19, vcc_lo
	global_load_dword v8, v[18:19], off
	s_waitcnt vmcnt(0)
	v_subrev_nc_u32_e32 v8, s2, v8
	v_mul_lo_u32 v11, v8, 14
	v_mov_b32_e32 v8, v17
	s_inst_prefetch 0x1
	.p2align	6
.LBB214_8:                              ;   Parent Loop BB214_7 Depth=1
                                        ; =>  This Inner Loop Header: Depth=2
	v_add_nc_u32_e32 v18, s6, v11
	v_mov_b32_e32 v19, v9
	v_lshlrev_b64 v[20:21], 3, v[8:9]
	v_add_nc_u32_e32 v8, 4, v8
	s_add_i32 s6, s6, 2
	v_lshlrev_b64 v[18:19], 3, v[18:19]
	s_cmp_eq_u32 s6, 14
	v_add_co_u32 v22, vcc_lo, s12, v20
	v_add_co_ci_u32_e64 v23, null, s13, v21, vcc_lo
	v_add_co_u32 v26, vcc_lo, s14, v18
	v_add_co_ci_u32_e64 v27, null, s15, v19, vcc_lo
	s_clause 0x1
	global_load_dwordx4 v[18:21], v[22:23], off offset:16
	global_load_dwordx4 v[22:25], v[22:23], off
	global_load_dwordx4 v[26:29], v[26:27], off
	s_waitcnt vmcnt(0)
	v_fmac_f32_e32 v15, v22, v26
	v_fmac_f32_e32 v12, v23, v26
	;; [unrolled: 1-line block ×4, first 2 shown]
	v_fma_f32 v15, -v23, v27, v15
	v_fmac_f32_e32 v12, v22, v27
	v_fma_f32 v16, -v25, v27, v16
	v_fmac_f32_e32 v13, v24, v27
	v_fmac_f32_e32 v15, v18, v28
	;; [unrolled: 1-line block ×5, first 2 shown]
	v_fma_f32 v15, -v19, v29, v15
	v_fmac_f32_e32 v12, v18, v29
	v_fma_f32 v16, -v21, v29, v16
	v_fmac_f32_e32 v13, v20, v29
	s_cbranch_scc0 .LBB214_8
; %bb.9:                                ;   in Loop: Header=BB214_7 Depth=1
	s_inst_prefetch 0x2
	v_add_nc_u32_e32 v10, 16, v10
	v_add_nc_u32_e32 v17, 0x1c0, v17
	v_cmp_ge_i32_e32 vcc_lo, v10, v14
	s_or_b32 s3, vcc_lo, s3
	s_andn2_b32 exec_lo, exec_lo, s3
	s_cbranch_execnz .LBB214_7
; %bb.10:
	s_or_b32 exec_lo, exec_lo, s3
.LBB214_11:
	s_or_b32 exec_lo, exec_lo, s1
	s_cbranch_execz .LBB214_13
	s_branch .LBB214_20
.LBB214_12:
                                        ; implicit-def: $vgpr12
                                        ; implicit-def: $vgpr15
                                        ; implicit-def: $vgpr16
                                        ; implicit-def: $vgpr13
.LBB214_13:
	v_mov_b32_e32 v12, 0
	v_mov_b32_e32 v15, 0
	v_mov_b32_e32 v16, 0
	v_mov_b32_e32 v13, 0
	s_and_saveexec_b32 s1, s0
	s_cbranch_execz .LBB214_19
; %bb.14:
	v_mul_lo_u32 v7, v7, 28
	v_mul_lo_u32 v9, v6, 28
	s_mul_i32 s0, s2, 28
	v_mov_b32_e32 v8, 0
	v_mov_b32_e32 v12, 0
	;; [unrolled: 1-line block ×5, first 2 shown]
	v_mad_u32_u24 v7, v0, 28, v7
	v_subrev_nc_u32_e32 v10, s0, v7
	s_mov_b32 s0, 0
.LBB214_15:                             ; =>This Loop Header: Depth=1
                                        ;     Child Loop BB214_16 Depth 2
	v_ashrrev_i32_e32 v7, 31, v6
	s_mov_b32 s3, 0
	v_lshlrev_b64 v[17:18], 2, v[6:7]
	v_add_co_u32 v17, vcc_lo, s10, v17
	v_add_co_ci_u32_e64 v18, null, s11, v18, vcc_lo
	global_load_dword v7, v[17:18], off
	s_waitcnt vmcnt(0)
	v_subrev_nc_u32_e32 v7, s2, v7
	v_mul_lo_u32 v11, v7, 14
.LBB214_16:                             ;   Parent Loop BB214_15 Depth=1
                                        ; =>  This Inner Loop Header: Depth=2
	v_add_nc_u32_e32 v7, s3, v10
	v_lshlrev_b64 v[17:18], 3, v[7:8]
	v_add_nc_u32_e32 v7, s3, v11
	v_lshlrev_b64 v[19:20], 3, v[7:8]
	v_add3_u32 v7, v9, s3, 14
	v_add_co_u32 v17, vcc_lo, s12, v17
	v_add_co_ci_u32_e64 v18, null, s13, v18, vcc_lo
	v_lshlrev_b64 v[21:22], 3, v[7:8]
	v_add_co_u32 v23, vcc_lo, s14, v19
	v_add_co_ci_u32_e64 v24, null, s15, v20, vcc_lo
	s_add_i32 s3, s3, 2
	v_add_co_u32 v25, vcc_lo, s12, v21
	v_add_co_ci_u32_e64 v26, null, s13, v22, vcc_lo
	global_load_dwordx4 v[17:20], v[17:18], off
	global_load_dwordx4 v[21:24], v[23:24], off
	;; [unrolled: 1-line block ×3, first 2 shown]
	s_cmp_eq_u32 s3, 14
	s_waitcnt vmcnt(1)
	v_fmac_f32_e32 v15, v17, v21
	v_fmac_f32_e32 v12, v18, v21
	s_waitcnt vmcnt(0)
	v_fmac_f32_e32 v16, v25, v21
	v_fmac_f32_e32 v13, v26, v21
	v_fma_f32 v7, -v18, v22, v15
	v_fmac_f32_e32 v12, v17, v22
	v_fma_f32 v16, -v26, v22, v16
	v_fmac_f32_e32 v13, v25, v22
	v_fmac_f32_e32 v7, v19, v23
	;; [unrolled: 1-line block ×5, first 2 shown]
	v_fma_f32 v15, -v20, v24, v7
	v_fmac_f32_e32 v12, v19, v24
	v_fma_f32 v16, -v28, v24, v16
	v_fmac_f32_e32 v13, v27, v24
	s_cbranch_scc0 .LBB214_16
; %bb.17:                               ;   in Loop: Header=BB214_15 Depth=1
	v_add_nc_u32_e32 v6, 16, v6
	v_add_nc_u32_e32 v9, 0x1c0, v9
	;; [unrolled: 1-line block ×3, first 2 shown]
	v_cmp_ge_i32_e32 vcc_lo, v6, v14
	s_or_b32 s0, vcc_lo, s0
	s_andn2_b32 exec_lo, exec_lo, s0
	s_cbranch_execnz .LBB214_15
; %bb.18:
	s_or_b32 exec_lo, exec_lo, s0
.LBB214_19:
	s_or_b32 exec_lo, exec_lo, s1
.LBB214_20:
	v_mbcnt_lo_u32_b32 v6, -1, 0
	v_xor_b32_e32 v7, 8, v6
	v_xor_b32_e32 v11, 4, v6
	v_cmp_gt_i32_e32 vcc_lo, 32, v7
	v_cndmask_b32_e32 v7, v6, v7, vcc_lo
	v_cmp_gt_i32_e32 vcc_lo, 32, v11
	v_lshlrev_b32_e32 v7, 2, v7
	v_cndmask_b32_e32 v11, v6, v11, vcc_lo
	ds_bpermute_b32 v8, v7, v15
	ds_bpermute_b32 v9, v7, v12
	;; [unrolled: 1-line block ×4, first 2 shown]
	v_lshlrev_b32_e32 v11, 2, v11
	s_waitcnt lgkmcnt(3)
	v_add_f32_e32 v8, v15, v8
	s_waitcnt lgkmcnt(2)
	v_add_f32_e32 v9, v12, v9
	;; [unrolled: 2-line block ×4, first 2 shown]
	v_xor_b32_e32 v15, 2, v6
	ds_bpermute_b32 v12, v11, v8
	ds_bpermute_b32 v13, v11, v9
	;; [unrolled: 1-line block ×4, first 2 shown]
	v_cmp_gt_i32_e32 vcc_lo, 32, v15
	v_cndmask_b32_e32 v15, v6, v15, vcc_lo
	v_lshlrev_b32_e32 v15, 2, v15
	s_waitcnt lgkmcnt(3)
	v_add_f32_e32 v8, v8, v12
	s_waitcnt lgkmcnt(2)
	v_add_f32_e32 v9, v9, v13
	;; [unrolled: 2-line block ×4, first 2 shown]
	ds_bpermute_b32 v11, v15, v8
	ds_bpermute_b32 v12, v15, v9
	;; [unrolled: 1-line block ×4, first 2 shown]
	v_xor_b32_e32 v15, 1, v6
	v_cmp_gt_i32_e32 vcc_lo, 32, v15
	v_cndmask_b32_e32 v6, v6, v15, vcc_lo
	v_cmp_eq_u32_e32 vcc_lo, 15, v0
	v_lshlrev_b32_e32 v15, 2, v6
	s_waitcnt lgkmcnt(3)
	v_add_f32_e32 v8, v8, v11
	s_waitcnt lgkmcnt(2)
	v_add_f32_e32 v9, v9, v12
	s_waitcnt lgkmcnt(1)
	v_add_f32_e32 v6, v10, v13
	s_waitcnt lgkmcnt(0)
	v_add_f32_e32 v7, v7, v14
	ds_bpermute_b32 v12, v15, v8
	ds_bpermute_b32 v13, v15, v9
	;; [unrolled: 1-line block ×4, first 2 shown]
	s_and_b32 exec_lo, exec_lo, vcc_lo
	s_cbranch_execz .LBB214_25
; %bb.21:
	s_load_dwordx2 s[2:3], s[4:5], 0x38
	v_cmp_eq_f32_e32 vcc_lo, 0, v3
	v_cmp_eq_f32_e64 s0, 0, v4
	s_waitcnt lgkmcnt(0)
	v_add_f32_e32 v0, v8, v12
	v_add_f32_e32 v8, v9, v13
	;; [unrolled: 1-line block ×4, first 2 shown]
	s_and_b32 s0, vcc_lo, s0
	s_and_saveexec_b32 s1, s0
	s_xor_b32 s0, exec_lo, s1
	s_cbranch_execz .LBB214_23
; %bb.22:
	v_lshlrev_b32_e32 v3, 1, v5
	v_mul_f32_e64 v9, v8, -v2
	v_mul_f32_e32 v10, v1, v8
	v_mul_f32_e64 v11, v7, -v2
	v_mul_f32_e32 v12, v1, v7
	v_ashrrev_i32_e32 v4, 31, v3
	v_fmac_f32_e32 v9, v1, v0
	v_fmac_f32_e32 v10, v2, v0
	;; [unrolled: 1-line block ×4, first 2 shown]
	v_lshlrev_b64 v[3:4], 3, v[3:4]
                                        ; implicit-def: $vgpr5
                                        ; implicit-def: $vgpr8
                                        ; implicit-def: $vgpr7
                                        ; implicit-def: $vgpr6
	v_add_co_u32 v0, vcc_lo, s2, v3
	v_add_co_ci_u32_e64 v1, null, s3, v4, vcc_lo
                                        ; implicit-def: $vgpr3_vgpr4
	global_store_dwordx4 v[0:1], v[9:12], off
                                        ; implicit-def: $vgpr1_vgpr2
                                        ; implicit-def: $vgpr0
.LBB214_23:
	s_andn2_saveexec_b32 s0, s0
	s_cbranch_execz .LBB214_25
; %bb.24:
	v_lshlrev_b32_e32 v9, 1, v5
	v_mul_f32_e64 v5, v8, -v2
	v_mul_f32_e32 v14, v1, v8
	v_mul_f32_e64 v8, v7, -v2
	v_mul_f32_e32 v16, v1, v7
	v_ashrrev_i32_e32 v10, 31, v9
	v_fmac_f32_e32 v5, v1, v0
	v_fmac_f32_e32 v14, v2, v0
	;; [unrolled: 1-line block ×4, first 2 shown]
	v_lshlrev_b64 v[9:10], 3, v[9:10]
	v_add_co_u32 v17, vcc_lo, s2, v9
	v_add_co_ci_u32_e64 v18, null, s3, v10, vcc_lo
	global_load_dwordx4 v[9:12], v[17:18], off
	s_waitcnt vmcnt(0)
	v_fmac_f32_e32 v5, v3, v9
	v_fmac_f32_e32 v14, v4, v9
	;; [unrolled: 1-line block ×4, first 2 shown]
	v_fma_f32 v13, -v4, v10, v5
	v_fmac_f32_e32 v14, v3, v10
	v_fma_f32 v15, -v4, v12, v8
	v_fmac_f32_e32 v16, v3, v12
	global_store_dwordx4 v[17:18], v[13:16], off
.LBB214_25:
	s_endpgm
	.section	.rodata,"a",@progbits
	.p2align	6, 0x0
	.amdhsa_kernel _ZN9rocsparseL19gebsrmvn_2xn_kernelILj128ELj14ELj16E21rocsparse_complex_numIfEEEvi20rocsparse_direction_NS_24const_host_device_scalarIT2_EEPKiS8_PKS5_SA_S6_PS5_21rocsparse_index_base_b
		.amdhsa_group_segment_fixed_size 0
		.amdhsa_private_segment_fixed_size 0
		.amdhsa_kernarg_size 72
		.amdhsa_user_sgpr_count 6
		.amdhsa_user_sgpr_private_segment_buffer 1
		.amdhsa_user_sgpr_dispatch_ptr 0
		.amdhsa_user_sgpr_queue_ptr 0
		.amdhsa_user_sgpr_kernarg_segment_ptr 1
		.amdhsa_user_sgpr_dispatch_id 0
		.amdhsa_user_sgpr_flat_scratch_init 0
		.amdhsa_user_sgpr_private_segment_size 0
		.amdhsa_wavefront_size32 1
		.amdhsa_uses_dynamic_stack 0
		.amdhsa_system_sgpr_private_segment_wavefront_offset 0
		.amdhsa_system_sgpr_workgroup_id_x 1
		.amdhsa_system_sgpr_workgroup_id_y 0
		.amdhsa_system_sgpr_workgroup_id_z 0
		.amdhsa_system_sgpr_workgroup_info 0
		.amdhsa_system_vgpr_workitem_id 0
		.amdhsa_next_free_vgpr 30
		.amdhsa_next_free_sgpr 16
		.amdhsa_reserve_vcc 1
		.amdhsa_reserve_flat_scratch 0
		.amdhsa_float_round_mode_32 0
		.amdhsa_float_round_mode_16_64 0
		.amdhsa_float_denorm_mode_32 3
		.amdhsa_float_denorm_mode_16_64 3
		.amdhsa_dx10_clamp 1
		.amdhsa_ieee_mode 1
		.amdhsa_fp16_overflow 0
		.amdhsa_workgroup_processor_mode 1
		.amdhsa_memory_ordered 1
		.amdhsa_forward_progress 1
		.amdhsa_shared_vgpr_count 0
		.amdhsa_exception_fp_ieee_invalid_op 0
		.amdhsa_exception_fp_denorm_src 0
		.amdhsa_exception_fp_ieee_div_zero 0
		.amdhsa_exception_fp_ieee_overflow 0
		.amdhsa_exception_fp_ieee_underflow 0
		.amdhsa_exception_fp_ieee_inexact 0
		.amdhsa_exception_int_div_zero 0
	.end_amdhsa_kernel
	.section	.text._ZN9rocsparseL19gebsrmvn_2xn_kernelILj128ELj14ELj16E21rocsparse_complex_numIfEEEvi20rocsparse_direction_NS_24const_host_device_scalarIT2_EEPKiS8_PKS5_SA_S6_PS5_21rocsparse_index_base_b,"axG",@progbits,_ZN9rocsparseL19gebsrmvn_2xn_kernelILj128ELj14ELj16E21rocsparse_complex_numIfEEEvi20rocsparse_direction_NS_24const_host_device_scalarIT2_EEPKiS8_PKS5_SA_S6_PS5_21rocsparse_index_base_b,comdat
.Lfunc_end214:
	.size	_ZN9rocsparseL19gebsrmvn_2xn_kernelILj128ELj14ELj16E21rocsparse_complex_numIfEEEvi20rocsparse_direction_NS_24const_host_device_scalarIT2_EEPKiS8_PKS5_SA_S6_PS5_21rocsparse_index_base_b, .Lfunc_end214-_ZN9rocsparseL19gebsrmvn_2xn_kernelILj128ELj14ELj16E21rocsparse_complex_numIfEEEvi20rocsparse_direction_NS_24const_host_device_scalarIT2_EEPKiS8_PKS5_SA_S6_PS5_21rocsparse_index_base_b
                                        ; -- End function
	.set _ZN9rocsparseL19gebsrmvn_2xn_kernelILj128ELj14ELj16E21rocsparse_complex_numIfEEEvi20rocsparse_direction_NS_24const_host_device_scalarIT2_EEPKiS8_PKS5_SA_S6_PS5_21rocsparse_index_base_b.num_vgpr, 30
	.set _ZN9rocsparseL19gebsrmvn_2xn_kernelILj128ELj14ELj16E21rocsparse_complex_numIfEEEvi20rocsparse_direction_NS_24const_host_device_scalarIT2_EEPKiS8_PKS5_SA_S6_PS5_21rocsparse_index_base_b.num_agpr, 0
	.set _ZN9rocsparseL19gebsrmvn_2xn_kernelILj128ELj14ELj16E21rocsparse_complex_numIfEEEvi20rocsparse_direction_NS_24const_host_device_scalarIT2_EEPKiS8_PKS5_SA_S6_PS5_21rocsparse_index_base_b.numbered_sgpr, 16
	.set _ZN9rocsparseL19gebsrmvn_2xn_kernelILj128ELj14ELj16E21rocsparse_complex_numIfEEEvi20rocsparse_direction_NS_24const_host_device_scalarIT2_EEPKiS8_PKS5_SA_S6_PS5_21rocsparse_index_base_b.num_named_barrier, 0
	.set _ZN9rocsparseL19gebsrmvn_2xn_kernelILj128ELj14ELj16E21rocsparse_complex_numIfEEEvi20rocsparse_direction_NS_24const_host_device_scalarIT2_EEPKiS8_PKS5_SA_S6_PS5_21rocsparse_index_base_b.private_seg_size, 0
	.set _ZN9rocsparseL19gebsrmvn_2xn_kernelILj128ELj14ELj16E21rocsparse_complex_numIfEEEvi20rocsparse_direction_NS_24const_host_device_scalarIT2_EEPKiS8_PKS5_SA_S6_PS5_21rocsparse_index_base_b.uses_vcc, 1
	.set _ZN9rocsparseL19gebsrmvn_2xn_kernelILj128ELj14ELj16E21rocsparse_complex_numIfEEEvi20rocsparse_direction_NS_24const_host_device_scalarIT2_EEPKiS8_PKS5_SA_S6_PS5_21rocsparse_index_base_b.uses_flat_scratch, 0
	.set _ZN9rocsparseL19gebsrmvn_2xn_kernelILj128ELj14ELj16E21rocsparse_complex_numIfEEEvi20rocsparse_direction_NS_24const_host_device_scalarIT2_EEPKiS8_PKS5_SA_S6_PS5_21rocsparse_index_base_b.has_dyn_sized_stack, 0
	.set _ZN9rocsparseL19gebsrmvn_2xn_kernelILj128ELj14ELj16E21rocsparse_complex_numIfEEEvi20rocsparse_direction_NS_24const_host_device_scalarIT2_EEPKiS8_PKS5_SA_S6_PS5_21rocsparse_index_base_b.has_recursion, 0
	.set _ZN9rocsparseL19gebsrmvn_2xn_kernelILj128ELj14ELj16E21rocsparse_complex_numIfEEEvi20rocsparse_direction_NS_24const_host_device_scalarIT2_EEPKiS8_PKS5_SA_S6_PS5_21rocsparse_index_base_b.has_indirect_call, 0
	.section	.AMDGPU.csdata,"",@progbits
; Kernel info:
; codeLenInByte = 1660
; TotalNumSgprs: 18
; NumVgprs: 30
; ScratchSize: 0
; MemoryBound: 0
; FloatMode: 240
; IeeeMode: 1
; LDSByteSize: 0 bytes/workgroup (compile time only)
; SGPRBlocks: 0
; VGPRBlocks: 3
; NumSGPRsForWavesPerEU: 18
; NumVGPRsForWavesPerEU: 30
; Occupancy: 16
; WaveLimiterHint : 1
; COMPUTE_PGM_RSRC2:SCRATCH_EN: 0
; COMPUTE_PGM_RSRC2:USER_SGPR: 6
; COMPUTE_PGM_RSRC2:TRAP_HANDLER: 0
; COMPUTE_PGM_RSRC2:TGID_X_EN: 1
; COMPUTE_PGM_RSRC2:TGID_Y_EN: 0
; COMPUTE_PGM_RSRC2:TGID_Z_EN: 0
; COMPUTE_PGM_RSRC2:TIDIG_COMP_CNT: 0
	.section	.text._ZN9rocsparseL19gebsrmvn_2xn_kernelILj128ELj14ELj32E21rocsparse_complex_numIfEEEvi20rocsparse_direction_NS_24const_host_device_scalarIT2_EEPKiS8_PKS5_SA_S6_PS5_21rocsparse_index_base_b,"axG",@progbits,_ZN9rocsparseL19gebsrmvn_2xn_kernelILj128ELj14ELj32E21rocsparse_complex_numIfEEEvi20rocsparse_direction_NS_24const_host_device_scalarIT2_EEPKiS8_PKS5_SA_S6_PS5_21rocsparse_index_base_b,comdat
	.globl	_ZN9rocsparseL19gebsrmvn_2xn_kernelILj128ELj14ELj32E21rocsparse_complex_numIfEEEvi20rocsparse_direction_NS_24const_host_device_scalarIT2_EEPKiS8_PKS5_SA_S6_PS5_21rocsparse_index_base_b ; -- Begin function _ZN9rocsparseL19gebsrmvn_2xn_kernelILj128ELj14ELj32E21rocsparse_complex_numIfEEEvi20rocsparse_direction_NS_24const_host_device_scalarIT2_EEPKiS8_PKS5_SA_S6_PS5_21rocsparse_index_base_b
	.p2align	8
	.type	_ZN9rocsparseL19gebsrmvn_2xn_kernelILj128ELj14ELj32E21rocsparse_complex_numIfEEEvi20rocsparse_direction_NS_24const_host_device_scalarIT2_EEPKiS8_PKS5_SA_S6_PS5_21rocsparse_index_base_b,@function
_ZN9rocsparseL19gebsrmvn_2xn_kernelILj128ELj14ELj32E21rocsparse_complex_numIfEEEvi20rocsparse_direction_NS_24const_host_device_scalarIT2_EEPKiS8_PKS5_SA_S6_PS5_21rocsparse_index_base_b: ; @_ZN9rocsparseL19gebsrmvn_2xn_kernelILj128ELj14ELj32E21rocsparse_complex_numIfEEEvi20rocsparse_direction_NS_24const_host_device_scalarIT2_EEPKiS8_PKS5_SA_S6_PS5_21rocsparse_index_base_b
; %bb.0:
	s_clause 0x2
	s_load_dwordx2 s[2:3], s[4:5], 0x40
	s_load_dwordx2 s[0:1], s[4:5], 0x8
	;; [unrolled: 1-line block ×3, first 2 shown]
	s_add_u32 s7, s4, 8
	s_addc_u32 s10, s5, 0
	s_add_u32 s11, s4, 48
	s_addc_u32 s12, s5, 0
	s_waitcnt lgkmcnt(0)
	s_bitcmp1_b32 s3, 0
	s_cselect_b32 s0, s7, s0
	s_cselect_b32 s1, s10, s1
	v_mov_b32_e32 v1, s0
	v_mov_b32_e32 v2, s1
	s_cselect_b32 s0, s11, s8
	s_cselect_b32 s1, s12, s9
	v_mov_b32_e32 v3, s0
	v_mov_b32_e32 v4, s1
	flat_load_dwordx2 v[1:2], v[1:2]
	flat_load_dwordx2 v[3:4], v[3:4]
	s_waitcnt vmcnt(1) lgkmcnt(1)
	v_cmp_eq_f32_e32 vcc_lo, 0, v1
	v_cmp_eq_f32_e64 s0, 0, v2
	s_and_b32 s3, vcc_lo, s0
	s_mov_b32 s0, -1
	s_and_saveexec_b32 s1, s3
	s_cbranch_execz .LBB215_2
; %bb.1:
	s_waitcnt vmcnt(0) lgkmcnt(0)
	v_cmp_neq_f32_e32 vcc_lo, 1.0, v3
	v_cmp_neq_f32_e64 s0, 0, v4
	s_or_b32 s0, vcc_lo, s0
	s_orn2_b32 s0, s0, exec_lo
.LBB215_2:
	s_or_b32 exec_lo, exec_lo, s1
	s_and_saveexec_b32 s1, s0
	s_cbranch_execz .LBB215_25
; %bb.3:
	s_load_dwordx2 s[0:1], s[4:5], 0x0
	v_lshrrev_b32_e32 v5, 5, v0
	v_lshl_or_b32 v5, s6, 2, v5
	s_waitcnt lgkmcnt(0)
	v_cmp_gt_i32_e32 vcc_lo, s0, v5
	s_and_b32 exec_lo, exec_lo, vcc_lo
	s_cbranch_execz .LBB215_25
; %bb.4:
	s_load_dwordx8 s[8:15], s[4:5], 0x10
	v_ashrrev_i32_e32 v6, 31, v5
	v_and_b32_e32 v0, 31, v0
	s_cmp_lg_u32 s1, 0
	v_lshlrev_b64 v[6:7], 2, v[5:6]
	s_waitcnt lgkmcnt(0)
	v_add_co_u32 v6, vcc_lo, s8, v6
	v_add_co_ci_u32_e64 v7, null, s9, v7, vcc_lo
	global_load_dwordx2 v[7:8], v[6:7], off
	s_waitcnt vmcnt(0)
	v_subrev_nc_u32_e32 v6, s2, v7
	v_subrev_nc_u32_e32 v14, s2, v8
	v_add_nc_u32_e32 v6, v6, v0
	v_cmp_lt_i32_e64 s0, v6, v14
	s_cbranch_scc0 .LBB215_12
; %bb.5:
	v_mov_b32_e32 v12, 0
	v_mov_b32_e32 v15, 0
	;; [unrolled: 1-line block ×4, first 2 shown]
	s_and_saveexec_b32 s1, s0
	s_cbranch_execz .LBB215_11
; %bb.6:
	v_mul_lo_u32 v17, v6, 28
	v_mov_b32_e32 v9, 0
	v_mov_b32_e32 v10, v6
	;; [unrolled: 1-line block ×6, first 2 shown]
	s_mov_b32 s3, 0
.LBB215_7:                              ; =>This Loop Header: Depth=1
                                        ;     Child Loop BB215_8 Depth 2
	v_ashrrev_i32_e32 v11, 31, v10
	s_mov_b32 s6, 0
	v_lshlrev_b64 v[18:19], 2, v[10:11]
	v_add_co_u32 v18, vcc_lo, s10, v18
	v_add_co_ci_u32_e64 v19, null, s11, v19, vcc_lo
	global_load_dword v8, v[18:19], off
	s_waitcnt vmcnt(0)
	v_subrev_nc_u32_e32 v8, s2, v8
	v_mul_lo_u32 v11, v8, 14
	v_mov_b32_e32 v8, v17
	s_inst_prefetch 0x1
	.p2align	6
.LBB215_8:                              ;   Parent Loop BB215_7 Depth=1
                                        ; =>  This Inner Loop Header: Depth=2
	v_add_nc_u32_e32 v18, s6, v11
	v_mov_b32_e32 v19, v9
	v_lshlrev_b64 v[20:21], 3, v[8:9]
	v_add_nc_u32_e32 v8, 4, v8
	s_add_i32 s6, s6, 2
	v_lshlrev_b64 v[18:19], 3, v[18:19]
	s_cmp_eq_u32 s6, 14
	v_add_co_u32 v22, vcc_lo, s12, v20
	v_add_co_ci_u32_e64 v23, null, s13, v21, vcc_lo
	v_add_co_u32 v26, vcc_lo, s14, v18
	v_add_co_ci_u32_e64 v27, null, s15, v19, vcc_lo
	s_clause 0x1
	global_load_dwordx4 v[18:21], v[22:23], off offset:16
	global_load_dwordx4 v[22:25], v[22:23], off
	global_load_dwordx4 v[26:29], v[26:27], off
	s_waitcnt vmcnt(0)
	v_fmac_f32_e32 v15, v22, v26
	v_fmac_f32_e32 v12, v23, v26
	;; [unrolled: 1-line block ×4, first 2 shown]
	v_fma_f32 v15, -v23, v27, v15
	v_fmac_f32_e32 v12, v22, v27
	v_fma_f32 v16, -v25, v27, v16
	v_fmac_f32_e32 v13, v24, v27
	v_fmac_f32_e32 v15, v18, v28
	;; [unrolled: 1-line block ×5, first 2 shown]
	v_fma_f32 v15, -v19, v29, v15
	v_fmac_f32_e32 v12, v18, v29
	v_fma_f32 v16, -v21, v29, v16
	v_fmac_f32_e32 v13, v20, v29
	s_cbranch_scc0 .LBB215_8
; %bb.9:                                ;   in Loop: Header=BB215_7 Depth=1
	s_inst_prefetch 0x2
	v_add_nc_u32_e32 v10, 32, v10
	v_add_nc_u32_e32 v17, 0x380, v17
	v_cmp_ge_i32_e32 vcc_lo, v10, v14
	s_or_b32 s3, vcc_lo, s3
	s_andn2_b32 exec_lo, exec_lo, s3
	s_cbranch_execnz .LBB215_7
; %bb.10:
	s_or_b32 exec_lo, exec_lo, s3
.LBB215_11:
	s_or_b32 exec_lo, exec_lo, s1
	s_cbranch_execz .LBB215_13
	s_branch .LBB215_20
.LBB215_12:
                                        ; implicit-def: $vgpr12
                                        ; implicit-def: $vgpr15
                                        ; implicit-def: $vgpr16
                                        ; implicit-def: $vgpr13
.LBB215_13:
	v_mov_b32_e32 v12, 0
	v_mov_b32_e32 v15, 0
	;; [unrolled: 1-line block ×4, first 2 shown]
	s_and_saveexec_b32 s1, s0
	s_cbranch_execz .LBB215_19
; %bb.14:
	v_mul_lo_u32 v7, v7, 28
	v_mul_lo_u32 v9, v6, 28
	s_mul_i32 s0, s2, 28
	v_mov_b32_e32 v8, 0
	v_mov_b32_e32 v12, 0
	;; [unrolled: 1-line block ×5, first 2 shown]
	v_mad_u32_u24 v7, v0, 28, v7
	v_subrev_nc_u32_e32 v10, s0, v7
	s_mov_b32 s0, 0
.LBB215_15:                             ; =>This Loop Header: Depth=1
                                        ;     Child Loop BB215_16 Depth 2
	v_ashrrev_i32_e32 v7, 31, v6
	s_mov_b32 s3, 0
	v_lshlrev_b64 v[17:18], 2, v[6:7]
	v_add_co_u32 v17, vcc_lo, s10, v17
	v_add_co_ci_u32_e64 v18, null, s11, v18, vcc_lo
	global_load_dword v7, v[17:18], off
	s_waitcnt vmcnt(0)
	v_subrev_nc_u32_e32 v7, s2, v7
	v_mul_lo_u32 v11, v7, 14
.LBB215_16:                             ;   Parent Loop BB215_15 Depth=1
                                        ; =>  This Inner Loop Header: Depth=2
	v_add_nc_u32_e32 v7, s3, v10
	v_lshlrev_b64 v[17:18], 3, v[7:8]
	v_add_nc_u32_e32 v7, s3, v11
	v_lshlrev_b64 v[19:20], 3, v[7:8]
	v_add3_u32 v7, v9, s3, 14
	v_add_co_u32 v17, vcc_lo, s12, v17
	v_add_co_ci_u32_e64 v18, null, s13, v18, vcc_lo
	v_lshlrev_b64 v[21:22], 3, v[7:8]
	v_add_co_u32 v23, vcc_lo, s14, v19
	v_add_co_ci_u32_e64 v24, null, s15, v20, vcc_lo
	s_add_i32 s3, s3, 2
	v_add_co_u32 v25, vcc_lo, s12, v21
	v_add_co_ci_u32_e64 v26, null, s13, v22, vcc_lo
	global_load_dwordx4 v[17:20], v[17:18], off
	global_load_dwordx4 v[21:24], v[23:24], off
	;; [unrolled: 1-line block ×3, first 2 shown]
	s_cmp_eq_u32 s3, 14
	s_waitcnt vmcnt(1)
	v_fmac_f32_e32 v15, v17, v21
	v_fmac_f32_e32 v12, v18, v21
	s_waitcnt vmcnt(0)
	v_fmac_f32_e32 v16, v25, v21
	v_fmac_f32_e32 v13, v26, v21
	v_fma_f32 v7, -v18, v22, v15
	v_fmac_f32_e32 v12, v17, v22
	v_fma_f32 v16, -v26, v22, v16
	v_fmac_f32_e32 v13, v25, v22
	v_fmac_f32_e32 v7, v19, v23
	;; [unrolled: 1-line block ×5, first 2 shown]
	v_fma_f32 v15, -v20, v24, v7
	v_fmac_f32_e32 v12, v19, v24
	v_fma_f32 v16, -v28, v24, v16
	v_fmac_f32_e32 v13, v27, v24
	s_cbranch_scc0 .LBB215_16
; %bb.17:                               ;   in Loop: Header=BB215_15 Depth=1
	v_add_nc_u32_e32 v6, 32, v6
	v_add_nc_u32_e32 v9, 0x380, v9
	;; [unrolled: 1-line block ×3, first 2 shown]
	v_cmp_ge_i32_e32 vcc_lo, v6, v14
	s_or_b32 s0, vcc_lo, s0
	s_andn2_b32 exec_lo, exec_lo, s0
	s_cbranch_execnz .LBB215_15
; %bb.18:
	s_or_b32 exec_lo, exec_lo, s0
.LBB215_19:
	s_or_b32 exec_lo, exec_lo, s1
.LBB215_20:
	v_mbcnt_lo_u32_b32 v6, -1, 0
	v_xor_b32_e32 v7, 16, v6
	v_xor_b32_e32 v11, 8, v6
	v_cmp_gt_i32_e32 vcc_lo, 32, v7
	v_cndmask_b32_e32 v7, v6, v7, vcc_lo
	v_cmp_gt_i32_e32 vcc_lo, 32, v11
	v_lshlrev_b32_e32 v7, 2, v7
	v_cndmask_b32_e32 v11, v6, v11, vcc_lo
	ds_bpermute_b32 v8, v7, v15
	ds_bpermute_b32 v9, v7, v12
	;; [unrolled: 1-line block ×4, first 2 shown]
	v_lshlrev_b32_e32 v11, 2, v11
	s_waitcnt lgkmcnt(3)
	v_add_f32_e32 v8, v15, v8
	s_waitcnt lgkmcnt(2)
	v_add_f32_e32 v9, v12, v9
	;; [unrolled: 2-line block ×4, first 2 shown]
	v_xor_b32_e32 v15, 4, v6
	ds_bpermute_b32 v12, v11, v8
	ds_bpermute_b32 v13, v11, v9
	;; [unrolled: 1-line block ×4, first 2 shown]
	v_cmp_gt_i32_e32 vcc_lo, 32, v15
	v_cndmask_b32_e32 v15, v6, v15, vcc_lo
	v_lshlrev_b32_e32 v15, 2, v15
	s_waitcnt lgkmcnt(3)
	v_add_f32_e32 v8, v8, v12
	s_waitcnt lgkmcnt(2)
	v_add_f32_e32 v9, v9, v13
	;; [unrolled: 2-line block ×4, first 2 shown]
	ds_bpermute_b32 v11, v15, v8
	ds_bpermute_b32 v12, v15, v9
	;; [unrolled: 1-line block ×4, first 2 shown]
	v_xor_b32_e32 v15, 2, v6
	v_cmp_gt_i32_e32 vcc_lo, 32, v15
	v_cndmask_b32_e32 v15, v6, v15, vcc_lo
	v_lshlrev_b32_e32 v15, 2, v15
	s_waitcnt lgkmcnt(3)
	v_add_f32_e32 v8, v8, v11
	s_waitcnt lgkmcnt(2)
	v_add_f32_e32 v9, v9, v12
	;; [unrolled: 2-line block ×4, first 2 shown]
	ds_bpermute_b32 v11, v15, v8
	ds_bpermute_b32 v12, v15, v9
	ds_bpermute_b32 v13, v15, v10
	ds_bpermute_b32 v14, v15, v7
	v_xor_b32_e32 v15, 1, v6
	v_cmp_gt_i32_e32 vcc_lo, 32, v15
	v_cndmask_b32_e32 v6, v6, v15, vcc_lo
	v_cmp_eq_u32_e32 vcc_lo, 31, v0
	v_lshlrev_b32_e32 v15, 2, v6
	s_waitcnt lgkmcnt(3)
	v_add_f32_e32 v8, v8, v11
	s_waitcnt lgkmcnt(2)
	v_add_f32_e32 v9, v9, v12
	;; [unrolled: 2-line block ×4, first 2 shown]
	ds_bpermute_b32 v12, v15, v8
	ds_bpermute_b32 v13, v15, v9
	;; [unrolled: 1-line block ×4, first 2 shown]
	s_and_b32 exec_lo, exec_lo, vcc_lo
	s_cbranch_execz .LBB215_25
; %bb.21:
	s_load_dwordx2 s[2:3], s[4:5], 0x38
	v_cmp_eq_f32_e32 vcc_lo, 0, v3
	v_cmp_eq_f32_e64 s0, 0, v4
	s_waitcnt lgkmcnt(0)
	v_add_f32_e32 v0, v8, v12
	v_add_f32_e32 v8, v9, v13
	;; [unrolled: 1-line block ×4, first 2 shown]
	s_and_b32 s0, vcc_lo, s0
	s_and_saveexec_b32 s1, s0
	s_xor_b32 s0, exec_lo, s1
	s_cbranch_execz .LBB215_23
; %bb.22:
	v_lshlrev_b32_e32 v3, 1, v5
	v_mul_f32_e64 v9, v8, -v2
	v_mul_f32_e32 v10, v1, v8
	v_mul_f32_e64 v11, v7, -v2
	v_mul_f32_e32 v12, v1, v7
	v_ashrrev_i32_e32 v4, 31, v3
	v_fmac_f32_e32 v9, v1, v0
	v_fmac_f32_e32 v10, v2, v0
	;; [unrolled: 1-line block ×4, first 2 shown]
	v_lshlrev_b64 v[3:4], 3, v[3:4]
                                        ; implicit-def: $vgpr5
                                        ; implicit-def: $vgpr8
                                        ; implicit-def: $vgpr7
                                        ; implicit-def: $vgpr6
	v_add_co_u32 v0, vcc_lo, s2, v3
	v_add_co_ci_u32_e64 v1, null, s3, v4, vcc_lo
                                        ; implicit-def: $vgpr3_vgpr4
	global_store_dwordx4 v[0:1], v[9:12], off
                                        ; implicit-def: $vgpr1_vgpr2
                                        ; implicit-def: $vgpr0
.LBB215_23:
	s_andn2_saveexec_b32 s0, s0
	s_cbranch_execz .LBB215_25
; %bb.24:
	v_lshlrev_b32_e32 v9, 1, v5
	v_mul_f32_e64 v5, v8, -v2
	v_mul_f32_e32 v14, v1, v8
	v_mul_f32_e64 v8, v7, -v2
	v_mul_f32_e32 v16, v1, v7
	v_ashrrev_i32_e32 v10, 31, v9
	v_fmac_f32_e32 v5, v1, v0
	v_fmac_f32_e32 v14, v2, v0
	v_fmac_f32_e32 v8, v1, v6
	v_fmac_f32_e32 v16, v2, v6
	v_lshlrev_b64 v[9:10], 3, v[9:10]
	v_add_co_u32 v17, vcc_lo, s2, v9
	v_add_co_ci_u32_e64 v18, null, s3, v10, vcc_lo
	global_load_dwordx4 v[9:12], v[17:18], off
	s_waitcnt vmcnt(0)
	v_fmac_f32_e32 v5, v3, v9
	v_fmac_f32_e32 v14, v4, v9
	v_fmac_f32_e32 v8, v3, v11
	v_fmac_f32_e32 v16, v4, v11
	v_fma_f32 v13, -v4, v10, v5
	v_fmac_f32_e32 v14, v3, v10
	v_fma_f32 v15, -v4, v12, v8
	v_fmac_f32_e32 v16, v3, v12
	global_store_dwordx4 v[17:18], v[13:16], off
.LBB215_25:
	s_endpgm
	.section	.rodata,"a",@progbits
	.p2align	6, 0x0
	.amdhsa_kernel _ZN9rocsparseL19gebsrmvn_2xn_kernelILj128ELj14ELj32E21rocsparse_complex_numIfEEEvi20rocsparse_direction_NS_24const_host_device_scalarIT2_EEPKiS8_PKS5_SA_S6_PS5_21rocsparse_index_base_b
		.amdhsa_group_segment_fixed_size 0
		.amdhsa_private_segment_fixed_size 0
		.amdhsa_kernarg_size 72
		.amdhsa_user_sgpr_count 6
		.amdhsa_user_sgpr_private_segment_buffer 1
		.amdhsa_user_sgpr_dispatch_ptr 0
		.amdhsa_user_sgpr_queue_ptr 0
		.amdhsa_user_sgpr_kernarg_segment_ptr 1
		.amdhsa_user_sgpr_dispatch_id 0
		.amdhsa_user_sgpr_flat_scratch_init 0
		.amdhsa_user_sgpr_private_segment_size 0
		.amdhsa_wavefront_size32 1
		.amdhsa_uses_dynamic_stack 0
		.amdhsa_system_sgpr_private_segment_wavefront_offset 0
		.amdhsa_system_sgpr_workgroup_id_x 1
		.amdhsa_system_sgpr_workgroup_id_y 0
		.amdhsa_system_sgpr_workgroup_id_z 0
		.amdhsa_system_sgpr_workgroup_info 0
		.amdhsa_system_vgpr_workitem_id 0
		.amdhsa_next_free_vgpr 30
		.amdhsa_next_free_sgpr 16
		.amdhsa_reserve_vcc 1
		.amdhsa_reserve_flat_scratch 0
		.amdhsa_float_round_mode_32 0
		.amdhsa_float_round_mode_16_64 0
		.amdhsa_float_denorm_mode_32 3
		.amdhsa_float_denorm_mode_16_64 3
		.amdhsa_dx10_clamp 1
		.amdhsa_ieee_mode 1
		.amdhsa_fp16_overflow 0
		.amdhsa_workgroup_processor_mode 1
		.amdhsa_memory_ordered 1
		.amdhsa_forward_progress 1
		.amdhsa_shared_vgpr_count 0
		.amdhsa_exception_fp_ieee_invalid_op 0
		.amdhsa_exception_fp_denorm_src 0
		.amdhsa_exception_fp_ieee_div_zero 0
		.amdhsa_exception_fp_ieee_overflow 0
		.amdhsa_exception_fp_ieee_underflow 0
		.amdhsa_exception_fp_ieee_inexact 0
		.amdhsa_exception_int_div_zero 0
	.end_amdhsa_kernel
	.section	.text._ZN9rocsparseL19gebsrmvn_2xn_kernelILj128ELj14ELj32E21rocsparse_complex_numIfEEEvi20rocsparse_direction_NS_24const_host_device_scalarIT2_EEPKiS8_PKS5_SA_S6_PS5_21rocsparse_index_base_b,"axG",@progbits,_ZN9rocsparseL19gebsrmvn_2xn_kernelILj128ELj14ELj32E21rocsparse_complex_numIfEEEvi20rocsparse_direction_NS_24const_host_device_scalarIT2_EEPKiS8_PKS5_SA_S6_PS5_21rocsparse_index_base_b,comdat
.Lfunc_end215:
	.size	_ZN9rocsparseL19gebsrmvn_2xn_kernelILj128ELj14ELj32E21rocsparse_complex_numIfEEEvi20rocsparse_direction_NS_24const_host_device_scalarIT2_EEPKiS8_PKS5_SA_S6_PS5_21rocsparse_index_base_b, .Lfunc_end215-_ZN9rocsparseL19gebsrmvn_2xn_kernelILj128ELj14ELj32E21rocsparse_complex_numIfEEEvi20rocsparse_direction_NS_24const_host_device_scalarIT2_EEPKiS8_PKS5_SA_S6_PS5_21rocsparse_index_base_b
                                        ; -- End function
	.set _ZN9rocsparseL19gebsrmvn_2xn_kernelILj128ELj14ELj32E21rocsparse_complex_numIfEEEvi20rocsparse_direction_NS_24const_host_device_scalarIT2_EEPKiS8_PKS5_SA_S6_PS5_21rocsparse_index_base_b.num_vgpr, 30
	.set _ZN9rocsparseL19gebsrmvn_2xn_kernelILj128ELj14ELj32E21rocsparse_complex_numIfEEEvi20rocsparse_direction_NS_24const_host_device_scalarIT2_EEPKiS8_PKS5_SA_S6_PS5_21rocsparse_index_base_b.num_agpr, 0
	.set _ZN9rocsparseL19gebsrmvn_2xn_kernelILj128ELj14ELj32E21rocsparse_complex_numIfEEEvi20rocsparse_direction_NS_24const_host_device_scalarIT2_EEPKiS8_PKS5_SA_S6_PS5_21rocsparse_index_base_b.numbered_sgpr, 16
	.set _ZN9rocsparseL19gebsrmvn_2xn_kernelILj128ELj14ELj32E21rocsparse_complex_numIfEEEvi20rocsparse_direction_NS_24const_host_device_scalarIT2_EEPKiS8_PKS5_SA_S6_PS5_21rocsparse_index_base_b.num_named_barrier, 0
	.set _ZN9rocsparseL19gebsrmvn_2xn_kernelILj128ELj14ELj32E21rocsparse_complex_numIfEEEvi20rocsparse_direction_NS_24const_host_device_scalarIT2_EEPKiS8_PKS5_SA_S6_PS5_21rocsparse_index_base_b.private_seg_size, 0
	.set _ZN9rocsparseL19gebsrmvn_2xn_kernelILj128ELj14ELj32E21rocsparse_complex_numIfEEEvi20rocsparse_direction_NS_24const_host_device_scalarIT2_EEPKiS8_PKS5_SA_S6_PS5_21rocsparse_index_base_b.uses_vcc, 1
	.set _ZN9rocsparseL19gebsrmvn_2xn_kernelILj128ELj14ELj32E21rocsparse_complex_numIfEEEvi20rocsparse_direction_NS_24const_host_device_scalarIT2_EEPKiS8_PKS5_SA_S6_PS5_21rocsparse_index_base_b.uses_flat_scratch, 0
	.set _ZN9rocsparseL19gebsrmvn_2xn_kernelILj128ELj14ELj32E21rocsparse_complex_numIfEEEvi20rocsparse_direction_NS_24const_host_device_scalarIT2_EEPKiS8_PKS5_SA_S6_PS5_21rocsparse_index_base_b.has_dyn_sized_stack, 0
	.set _ZN9rocsparseL19gebsrmvn_2xn_kernelILj128ELj14ELj32E21rocsparse_complex_numIfEEEvi20rocsparse_direction_NS_24const_host_device_scalarIT2_EEPKiS8_PKS5_SA_S6_PS5_21rocsparse_index_base_b.has_recursion, 0
	.set _ZN9rocsparseL19gebsrmvn_2xn_kernelILj128ELj14ELj32E21rocsparse_complex_numIfEEEvi20rocsparse_direction_NS_24const_host_device_scalarIT2_EEPKiS8_PKS5_SA_S6_PS5_21rocsparse_index_base_b.has_indirect_call, 0
	.section	.AMDGPU.csdata,"",@progbits
; Kernel info:
; codeLenInByte = 1740
; TotalNumSgprs: 18
; NumVgprs: 30
; ScratchSize: 0
; MemoryBound: 0
; FloatMode: 240
; IeeeMode: 1
; LDSByteSize: 0 bytes/workgroup (compile time only)
; SGPRBlocks: 0
; VGPRBlocks: 3
; NumSGPRsForWavesPerEU: 18
; NumVGPRsForWavesPerEU: 30
; Occupancy: 16
; WaveLimiterHint : 1
; COMPUTE_PGM_RSRC2:SCRATCH_EN: 0
; COMPUTE_PGM_RSRC2:USER_SGPR: 6
; COMPUTE_PGM_RSRC2:TRAP_HANDLER: 0
; COMPUTE_PGM_RSRC2:TGID_X_EN: 1
; COMPUTE_PGM_RSRC2:TGID_Y_EN: 0
; COMPUTE_PGM_RSRC2:TGID_Z_EN: 0
; COMPUTE_PGM_RSRC2:TIDIG_COMP_CNT: 0
	.section	.text._ZN9rocsparseL19gebsrmvn_2xn_kernelILj128ELj14ELj64E21rocsparse_complex_numIfEEEvi20rocsparse_direction_NS_24const_host_device_scalarIT2_EEPKiS8_PKS5_SA_S6_PS5_21rocsparse_index_base_b,"axG",@progbits,_ZN9rocsparseL19gebsrmvn_2xn_kernelILj128ELj14ELj64E21rocsparse_complex_numIfEEEvi20rocsparse_direction_NS_24const_host_device_scalarIT2_EEPKiS8_PKS5_SA_S6_PS5_21rocsparse_index_base_b,comdat
	.globl	_ZN9rocsparseL19gebsrmvn_2xn_kernelILj128ELj14ELj64E21rocsparse_complex_numIfEEEvi20rocsparse_direction_NS_24const_host_device_scalarIT2_EEPKiS8_PKS5_SA_S6_PS5_21rocsparse_index_base_b ; -- Begin function _ZN9rocsparseL19gebsrmvn_2xn_kernelILj128ELj14ELj64E21rocsparse_complex_numIfEEEvi20rocsparse_direction_NS_24const_host_device_scalarIT2_EEPKiS8_PKS5_SA_S6_PS5_21rocsparse_index_base_b
	.p2align	8
	.type	_ZN9rocsparseL19gebsrmvn_2xn_kernelILj128ELj14ELj64E21rocsparse_complex_numIfEEEvi20rocsparse_direction_NS_24const_host_device_scalarIT2_EEPKiS8_PKS5_SA_S6_PS5_21rocsparse_index_base_b,@function
_ZN9rocsparseL19gebsrmvn_2xn_kernelILj128ELj14ELj64E21rocsparse_complex_numIfEEEvi20rocsparse_direction_NS_24const_host_device_scalarIT2_EEPKiS8_PKS5_SA_S6_PS5_21rocsparse_index_base_b: ; @_ZN9rocsparseL19gebsrmvn_2xn_kernelILj128ELj14ELj64E21rocsparse_complex_numIfEEEvi20rocsparse_direction_NS_24const_host_device_scalarIT2_EEPKiS8_PKS5_SA_S6_PS5_21rocsparse_index_base_b
; %bb.0:
	s_clause 0x2
	s_load_dwordx2 s[2:3], s[4:5], 0x40
	s_load_dwordx2 s[0:1], s[4:5], 0x8
	;; [unrolled: 1-line block ×3, first 2 shown]
	s_add_u32 s7, s4, 8
	s_addc_u32 s10, s5, 0
	s_add_u32 s11, s4, 48
	s_addc_u32 s12, s5, 0
	s_waitcnt lgkmcnt(0)
	s_bitcmp1_b32 s3, 0
	s_cselect_b32 s0, s7, s0
	s_cselect_b32 s1, s10, s1
	v_mov_b32_e32 v1, s0
	v_mov_b32_e32 v2, s1
	s_cselect_b32 s0, s11, s8
	s_cselect_b32 s1, s12, s9
	v_mov_b32_e32 v3, s0
	v_mov_b32_e32 v4, s1
	flat_load_dwordx2 v[1:2], v[1:2]
	flat_load_dwordx2 v[3:4], v[3:4]
	s_waitcnt vmcnt(1) lgkmcnt(1)
	v_cmp_eq_f32_e32 vcc_lo, 0, v1
	v_cmp_eq_f32_e64 s0, 0, v2
	s_and_b32 s3, vcc_lo, s0
	s_mov_b32 s0, -1
	s_and_saveexec_b32 s1, s3
	s_cbranch_execz .LBB216_2
; %bb.1:
	s_waitcnt vmcnt(0) lgkmcnt(0)
	v_cmp_neq_f32_e32 vcc_lo, 1.0, v3
	v_cmp_neq_f32_e64 s0, 0, v4
	s_or_b32 s0, vcc_lo, s0
	s_orn2_b32 s0, s0, exec_lo
.LBB216_2:
	s_or_b32 exec_lo, exec_lo, s1
	s_and_saveexec_b32 s1, s0
	s_cbranch_execz .LBB216_25
; %bb.3:
	s_load_dwordx2 s[0:1], s[4:5], 0x0
	v_lshrrev_b32_e32 v5, 6, v0
	v_lshl_or_b32 v5, s6, 1, v5
	s_waitcnt lgkmcnt(0)
	v_cmp_gt_i32_e32 vcc_lo, s0, v5
	s_and_b32 exec_lo, exec_lo, vcc_lo
	s_cbranch_execz .LBB216_25
; %bb.4:
	s_load_dwordx8 s[8:15], s[4:5], 0x10
	v_ashrrev_i32_e32 v6, 31, v5
	v_and_b32_e32 v0, 63, v0
	s_cmp_lg_u32 s1, 0
	v_lshlrev_b64 v[6:7], 2, v[5:6]
	s_waitcnt lgkmcnt(0)
	v_add_co_u32 v6, vcc_lo, s8, v6
	v_add_co_ci_u32_e64 v7, null, s9, v7, vcc_lo
	global_load_dwordx2 v[7:8], v[6:7], off
	s_waitcnt vmcnt(0)
	v_subrev_nc_u32_e32 v6, s2, v7
	v_subrev_nc_u32_e32 v15, s2, v8
	v_add_nc_u32_e32 v6, v6, v0
	v_cmp_lt_i32_e64 s0, v6, v15
	s_cbranch_scc0 .LBB216_12
; %bb.5:
	v_mov_b32_e32 v12, 0
	v_mov_b32_e32 v14, 0
	;; [unrolled: 1-line block ×4, first 2 shown]
	s_and_saveexec_b32 s1, s0
	s_cbranch_execz .LBB216_11
; %bb.6:
	v_mul_lo_u32 v17, v6, 28
	v_mov_b32_e32 v9, 0
	v_mov_b32_e32 v10, v6
	;; [unrolled: 1-line block ×6, first 2 shown]
	s_mov_b32 s3, 0
.LBB216_7:                              ; =>This Loop Header: Depth=1
                                        ;     Child Loop BB216_8 Depth 2
	v_ashrrev_i32_e32 v11, 31, v10
	s_mov_b32 s6, 0
	v_lshlrev_b64 v[18:19], 2, v[10:11]
	v_add_co_u32 v18, vcc_lo, s10, v18
	v_add_co_ci_u32_e64 v19, null, s11, v19, vcc_lo
	global_load_dword v8, v[18:19], off
	s_waitcnt vmcnt(0)
	v_subrev_nc_u32_e32 v8, s2, v8
	v_mul_lo_u32 v11, v8, 14
	v_mov_b32_e32 v8, v17
	s_inst_prefetch 0x1
	.p2align	6
.LBB216_8:                              ;   Parent Loop BB216_7 Depth=1
                                        ; =>  This Inner Loop Header: Depth=2
	v_add_nc_u32_e32 v18, s6, v11
	v_mov_b32_e32 v19, v9
	v_lshlrev_b64 v[20:21], 3, v[8:9]
	v_add_nc_u32_e32 v8, 4, v8
	s_add_i32 s6, s6, 2
	v_lshlrev_b64 v[18:19], 3, v[18:19]
	s_cmp_eq_u32 s6, 14
	v_add_co_u32 v22, vcc_lo, s12, v20
	v_add_co_ci_u32_e64 v23, null, s13, v21, vcc_lo
	v_add_co_u32 v26, vcc_lo, s14, v18
	v_add_co_ci_u32_e64 v27, null, s15, v19, vcc_lo
	s_clause 0x1
	global_load_dwordx4 v[18:21], v[22:23], off offset:16
	global_load_dwordx4 v[22:25], v[22:23], off
	global_load_dwordx4 v[26:29], v[26:27], off
	s_waitcnt vmcnt(0)
	v_fmac_f32_e32 v14, v22, v26
	v_fmac_f32_e32 v12, v23, v26
	;; [unrolled: 1-line block ×4, first 2 shown]
	v_fma_f32 v14, -v23, v27, v14
	v_fmac_f32_e32 v12, v22, v27
	v_fma_f32 v16, -v25, v27, v16
	v_fmac_f32_e32 v13, v24, v27
	v_fmac_f32_e32 v14, v18, v28
	;; [unrolled: 1-line block ×5, first 2 shown]
	v_fma_f32 v14, -v19, v29, v14
	v_fmac_f32_e32 v12, v18, v29
	v_fma_f32 v16, -v21, v29, v16
	v_fmac_f32_e32 v13, v20, v29
	s_cbranch_scc0 .LBB216_8
; %bb.9:                                ;   in Loop: Header=BB216_7 Depth=1
	s_inst_prefetch 0x2
	v_add_nc_u32_e32 v10, 64, v10
	v_add_nc_u32_e32 v17, 0x700, v17
	v_cmp_ge_i32_e32 vcc_lo, v10, v15
	s_or_b32 s3, vcc_lo, s3
	s_andn2_b32 exec_lo, exec_lo, s3
	s_cbranch_execnz .LBB216_7
; %bb.10:
	s_or_b32 exec_lo, exec_lo, s3
.LBB216_11:
	s_or_b32 exec_lo, exec_lo, s1
	s_cbranch_execz .LBB216_13
	s_branch .LBB216_20
.LBB216_12:
                                        ; implicit-def: $vgpr12
                                        ; implicit-def: $vgpr14
                                        ; implicit-def: $vgpr16
                                        ; implicit-def: $vgpr13
.LBB216_13:
	v_mov_b32_e32 v12, 0
	v_mov_b32_e32 v14, 0
	;; [unrolled: 1-line block ×4, first 2 shown]
	s_and_saveexec_b32 s1, s0
	s_cbranch_execz .LBB216_19
; %bb.14:
	v_mul_lo_u32 v7, v7, 28
	v_mul_lo_u32 v9, v6, 28
	s_mul_i32 s0, s2, 28
	v_mov_b32_e32 v8, 0
	v_mov_b32_e32 v12, 0
	;; [unrolled: 1-line block ×5, first 2 shown]
	v_mad_u32_u24 v7, v0, 28, v7
	v_subrev_nc_u32_e32 v10, s0, v7
	s_mov_b32 s0, 0
.LBB216_15:                             ; =>This Loop Header: Depth=1
                                        ;     Child Loop BB216_16 Depth 2
	v_ashrrev_i32_e32 v7, 31, v6
	s_mov_b32 s3, 0
	v_lshlrev_b64 v[17:18], 2, v[6:7]
	v_add_co_u32 v17, vcc_lo, s10, v17
	v_add_co_ci_u32_e64 v18, null, s11, v18, vcc_lo
	global_load_dword v7, v[17:18], off
	s_waitcnt vmcnt(0)
	v_subrev_nc_u32_e32 v7, s2, v7
	v_mul_lo_u32 v11, v7, 14
.LBB216_16:                             ;   Parent Loop BB216_15 Depth=1
                                        ; =>  This Inner Loop Header: Depth=2
	v_add_nc_u32_e32 v7, s3, v10
	v_lshlrev_b64 v[17:18], 3, v[7:8]
	v_add_nc_u32_e32 v7, s3, v11
	v_lshlrev_b64 v[19:20], 3, v[7:8]
	v_add3_u32 v7, v9, s3, 14
	v_add_co_u32 v17, vcc_lo, s12, v17
	v_add_co_ci_u32_e64 v18, null, s13, v18, vcc_lo
	v_lshlrev_b64 v[21:22], 3, v[7:8]
	v_add_co_u32 v23, vcc_lo, s14, v19
	v_add_co_ci_u32_e64 v24, null, s15, v20, vcc_lo
	s_add_i32 s3, s3, 2
	v_add_co_u32 v25, vcc_lo, s12, v21
	v_add_co_ci_u32_e64 v26, null, s13, v22, vcc_lo
	global_load_dwordx4 v[17:20], v[17:18], off
	global_load_dwordx4 v[21:24], v[23:24], off
	;; [unrolled: 1-line block ×3, first 2 shown]
	s_cmp_eq_u32 s3, 14
	s_waitcnt vmcnt(1)
	v_fmac_f32_e32 v14, v17, v21
	v_fmac_f32_e32 v12, v18, v21
	s_waitcnt vmcnt(0)
	v_fmac_f32_e32 v16, v25, v21
	v_fmac_f32_e32 v13, v26, v21
	v_fma_f32 v7, -v18, v22, v14
	v_fmac_f32_e32 v12, v17, v22
	v_fma_f32 v16, -v26, v22, v16
	v_fmac_f32_e32 v13, v25, v22
	v_fmac_f32_e32 v7, v19, v23
	;; [unrolled: 1-line block ×5, first 2 shown]
	v_fma_f32 v14, -v20, v24, v7
	v_fmac_f32_e32 v12, v19, v24
	v_fma_f32 v16, -v28, v24, v16
	v_fmac_f32_e32 v13, v27, v24
	s_cbranch_scc0 .LBB216_16
; %bb.17:                               ;   in Loop: Header=BB216_15 Depth=1
	v_add_nc_u32_e32 v6, 64, v6
	v_add_nc_u32_e32 v9, 0x700, v9
	;; [unrolled: 1-line block ×3, first 2 shown]
	v_cmp_ge_i32_e32 vcc_lo, v6, v15
	s_or_b32 s0, vcc_lo, s0
	s_andn2_b32 exec_lo, exec_lo, s0
	s_cbranch_execnz .LBB216_15
; %bb.18:
	s_or_b32 exec_lo, exec_lo, s0
.LBB216_19:
	s_or_b32 exec_lo, exec_lo, s1
.LBB216_20:
	v_mbcnt_lo_u32_b32 v6, -1, 0
	v_or_b32_e32 v7, 32, v6
	v_xor_b32_e32 v11, 16, v6
	v_xor_b32_e32 v15, 8, v6
	v_cmp_gt_i32_e32 vcc_lo, 32, v7
	v_cndmask_b32_e32 v7, v6, v7, vcc_lo
	v_cmp_gt_i32_e32 vcc_lo, 32, v11
	v_lshlrev_b32_e32 v7, 2, v7
	v_cndmask_b32_e32 v11, v6, v11, vcc_lo
	v_cmp_gt_i32_e32 vcc_lo, 32, v15
	ds_bpermute_b32 v8, v7, v14
	ds_bpermute_b32 v9, v7, v12
	;; [unrolled: 1-line block ×4, first 2 shown]
	v_lshlrev_b32_e32 v11, 2, v11
	v_cndmask_b32_e32 v15, v6, v15, vcc_lo
	v_lshlrev_b32_e32 v15, 2, v15
	s_waitcnt lgkmcnt(3)
	v_add_f32_e32 v8, v14, v8
	s_waitcnt lgkmcnt(2)
	v_add_f32_e32 v9, v12, v9
	;; [unrolled: 2-line block ×4, first 2 shown]
	ds_bpermute_b32 v12, v11, v8
	ds_bpermute_b32 v13, v11, v9
	;; [unrolled: 1-line block ×4, first 2 shown]
	s_waitcnt lgkmcnt(3)
	v_add_f32_e32 v8, v8, v12
	s_waitcnt lgkmcnt(2)
	v_add_f32_e32 v9, v9, v13
	;; [unrolled: 2-line block ×4, first 2 shown]
	ds_bpermute_b32 v11, v15, v8
	ds_bpermute_b32 v12, v15, v9
	;; [unrolled: 1-line block ×4, first 2 shown]
	v_xor_b32_e32 v15, 4, v6
	v_cmp_gt_i32_e32 vcc_lo, 32, v15
	v_cndmask_b32_e32 v15, v6, v15, vcc_lo
	v_lshlrev_b32_e32 v15, 2, v15
	s_waitcnt lgkmcnt(3)
	v_add_f32_e32 v8, v8, v11
	s_waitcnt lgkmcnt(2)
	v_add_f32_e32 v9, v9, v12
	;; [unrolled: 2-line block ×4, first 2 shown]
	ds_bpermute_b32 v11, v15, v8
	ds_bpermute_b32 v12, v15, v9
	;; [unrolled: 1-line block ×4, first 2 shown]
	v_xor_b32_e32 v15, 2, v6
	v_cmp_gt_i32_e32 vcc_lo, 32, v15
	v_cndmask_b32_e32 v15, v6, v15, vcc_lo
	v_lshlrev_b32_e32 v15, 2, v15
	s_waitcnt lgkmcnt(3)
	v_add_f32_e32 v8, v8, v11
	s_waitcnt lgkmcnt(2)
	v_add_f32_e32 v9, v9, v12
	;; [unrolled: 2-line block ×4, first 2 shown]
	ds_bpermute_b32 v11, v15, v8
	ds_bpermute_b32 v12, v15, v9
	;; [unrolled: 1-line block ×4, first 2 shown]
	v_xor_b32_e32 v15, 1, v6
	v_cmp_gt_i32_e32 vcc_lo, 32, v15
	v_cndmask_b32_e32 v6, v6, v15, vcc_lo
	v_cmp_eq_u32_e32 vcc_lo, 63, v0
	v_lshlrev_b32_e32 v15, 2, v6
	s_waitcnt lgkmcnt(3)
	v_add_f32_e32 v8, v8, v11
	s_waitcnt lgkmcnt(2)
	v_add_f32_e32 v9, v9, v12
	;; [unrolled: 2-line block ×4, first 2 shown]
	ds_bpermute_b32 v12, v15, v8
	ds_bpermute_b32 v13, v15, v9
	;; [unrolled: 1-line block ×4, first 2 shown]
	s_and_b32 exec_lo, exec_lo, vcc_lo
	s_cbranch_execz .LBB216_25
; %bb.21:
	s_load_dwordx2 s[2:3], s[4:5], 0x38
	v_cmp_eq_f32_e32 vcc_lo, 0, v3
	v_cmp_eq_f32_e64 s0, 0, v4
	s_waitcnt lgkmcnt(0)
	v_add_f32_e32 v0, v8, v12
	v_add_f32_e32 v8, v9, v13
	;; [unrolled: 1-line block ×4, first 2 shown]
	s_and_b32 s0, vcc_lo, s0
	s_and_saveexec_b32 s1, s0
	s_xor_b32 s0, exec_lo, s1
	s_cbranch_execz .LBB216_23
; %bb.22:
	v_lshlrev_b32_e32 v3, 1, v5
	v_mul_f32_e64 v9, v8, -v2
	v_mul_f32_e32 v10, v1, v8
	v_mul_f32_e64 v11, v7, -v2
	v_mul_f32_e32 v12, v1, v7
	v_ashrrev_i32_e32 v4, 31, v3
	v_fmac_f32_e32 v9, v1, v0
	v_fmac_f32_e32 v10, v2, v0
	;; [unrolled: 1-line block ×4, first 2 shown]
	v_lshlrev_b64 v[3:4], 3, v[3:4]
                                        ; implicit-def: $vgpr5
                                        ; implicit-def: $vgpr8
                                        ; implicit-def: $vgpr7
                                        ; implicit-def: $vgpr6
	v_add_co_u32 v0, vcc_lo, s2, v3
	v_add_co_ci_u32_e64 v1, null, s3, v4, vcc_lo
                                        ; implicit-def: $vgpr3_vgpr4
	global_store_dwordx4 v[0:1], v[9:12], off
                                        ; implicit-def: $vgpr1_vgpr2
                                        ; implicit-def: $vgpr0
.LBB216_23:
	s_andn2_saveexec_b32 s0, s0
	s_cbranch_execz .LBB216_25
; %bb.24:
	v_lshlrev_b32_e32 v9, 1, v5
	v_mul_f32_e64 v5, v8, -v2
	v_mul_f32_e32 v14, v1, v8
	v_mul_f32_e64 v8, v7, -v2
	v_mul_f32_e32 v16, v1, v7
	v_ashrrev_i32_e32 v10, 31, v9
	v_fmac_f32_e32 v5, v1, v0
	v_fmac_f32_e32 v14, v2, v0
	;; [unrolled: 1-line block ×4, first 2 shown]
	v_lshlrev_b64 v[9:10], 3, v[9:10]
	v_add_co_u32 v17, vcc_lo, s2, v9
	v_add_co_ci_u32_e64 v18, null, s3, v10, vcc_lo
	global_load_dwordx4 v[9:12], v[17:18], off
	s_waitcnt vmcnt(0)
	v_fmac_f32_e32 v5, v3, v9
	v_fmac_f32_e32 v14, v4, v9
	;; [unrolled: 1-line block ×4, first 2 shown]
	v_fma_f32 v13, -v4, v10, v5
	v_fmac_f32_e32 v14, v3, v10
	v_fma_f32 v15, -v4, v12, v8
	v_fmac_f32_e32 v16, v3, v12
	global_store_dwordx4 v[17:18], v[13:16], off
.LBB216_25:
	s_endpgm
	.section	.rodata,"a",@progbits
	.p2align	6, 0x0
	.amdhsa_kernel _ZN9rocsparseL19gebsrmvn_2xn_kernelILj128ELj14ELj64E21rocsparse_complex_numIfEEEvi20rocsparse_direction_NS_24const_host_device_scalarIT2_EEPKiS8_PKS5_SA_S6_PS5_21rocsparse_index_base_b
		.amdhsa_group_segment_fixed_size 0
		.amdhsa_private_segment_fixed_size 0
		.amdhsa_kernarg_size 72
		.amdhsa_user_sgpr_count 6
		.amdhsa_user_sgpr_private_segment_buffer 1
		.amdhsa_user_sgpr_dispatch_ptr 0
		.amdhsa_user_sgpr_queue_ptr 0
		.amdhsa_user_sgpr_kernarg_segment_ptr 1
		.amdhsa_user_sgpr_dispatch_id 0
		.amdhsa_user_sgpr_flat_scratch_init 0
		.amdhsa_user_sgpr_private_segment_size 0
		.amdhsa_wavefront_size32 1
		.amdhsa_uses_dynamic_stack 0
		.amdhsa_system_sgpr_private_segment_wavefront_offset 0
		.amdhsa_system_sgpr_workgroup_id_x 1
		.amdhsa_system_sgpr_workgroup_id_y 0
		.amdhsa_system_sgpr_workgroup_id_z 0
		.amdhsa_system_sgpr_workgroup_info 0
		.amdhsa_system_vgpr_workitem_id 0
		.amdhsa_next_free_vgpr 30
		.amdhsa_next_free_sgpr 16
		.amdhsa_reserve_vcc 1
		.amdhsa_reserve_flat_scratch 0
		.amdhsa_float_round_mode_32 0
		.amdhsa_float_round_mode_16_64 0
		.amdhsa_float_denorm_mode_32 3
		.amdhsa_float_denorm_mode_16_64 3
		.amdhsa_dx10_clamp 1
		.amdhsa_ieee_mode 1
		.amdhsa_fp16_overflow 0
		.amdhsa_workgroup_processor_mode 1
		.amdhsa_memory_ordered 1
		.amdhsa_forward_progress 1
		.amdhsa_shared_vgpr_count 0
		.amdhsa_exception_fp_ieee_invalid_op 0
		.amdhsa_exception_fp_denorm_src 0
		.amdhsa_exception_fp_ieee_div_zero 0
		.amdhsa_exception_fp_ieee_overflow 0
		.amdhsa_exception_fp_ieee_underflow 0
		.amdhsa_exception_fp_ieee_inexact 0
		.amdhsa_exception_int_div_zero 0
	.end_amdhsa_kernel
	.section	.text._ZN9rocsparseL19gebsrmvn_2xn_kernelILj128ELj14ELj64E21rocsparse_complex_numIfEEEvi20rocsparse_direction_NS_24const_host_device_scalarIT2_EEPKiS8_PKS5_SA_S6_PS5_21rocsparse_index_base_b,"axG",@progbits,_ZN9rocsparseL19gebsrmvn_2xn_kernelILj128ELj14ELj64E21rocsparse_complex_numIfEEEvi20rocsparse_direction_NS_24const_host_device_scalarIT2_EEPKiS8_PKS5_SA_S6_PS5_21rocsparse_index_base_b,comdat
.Lfunc_end216:
	.size	_ZN9rocsparseL19gebsrmvn_2xn_kernelILj128ELj14ELj64E21rocsparse_complex_numIfEEEvi20rocsparse_direction_NS_24const_host_device_scalarIT2_EEPKiS8_PKS5_SA_S6_PS5_21rocsparse_index_base_b, .Lfunc_end216-_ZN9rocsparseL19gebsrmvn_2xn_kernelILj128ELj14ELj64E21rocsparse_complex_numIfEEEvi20rocsparse_direction_NS_24const_host_device_scalarIT2_EEPKiS8_PKS5_SA_S6_PS5_21rocsparse_index_base_b
                                        ; -- End function
	.set _ZN9rocsparseL19gebsrmvn_2xn_kernelILj128ELj14ELj64E21rocsparse_complex_numIfEEEvi20rocsparse_direction_NS_24const_host_device_scalarIT2_EEPKiS8_PKS5_SA_S6_PS5_21rocsparse_index_base_b.num_vgpr, 30
	.set _ZN9rocsparseL19gebsrmvn_2xn_kernelILj128ELj14ELj64E21rocsparse_complex_numIfEEEvi20rocsparse_direction_NS_24const_host_device_scalarIT2_EEPKiS8_PKS5_SA_S6_PS5_21rocsparse_index_base_b.num_agpr, 0
	.set _ZN9rocsparseL19gebsrmvn_2xn_kernelILj128ELj14ELj64E21rocsparse_complex_numIfEEEvi20rocsparse_direction_NS_24const_host_device_scalarIT2_EEPKiS8_PKS5_SA_S6_PS5_21rocsparse_index_base_b.numbered_sgpr, 16
	.set _ZN9rocsparseL19gebsrmvn_2xn_kernelILj128ELj14ELj64E21rocsparse_complex_numIfEEEvi20rocsparse_direction_NS_24const_host_device_scalarIT2_EEPKiS8_PKS5_SA_S6_PS5_21rocsparse_index_base_b.num_named_barrier, 0
	.set _ZN9rocsparseL19gebsrmvn_2xn_kernelILj128ELj14ELj64E21rocsparse_complex_numIfEEEvi20rocsparse_direction_NS_24const_host_device_scalarIT2_EEPKiS8_PKS5_SA_S6_PS5_21rocsparse_index_base_b.private_seg_size, 0
	.set _ZN9rocsparseL19gebsrmvn_2xn_kernelILj128ELj14ELj64E21rocsparse_complex_numIfEEEvi20rocsparse_direction_NS_24const_host_device_scalarIT2_EEPKiS8_PKS5_SA_S6_PS5_21rocsparse_index_base_b.uses_vcc, 1
	.set _ZN9rocsparseL19gebsrmvn_2xn_kernelILj128ELj14ELj64E21rocsparse_complex_numIfEEEvi20rocsparse_direction_NS_24const_host_device_scalarIT2_EEPKiS8_PKS5_SA_S6_PS5_21rocsparse_index_base_b.uses_flat_scratch, 0
	.set _ZN9rocsparseL19gebsrmvn_2xn_kernelILj128ELj14ELj64E21rocsparse_complex_numIfEEEvi20rocsparse_direction_NS_24const_host_device_scalarIT2_EEPKiS8_PKS5_SA_S6_PS5_21rocsparse_index_base_b.has_dyn_sized_stack, 0
	.set _ZN9rocsparseL19gebsrmvn_2xn_kernelILj128ELj14ELj64E21rocsparse_complex_numIfEEEvi20rocsparse_direction_NS_24const_host_device_scalarIT2_EEPKiS8_PKS5_SA_S6_PS5_21rocsparse_index_base_b.has_recursion, 0
	.set _ZN9rocsparseL19gebsrmvn_2xn_kernelILj128ELj14ELj64E21rocsparse_complex_numIfEEEvi20rocsparse_direction_NS_24const_host_device_scalarIT2_EEPKiS8_PKS5_SA_S6_PS5_21rocsparse_index_base_b.has_indirect_call, 0
	.section	.AMDGPU.csdata,"",@progbits
; Kernel info:
; codeLenInByte = 1820
; TotalNumSgprs: 18
; NumVgprs: 30
; ScratchSize: 0
; MemoryBound: 0
; FloatMode: 240
; IeeeMode: 1
; LDSByteSize: 0 bytes/workgroup (compile time only)
; SGPRBlocks: 0
; VGPRBlocks: 3
; NumSGPRsForWavesPerEU: 18
; NumVGPRsForWavesPerEU: 30
; Occupancy: 16
; WaveLimiterHint : 1
; COMPUTE_PGM_RSRC2:SCRATCH_EN: 0
; COMPUTE_PGM_RSRC2:USER_SGPR: 6
; COMPUTE_PGM_RSRC2:TRAP_HANDLER: 0
; COMPUTE_PGM_RSRC2:TGID_X_EN: 1
; COMPUTE_PGM_RSRC2:TGID_Y_EN: 0
; COMPUTE_PGM_RSRC2:TGID_Z_EN: 0
; COMPUTE_PGM_RSRC2:TIDIG_COMP_CNT: 0
	.section	.text._ZN9rocsparseL19gebsrmvn_2xn_kernelILj128ELj15ELj4E21rocsparse_complex_numIfEEEvi20rocsparse_direction_NS_24const_host_device_scalarIT2_EEPKiS8_PKS5_SA_S6_PS5_21rocsparse_index_base_b,"axG",@progbits,_ZN9rocsparseL19gebsrmvn_2xn_kernelILj128ELj15ELj4E21rocsparse_complex_numIfEEEvi20rocsparse_direction_NS_24const_host_device_scalarIT2_EEPKiS8_PKS5_SA_S6_PS5_21rocsparse_index_base_b,comdat
	.globl	_ZN9rocsparseL19gebsrmvn_2xn_kernelILj128ELj15ELj4E21rocsparse_complex_numIfEEEvi20rocsparse_direction_NS_24const_host_device_scalarIT2_EEPKiS8_PKS5_SA_S6_PS5_21rocsparse_index_base_b ; -- Begin function _ZN9rocsparseL19gebsrmvn_2xn_kernelILj128ELj15ELj4E21rocsparse_complex_numIfEEEvi20rocsparse_direction_NS_24const_host_device_scalarIT2_EEPKiS8_PKS5_SA_S6_PS5_21rocsparse_index_base_b
	.p2align	8
	.type	_ZN9rocsparseL19gebsrmvn_2xn_kernelILj128ELj15ELj4E21rocsparse_complex_numIfEEEvi20rocsparse_direction_NS_24const_host_device_scalarIT2_EEPKiS8_PKS5_SA_S6_PS5_21rocsparse_index_base_b,@function
_ZN9rocsparseL19gebsrmvn_2xn_kernelILj128ELj15ELj4E21rocsparse_complex_numIfEEEvi20rocsparse_direction_NS_24const_host_device_scalarIT2_EEPKiS8_PKS5_SA_S6_PS5_21rocsparse_index_base_b: ; @_ZN9rocsparseL19gebsrmvn_2xn_kernelILj128ELj15ELj4E21rocsparse_complex_numIfEEEvi20rocsparse_direction_NS_24const_host_device_scalarIT2_EEPKiS8_PKS5_SA_S6_PS5_21rocsparse_index_base_b
; %bb.0:
	s_clause 0x2
	s_load_dwordx2 s[2:3], s[4:5], 0x40
	s_load_dwordx2 s[0:1], s[4:5], 0x8
	;; [unrolled: 1-line block ×3, first 2 shown]
	s_add_u32 s7, s4, 8
	s_addc_u32 s10, s5, 0
	s_add_u32 s11, s4, 48
	s_addc_u32 s12, s5, 0
	s_waitcnt lgkmcnt(0)
	s_bitcmp1_b32 s3, 0
	s_cselect_b32 s0, s7, s0
	s_cselect_b32 s1, s10, s1
	v_mov_b32_e32 v1, s0
	v_mov_b32_e32 v2, s1
	s_cselect_b32 s0, s11, s8
	s_cselect_b32 s1, s12, s9
	v_mov_b32_e32 v3, s0
	v_mov_b32_e32 v4, s1
	flat_load_dwordx2 v[1:2], v[1:2]
	flat_load_dwordx2 v[3:4], v[3:4]
	s_waitcnt vmcnt(1) lgkmcnt(1)
	v_cmp_eq_f32_e32 vcc_lo, 0, v1
	v_cmp_eq_f32_e64 s0, 0, v2
	s_and_b32 s3, vcc_lo, s0
	s_mov_b32 s0, -1
	s_and_saveexec_b32 s1, s3
	s_cbranch_execz .LBB217_2
; %bb.1:
	s_waitcnt vmcnt(0) lgkmcnt(0)
	v_cmp_neq_f32_e32 vcc_lo, 1.0, v3
	v_cmp_neq_f32_e64 s0, 0, v4
	s_or_b32 s0, vcc_lo, s0
	s_orn2_b32 s0, s0, exec_lo
.LBB217_2:
	s_or_b32 exec_lo, exec_lo, s1
	s_and_saveexec_b32 s1, s0
	s_cbranch_execz .LBB217_25
; %bb.3:
	s_load_dwordx2 s[0:1], s[4:5], 0x0
	v_lshrrev_b32_e32 v5, 2, v0
	v_lshl_or_b32 v5, s6, 5, v5
	s_waitcnt lgkmcnt(0)
	v_cmp_gt_i32_e32 vcc_lo, s0, v5
	s_and_b32 exec_lo, exec_lo, vcc_lo
	s_cbranch_execz .LBB217_25
; %bb.4:
	s_load_dwordx8 s[8:15], s[4:5], 0x10
	v_ashrrev_i32_e32 v6, 31, v5
	v_and_b32_e32 v0, 3, v0
	s_cmp_lg_u32 s1, 0
	v_lshlrev_b64 v[6:7], 2, v[5:6]
	s_waitcnt lgkmcnt(0)
	v_add_co_u32 v6, vcc_lo, s8, v6
	v_add_co_ci_u32_e64 v7, null, s9, v7, vcc_lo
	global_load_dwordx2 v[7:8], v[6:7], off
	s_waitcnt vmcnt(0)
	v_subrev_nc_u32_e32 v6, s2, v7
	v_subrev_nc_u32_e32 v15, s2, v8
	v_add_nc_u32_e32 v6, v6, v0
	v_cmp_lt_i32_e64 s0, v6, v15
	s_cbranch_scc0 .LBB217_12
; %bb.5:
	v_mov_b32_e32 v14, 0
	v_mov_b32_e32 v17, 0
	;; [unrolled: 1-line block ×4, first 2 shown]
	s_and_saveexec_b32 s1, s0
	s_cbranch_execz .LBB217_11
; %bb.6:
	v_mad_u64_u32 v[8:9], null, v6, 30, 8
	v_mov_b32_e32 v10, 0
	v_mov_b32_e32 v11, v6
	;; [unrolled: 1-line block ×6, first 2 shown]
	s_mov_b32 s3, 0
.LBB217_7:                              ; =>This Loop Header: Depth=1
                                        ;     Child Loop BB217_8 Depth 2
	v_ashrrev_i32_e32 v12, 31, v11
	s_mov_b32 s6, 0
	v_lshlrev_b64 v[12:13], 2, v[11:12]
	v_add_co_u32 v12, vcc_lo, s10, v12
	v_add_co_ci_u32_e64 v13, null, s11, v13, vcc_lo
	global_load_dword v9, v[12:13], off
	v_mov_b32_e32 v12, v8
	s_waitcnt vmcnt(0)
	v_subrev_nc_u32_e32 v9, s2, v9
	v_mul_lo_u32 v19, v9, 15
.LBB217_8:                              ;   Parent Loop BB217_7 Depth=1
                                        ; =>  This Inner Loop Header: Depth=2
	v_add_nc_u32_e32 v9, -8, v12
	v_add_nc_u32_e32 v20, -6, v12
	v_mov_b32_e32 v21, v10
	v_add_nc_u32_e32 v23, -4, v12
	v_mov_b32_e32 v24, v10
	v_lshlrev_b64 v[29:30], 3, v[9:10]
	v_add_nc_u32_e32 v26, -2, v12
	v_mov_b32_e32 v27, v10
	v_lshlrev_b64 v[31:32], 3, v[20:21]
	v_mov_b32_e32 v13, v10
	v_lshlrev_b64 v[33:34], 3, v[23:24]
	v_add_nc_u32_e32 v9, s6, v19
	v_lshlrev_b64 v[35:36], 3, v[26:27]
	v_add_co_u32 v29, vcc_lo, s12, v29
	v_lshlrev_b64 v[37:38], 3, v[12:13]
	v_add_co_ci_u32_e64 v30, null, s13, v30, vcc_lo
	v_add_co_u32 v31, vcc_lo, s12, v31
	v_lshlrev_b64 v[39:40], 3, v[9:10]
	v_add_co_ci_u32_e64 v32, null, s13, v32, vcc_lo
	v_add_co_u32 v33, vcc_lo, s12, v33
	v_mov_b32_e32 v22, v10
	v_add_nc_u32_e32 v21, 1, v9
	v_add_co_ci_u32_e64 v34, null, s13, v34, vcc_lo
	v_add_co_u32 v35, vcc_lo, s12, v35
	v_mov_b32_e32 v25, v10
	v_mov_b32_e32 v28, v10
	v_add_nc_u32_e32 v24, 2, v9
	v_add_nc_u32_e32 v27, 3, v9
	v_add_co_ci_u32_e64 v36, null, s13, v36, vcc_lo
	v_add_co_u32 v37, vcc_lo, s12, v37
	v_add_co_ci_u32_e64 v38, null, s13, v38, vcc_lo
	v_lshlrev_b64 v[41:42], 3, v[21:22]
	v_add_co_u32 v39, vcc_lo, s14, v39
	v_add_co_ci_u32_e64 v40, null, s15, v40, vcc_lo
	v_lshlrev_b64 v[43:44], 3, v[24:25]
	v_lshlrev_b64 v[45:46], 3, v[27:28]
	s_clause 0x3
	global_load_dwordx4 v[20:23], v[29:30], off
	global_load_dwordx4 v[24:27], v[31:32], off
	;; [unrolled: 1-line block ×4, first 2 shown]
	global_load_dwordx2 v[49:50], v[39:40], off
	v_add_co_u32 v39, vcc_lo, s14, v41
	v_add_co_ci_u32_e64 v40, null, s15, v42, vcc_lo
	v_add_co_u32 v41, vcc_lo, s14, v43
	v_add_co_ci_u32_e64 v42, null, s15, v44, vcc_lo
	global_load_dwordx2 v[51:52], v[39:40], off
	v_add_nc_u32_e32 v9, 4, v9
	v_add_nc_u32_e32 v12, 10, v12
	global_load_dwordx2 v[41:42], v[41:42], off
	v_add_co_u32 v39, vcc_lo, s14, v45
	v_add_co_ci_u32_e64 v40, null, s15, v46, vcc_lo
	v_lshlrev_b64 v[47:48], 3, v[9:10]
	s_add_i32 s6, s6, 5
	global_load_dwordx2 v[45:46], v[39:40], off
	s_cmp_eq_u32 s6, 15
	v_add_co_u32 v43, vcc_lo, s14, v47
	v_add_co_ci_u32_e64 v44, null, s15, v48, vcc_lo
	global_load_dwordx4 v[36:39], v[37:38], off
	global_load_dwordx2 v[43:44], v[43:44], off
	s_waitcnt vmcnt(5)
	v_fmac_f32_e32 v17, v20, v49
	v_fmac_f32_e32 v14, v21, v49
	v_fmac_f32_e32 v18, v22, v49
	v_fmac_f32_e32 v16, v23, v49
	v_fma_f32 v9, -v21, v50, v17
	v_fmac_f32_e32 v14, v20, v50
	v_fma_f32 v13, -v23, v50, v18
	v_fmac_f32_e32 v16, v22, v50
	s_waitcnt vmcnt(4)
	v_fmac_f32_e32 v9, v24, v51
	v_fmac_f32_e32 v14, v25, v51
	v_fmac_f32_e32 v13, v26, v51
	v_fmac_f32_e32 v16, v27, v51
	v_fma_f32 v9, -v25, v52, v9
	v_fmac_f32_e32 v14, v24, v52
	v_fma_f32 v13, -v27, v52, v13
	v_fmac_f32_e32 v16, v26, v52
	;; [unrolled: 9-line block ×5, first 2 shown]
	s_cbranch_scc0 .LBB217_8
; %bb.9:                                ;   in Loop: Header=BB217_7 Depth=1
	v_add_nc_u32_e32 v11, 4, v11
	v_add_nc_u32_e32 v8, 0x78, v8
	v_cmp_ge_i32_e32 vcc_lo, v11, v15
	s_or_b32 s3, vcc_lo, s3
	s_andn2_b32 exec_lo, exec_lo, s3
	s_cbranch_execnz .LBB217_7
; %bb.10:
	s_or_b32 exec_lo, exec_lo, s3
.LBB217_11:
	s_or_b32 exec_lo, exec_lo, s1
	s_cbranch_execz .LBB217_13
	s_branch .LBB217_20
.LBB217_12:
                                        ; implicit-def: $vgpr14
                                        ; implicit-def: $vgpr17
                                        ; implicit-def: $vgpr18
                                        ; implicit-def: $vgpr16
.LBB217_13:
	v_mov_b32_e32 v14, 0
	v_mov_b32_e32 v17, 0
	;; [unrolled: 1-line block ×4, first 2 shown]
	s_and_saveexec_b32 s1, s0
	s_cbranch_execz .LBB217_19
; %bb.14:
	v_mul_lo_u32 v7, v7, 30
	v_mul_lo_u32 v9, v6, 30
	s_mul_i32 s0, s2, 30
	v_mov_b32_e32 v8, 0
	v_mov_b32_e32 v14, 0
	;; [unrolled: 1-line block ×5, first 2 shown]
	v_mad_u32_u24 v7, v0, 30, v7
	v_subrev_nc_u32_e32 v10, s0, v7
	s_mov_b32 s0, 0
.LBB217_15:                             ; =>This Loop Header: Depth=1
                                        ;     Child Loop BB217_16 Depth 2
	v_ashrrev_i32_e32 v7, 31, v6
	s_mov_b32 s3, 0
	v_lshlrev_b64 v[11:12], 2, v[6:7]
	v_add_co_u32 v11, vcc_lo, s10, v11
	v_add_co_ci_u32_e64 v12, null, s11, v12, vcc_lo
	global_load_dword v7, v[11:12], off
	s_waitcnt vmcnt(0)
	v_subrev_nc_u32_e32 v7, s2, v7
	v_mul_lo_u32 v11, v7, 15
.LBB217_16:                             ;   Parent Loop BB217_15 Depth=1
                                        ; =>  This Inner Loop Header: Depth=2
	v_add_nc_u32_e32 v7, s3, v10
	v_add_nc_u32_e32 v48, s3, v9
	v_mov_b32_e32 v13, v8
	v_mov_b32_e32 v20, v8
	;; [unrolled: 1-line block ×3, first 2 shown]
	v_lshlrev_b64 v[36:37], 3, v[7:8]
	v_add_nc_u32_e32 v7, s3, v11
	v_add_nc_u32_e32 v12, 15, v48
	;; [unrolled: 1-line block ×4, first 2 shown]
	v_mov_b32_e32 v25, v8
	v_lshlrev_b64 v[38:39], 3, v[7:8]
	v_lshlrev_b64 v[12:13], 3, v[12:13]
	v_add_nc_u32_e32 v24, 2, v48
	v_lshlrev_b64 v[40:41], 3, v[19:20]
	v_add_co_u32 v36, vcc_lo, s12, v36
	v_mov_b32_e32 v28, v8
	v_add_nc_u32_e32 v27, 17, v48
	v_lshlrev_b64 v[22:23], 3, v[22:23]
	v_add_co_ci_u32_e64 v37, null, s13, v37, vcc_lo
	v_add_co_u32 v38, vcc_lo, s14, v38
	v_mov_b32_e32 v21, v8
	v_mov_b32_e32 v30, v8
	v_add_nc_u32_e32 v29, 3, v48
	v_add_nc_u32_e32 v20, 1, v7
	v_lshlrev_b64 v[42:43], 3, v[24:25]
	v_add_co_ci_u32_e64 v39, null, s15, v39, vcc_lo
	v_add_co_u32 v12, vcc_lo, s12, v12
	v_mov_b32_e32 v33, v8
	v_add_nc_u32_e32 v32, 18, v48
	v_lshlrev_b64 v[27:28], 3, v[27:28]
	v_add_co_ci_u32_e64 v13, null, s13, v13, vcc_lo
	v_add_co_u32 v40, vcc_lo, s12, v40
	v_mov_b32_e32 v26, v8
	v_mov_b32_e32 v35, v8
	v_add_nc_u32_e32 v34, 4, v48
	v_add_nc_u32_e32 v25, 2, v7
	v_lshlrev_b64 v[44:45], 3, v[29:30]
	v_lshlrev_b64 v[19:20], 3, v[20:21]
	v_add_co_ci_u32_e64 v41, null, s13, v41, vcc_lo
	v_add_co_u32 v21, vcc_lo, s12, v22
	v_lshlrev_b64 v[32:33], 3, v[32:33]
	v_add_co_ci_u32_e64 v22, null, s13, v23, vcc_lo
	v_add_co_u32 v42, vcc_lo, s12, v42
	v_mov_b32_e32 v31, v8
	v_add_nc_u32_e32 v30, 3, v7
	v_lshlrev_b64 v[34:35], 3, v[34:35]
	v_lshlrev_b64 v[24:25], 3, v[25:26]
	v_add_co_ci_u32_e64 v43, null, s13, v43, vcc_lo
	v_add_co_u32 v26, vcc_lo, s12, v27
	v_add_co_ci_u32_e64 v27, null, s13, v28, vcc_lo
	v_add_co_u32 v44, vcc_lo, s12, v44
	v_lshlrev_b64 v[29:30], 3, v[30:31]
	v_add_co_ci_u32_e64 v45, null, s13, v45, vcc_lo
	v_add_co_u32 v31, vcc_lo, s12, v32
	global_load_dwordx2 v[36:37], v[36:37], off
	v_add_co_ci_u32_e64 v32, null, s13, v33, vcc_lo
	v_add_co_u32 v33, vcc_lo, s12, v34
	global_load_dwordx2 v[38:39], v[38:39], off
	s_clause 0x1
	global_load_dwordx2 v[12:13], v[12:13], off
	global_load_dwordx2 v[40:41], v[40:41], off
	v_add_co_ci_u32_e64 v34, null, s13, v35, vcc_lo
	v_add_co_u32 v19, vcc_lo, s14, v19
	v_add_co_ci_u32_e64 v20, null, s15, v20, vcc_lo
	s_clause 0x1
	global_load_dwordx2 v[21:22], v[21:22], off
	global_load_dwordx2 v[42:43], v[42:43], off
	v_add_co_u32 v23, vcc_lo, s14, v24
	global_load_dwordx2 v[19:20], v[19:20], off
	v_add_co_ci_u32_e64 v24, null, s15, v25, vcc_lo
	v_add_nc_u32_e32 v7, 4, v7
	s_clause 0x1
	global_load_dwordx2 v[25:26], v[26:27], off
	global_load_dwordx2 v[27:28], v[44:45], off
	v_add_co_u32 v29, vcc_lo, s14, v29
	global_load_dwordx2 v[23:24], v[23:24], off
	v_lshlrev_b64 v[46:47], 3, v[7:8]
	v_add_nc_u32_e32 v7, 19, v48
	v_add_co_ci_u32_e64 v30, null, s15, v30, vcc_lo
	global_load_dwordx2 v[31:32], v[31:32], off
	s_add_i32 s3, s3, 5
	v_lshlrev_b64 v[48:49], 3, v[7:8]
	global_load_dwordx2 v[29:30], v[29:30], off
	v_add_co_u32 v44, vcc_lo, s14, v46
	v_add_co_ci_u32_e64 v45, null, s15, v47, vcc_lo
	v_add_co_u32 v46, vcc_lo, s12, v48
	v_add_co_ci_u32_e64 v47, null, s13, v49, vcc_lo
	global_load_dwordx2 v[33:34], v[33:34], off
	global_load_dwordx2 v[44:45], v[44:45], off
	global_load_dwordx2 v[46:47], v[46:47], off
	s_cmp_eq_u32 s3, 15
	s_waitcnt vmcnt(13)
	v_fmac_f32_e32 v17, v36, v38
	v_fmac_f32_e32 v14, v37, v38
	s_waitcnt vmcnt(12)
	v_fmac_f32_e32 v18, v12, v38
	v_fmac_f32_e32 v16, v13, v38
	v_fma_f32 v7, -v37, v39, v17
	v_fmac_f32_e32 v14, v36, v39
	v_fma_f32 v13, -v13, v39, v18
	v_fmac_f32_e32 v16, v12, v39
	s_waitcnt vmcnt(8)
	v_fmac_f32_e32 v7, v40, v19
	v_fmac_f32_e32 v14, v41, v19
	v_fmac_f32_e32 v13, v21, v19
	v_fmac_f32_e32 v16, v22, v19
	v_fma_f32 v7, -v41, v20, v7
	v_fmac_f32_e32 v14, v40, v20
	v_fma_f32 v12, -v22, v20, v13
	v_fmac_f32_e32 v16, v21, v20
	s_waitcnt vmcnt(5)
	v_fmac_f32_e32 v7, v42, v23
	v_fmac_f32_e32 v14, v43, v23
	;; [unrolled: 9-line block ×4, first 2 shown]
	s_waitcnt vmcnt(0)
	v_fmac_f32_e32 v12, v46, v44
	v_fmac_f32_e32 v16, v47, v44
	v_fma_f32 v17, -v34, v45, v7
	v_fmac_f32_e32 v14, v33, v45
	v_fma_f32 v18, -v47, v45, v12
	v_fmac_f32_e32 v16, v46, v45
	s_cbranch_scc0 .LBB217_16
; %bb.17:                               ;   in Loop: Header=BB217_15 Depth=1
	v_add_nc_u32_e32 v6, 4, v6
	v_add_nc_u32_e32 v9, 0x78, v9
	;; [unrolled: 1-line block ×3, first 2 shown]
	v_cmp_ge_i32_e32 vcc_lo, v6, v15
	s_or_b32 s0, vcc_lo, s0
	s_andn2_b32 exec_lo, exec_lo, s0
	s_cbranch_execnz .LBB217_15
; %bb.18:
	s_or_b32 exec_lo, exec_lo, s0
.LBB217_19:
	s_or_b32 exec_lo, exec_lo, s1
.LBB217_20:
	v_mbcnt_lo_u32_b32 v6, -1, 0
	v_xor_b32_e32 v7, 2, v6
	v_xor_b32_e32 v11, 1, v6
	v_cmp_gt_i32_e32 vcc_lo, 32, v7
	v_cndmask_b32_e32 v7, v6, v7, vcc_lo
	v_cmp_gt_i32_e32 vcc_lo, 32, v11
	v_lshlrev_b32_e32 v7, 2, v7
	v_cndmask_b32_e32 v6, v6, v11, vcc_lo
	v_cmp_eq_u32_e32 vcc_lo, 3, v0
	ds_bpermute_b32 v8, v7, v17
	ds_bpermute_b32 v9, v7, v14
	;; [unrolled: 1-line block ×4, first 2 shown]
	v_lshlrev_b32_e32 v11, 2, v6
	s_waitcnt lgkmcnt(3)
	v_add_f32_e32 v8, v17, v8
	s_waitcnt lgkmcnt(2)
	v_add_f32_e32 v9, v14, v9
	;; [unrolled: 2-line block ×4, first 2 shown]
	ds_bpermute_b32 v12, v11, v8
	ds_bpermute_b32 v13, v11, v9
	;; [unrolled: 1-line block ×4, first 2 shown]
	s_and_b32 exec_lo, exec_lo, vcc_lo
	s_cbranch_execz .LBB217_25
; %bb.21:
	s_load_dwordx2 s[2:3], s[4:5], 0x38
	v_cmp_eq_f32_e32 vcc_lo, 0, v3
	v_cmp_eq_f32_e64 s0, 0, v4
	s_waitcnt lgkmcnt(0)
	v_add_f32_e32 v0, v8, v12
	v_add_f32_e32 v8, v9, v13
	;; [unrolled: 1-line block ×4, first 2 shown]
	s_and_b32 s0, vcc_lo, s0
	s_and_saveexec_b32 s1, s0
	s_xor_b32 s0, exec_lo, s1
	s_cbranch_execz .LBB217_23
; %bb.22:
	v_lshlrev_b32_e32 v3, 1, v5
	v_mul_f32_e64 v9, v8, -v2
	v_mul_f32_e32 v10, v1, v8
	v_mul_f32_e64 v11, v7, -v2
	v_mul_f32_e32 v12, v1, v7
	v_ashrrev_i32_e32 v4, 31, v3
	v_fmac_f32_e32 v9, v1, v0
	v_fmac_f32_e32 v10, v2, v0
	;; [unrolled: 1-line block ×4, first 2 shown]
	v_lshlrev_b64 v[3:4], 3, v[3:4]
                                        ; implicit-def: $vgpr5
                                        ; implicit-def: $vgpr8
                                        ; implicit-def: $vgpr7
                                        ; implicit-def: $vgpr6
	v_add_co_u32 v0, vcc_lo, s2, v3
	v_add_co_ci_u32_e64 v1, null, s3, v4, vcc_lo
                                        ; implicit-def: $vgpr3_vgpr4
	global_store_dwordx4 v[0:1], v[9:12], off
                                        ; implicit-def: $vgpr1_vgpr2
                                        ; implicit-def: $vgpr0
.LBB217_23:
	s_andn2_saveexec_b32 s0, s0
	s_cbranch_execz .LBB217_25
; %bb.24:
	v_lshlrev_b32_e32 v9, 1, v5
	v_mul_f32_e64 v5, v8, -v2
	v_mul_f32_e32 v14, v1, v8
	v_mul_f32_e64 v8, v7, -v2
	v_mul_f32_e32 v16, v1, v7
	v_ashrrev_i32_e32 v10, 31, v9
	v_fmac_f32_e32 v5, v1, v0
	v_fmac_f32_e32 v14, v2, v0
	;; [unrolled: 1-line block ×4, first 2 shown]
	v_lshlrev_b64 v[9:10], 3, v[9:10]
	v_add_co_u32 v17, vcc_lo, s2, v9
	v_add_co_ci_u32_e64 v18, null, s3, v10, vcc_lo
	global_load_dwordx4 v[9:12], v[17:18], off
	s_waitcnt vmcnt(0)
	v_fmac_f32_e32 v5, v3, v9
	v_fmac_f32_e32 v14, v4, v9
	;; [unrolled: 1-line block ×4, first 2 shown]
	v_fma_f32 v13, -v4, v10, v5
	v_fmac_f32_e32 v14, v3, v10
	v_fma_f32 v15, -v4, v12, v8
	v_fmac_f32_e32 v16, v3, v12
	global_store_dwordx4 v[17:18], v[13:16], off
.LBB217_25:
	s_endpgm
	.section	.rodata,"a",@progbits
	.p2align	6, 0x0
	.amdhsa_kernel _ZN9rocsparseL19gebsrmvn_2xn_kernelILj128ELj15ELj4E21rocsparse_complex_numIfEEEvi20rocsparse_direction_NS_24const_host_device_scalarIT2_EEPKiS8_PKS5_SA_S6_PS5_21rocsparse_index_base_b
		.amdhsa_group_segment_fixed_size 0
		.amdhsa_private_segment_fixed_size 0
		.amdhsa_kernarg_size 72
		.amdhsa_user_sgpr_count 6
		.amdhsa_user_sgpr_private_segment_buffer 1
		.amdhsa_user_sgpr_dispatch_ptr 0
		.amdhsa_user_sgpr_queue_ptr 0
		.amdhsa_user_sgpr_kernarg_segment_ptr 1
		.amdhsa_user_sgpr_dispatch_id 0
		.amdhsa_user_sgpr_flat_scratch_init 0
		.amdhsa_user_sgpr_private_segment_size 0
		.amdhsa_wavefront_size32 1
		.amdhsa_uses_dynamic_stack 0
		.amdhsa_system_sgpr_private_segment_wavefront_offset 0
		.amdhsa_system_sgpr_workgroup_id_x 1
		.amdhsa_system_sgpr_workgroup_id_y 0
		.amdhsa_system_sgpr_workgroup_id_z 0
		.amdhsa_system_sgpr_workgroup_info 0
		.amdhsa_system_vgpr_workitem_id 0
		.amdhsa_next_free_vgpr 53
		.amdhsa_next_free_sgpr 16
		.amdhsa_reserve_vcc 1
		.amdhsa_reserve_flat_scratch 0
		.amdhsa_float_round_mode_32 0
		.amdhsa_float_round_mode_16_64 0
		.amdhsa_float_denorm_mode_32 3
		.amdhsa_float_denorm_mode_16_64 3
		.amdhsa_dx10_clamp 1
		.amdhsa_ieee_mode 1
		.amdhsa_fp16_overflow 0
		.amdhsa_workgroup_processor_mode 1
		.amdhsa_memory_ordered 1
		.amdhsa_forward_progress 1
		.amdhsa_shared_vgpr_count 0
		.amdhsa_exception_fp_ieee_invalid_op 0
		.amdhsa_exception_fp_denorm_src 0
		.amdhsa_exception_fp_ieee_div_zero 0
		.amdhsa_exception_fp_ieee_overflow 0
		.amdhsa_exception_fp_ieee_underflow 0
		.amdhsa_exception_fp_ieee_inexact 0
		.amdhsa_exception_int_div_zero 0
	.end_amdhsa_kernel
	.section	.text._ZN9rocsparseL19gebsrmvn_2xn_kernelILj128ELj15ELj4E21rocsparse_complex_numIfEEEvi20rocsparse_direction_NS_24const_host_device_scalarIT2_EEPKiS8_PKS5_SA_S6_PS5_21rocsparse_index_base_b,"axG",@progbits,_ZN9rocsparseL19gebsrmvn_2xn_kernelILj128ELj15ELj4E21rocsparse_complex_numIfEEEvi20rocsparse_direction_NS_24const_host_device_scalarIT2_EEPKiS8_PKS5_SA_S6_PS5_21rocsparse_index_base_b,comdat
.Lfunc_end217:
	.size	_ZN9rocsparseL19gebsrmvn_2xn_kernelILj128ELj15ELj4E21rocsparse_complex_numIfEEEvi20rocsparse_direction_NS_24const_host_device_scalarIT2_EEPKiS8_PKS5_SA_S6_PS5_21rocsparse_index_base_b, .Lfunc_end217-_ZN9rocsparseL19gebsrmvn_2xn_kernelILj128ELj15ELj4E21rocsparse_complex_numIfEEEvi20rocsparse_direction_NS_24const_host_device_scalarIT2_EEPKiS8_PKS5_SA_S6_PS5_21rocsparse_index_base_b
                                        ; -- End function
	.set _ZN9rocsparseL19gebsrmvn_2xn_kernelILj128ELj15ELj4E21rocsparse_complex_numIfEEEvi20rocsparse_direction_NS_24const_host_device_scalarIT2_EEPKiS8_PKS5_SA_S6_PS5_21rocsparse_index_base_b.num_vgpr, 53
	.set _ZN9rocsparseL19gebsrmvn_2xn_kernelILj128ELj15ELj4E21rocsparse_complex_numIfEEEvi20rocsparse_direction_NS_24const_host_device_scalarIT2_EEPKiS8_PKS5_SA_S6_PS5_21rocsparse_index_base_b.num_agpr, 0
	.set _ZN9rocsparseL19gebsrmvn_2xn_kernelILj128ELj15ELj4E21rocsparse_complex_numIfEEEvi20rocsparse_direction_NS_24const_host_device_scalarIT2_EEPKiS8_PKS5_SA_S6_PS5_21rocsparse_index_base_b.numbered_sgpr, 16
	.set _ZN9rocsparseL19gebsrmvn_2xn_kernelILj128ELj15ELj4E21rocsparse_complex_numIfEEEvi20rocsparse_direction_NS_24const_host_device_scalarIT2_EEPKiS8_PKS5_SA_S6_PS5_21rocsparse_index_base_b.num_named_barrier, 0
	.set _ZN9rocsparseL19gebsrmvn_2xn_kernelILj128ELj15ELj4E21rocsparse_complex_numIfEEEvi20rocsparse_direction_NS_24const_host_device_scalarIT2_EEPKiS8_PKS5_SA_S6_PS5_21rocsparse_index_base_b.private_seg_size, 0
	.set _ZN9rocsparseL19gebsrmvn_2xn_kernelILj128ELj15ELj4E21rocsparse_complex_numIfEEEvi20rocsparse_direction_NS_24const_host_device_scalarIT2_EEPKiS8_PKS5_SA_S6_PS5_21rocsparse_index_base_b.uses_vcc, 1
	.set _ZN9rocsparseL19gebsrmvn_2xn_kernelILj128ELj15ELj4E21rocsparse_complex_numIfEEEvi20rocsparse_direction_NS_24const_host_device_scalarIT2_EEPKiS8_PKS5_SA_S6_PS5_21rocsparse_index_base_b.uses_flat_scratch, 0
	.set _ZN9rocsparseL19gebsrmvn_2xn_kernelILj128ELj15ELj4E21rocsparse_complex_numIfEEEvi20rocsparse_direction_NS_24const_host_device_scalarIT2_EEPKiS8_PKS5_SA_S6_PS5_21rocsparse_index_base_b.has_dyn_sized_stack, 0
	.set _ZN9rocsparseL19gebsrmvn_2xn_kernelILj128ELj15ELj4E21rocsparse_complex_numIfEEEvi20rocsparse_direction_NS_24const_host_device_scalarIT2_EEPKiS8_PKS5_SA_S6_PS5_21rocsparse_index_base_b.has_recursion, 0
	.set _ZN9rocsparseL19gebsrmvn_2xn_kernelILj128ELj15ELj4E21rocsparse_complex_numIfEEEvi20rocsparse_direction_NS_24const_host_device_scalarIT2_EEPKiS8_PKS5_SA_S6_PS5_21rocsparse_index_base_b.has_indirect_call, 0
	.section	.AMDGPU.csdata,"",@progbits
; Kernel info:
; codeLenInByte = 2524
; TotalNumSgprs: 18
; NumVgprs: 53
; ScratchSize: 0
; MemoryBound: 0
; FloatMode: 240
; IeeeMode: 1
; LDSByteSize: 0 bytes/workgroup (compile time only)
; SGPRBlocks: 0
; VGPRBlocks: 6
; NumSGPRsForWavesPerEU: 18
; NumVGPRsForWavesPerEU: 53
; Occupancy: 16
; WaveLimiterHint : 1
; COMPUTE_PGM_RSRC2:SCRATCH_EN: 0
; COMPUTE_PGM_RSRC2:USER_SGPR: 6
; COMPUTE_PGM_RSRC2:TRAP_HANDLER: 0
; COMPUTE_PGM_RSRC2:TGID_X_EN: 1
; COMPUTE_PGM_RSRC2:TGID_Y_EN: 0
; COMPUTE_PGM_RSRC2:TGID_Z_EN: 0
; COMPUTE_PGM_RSRC2:TIDIG_COMP_CNT: 0
	.section	.text._ZN9rocsparseL19gebsrmvn_2xn_kernelILj128ELj15ELj8E21rocsparse_complex_numIfEEEvi20rocsparse_direction_NS_24const_host_device_scalarIT2_EEPKiS8_PKS5_SA_S6_PS5_21rocsparse_index_base_b,"axG",@progbits,_ZN9rocsparseL19gebsrmvn_2xn_kernelILj128ELj15ELj8E21rocsparse_complex_numIfEEEvi20rocsparse_direction_NS_24const_host_device_scalarIT2_EEPKiS8_PKS5_SA_S6_PS5_21rocsparse_index_base_b,comdat
	.globl	_ZN9rocsparseL19gebsrmvn_2xn_kernelILj128ELj15ELj8E21rocsparse_complex_numIfEEEvi20rocsparse_direction_NS_24const_host_device_scalarIT2_EEPKiS8_PKS5_SA_S6_PS5_21rocsparse_index_base_b ; -- Begin function _ZN9rocsparseL19gebsrmvn_2xn_kernelILj128ELj15ELj8E21rocsparse_complex_numIfEEEvi20rocsparse_direction_NS_24const_host_device_scalarIT2_EEPKiS8_PKS5_SA_S6_PS5_21rocsparse_index_base_b
	.p2align	8
	.type	_ZN9rocsparseL19gebsrmvn_2xn_kernelILj128ELj15ELj8E21rocsparse_complex_numIfEEEvi20rocsparse_direction_NS_24const_host_device_scalarIT2_EEPKiS8_PKS5_SA_S6_PS5_21rocsparse_index_base_b,@function
_ZN9rocsparseL19gebsrmvn_2xn_kernelILj128ELj15ELj8E21rocsparse_complex_numIfEEEvi20rocsparse_direction_NS_24const_host_device_scalarIT2_EEPKiS8_PKS5_SA_S6_PS5_21rocsparse_index_base_b: ; @_ZN9rocsparseL19gebsrmvn_2xn_kernelILj128ELj15ELj8E21rocsparse_complex_numIfEEEvi20rocsparse_direction_NS_24const_host_device_scalarIT2_EEPKiS8_PKS5_SA_S6_PS5_21rocsparse_index_base_b
; %bb.0:
	s_clause 0x2
	s_load_dwordx2 s[2:3], s[4:5], 0x40
	s_load_dwordx2 s[0:1], s[4:5], 0x8
	;; [unrolled: 1-line block ×3, first 2 shown]
	s_add_u32 s7, s4, 8
	s_addc_u32 s10, s5, 0
	s_add_u32 s11, s4, 48
	s_addc_u32 s12, s5, 0
	s_waitcnt lgkmcnt(0)
	s_bitcmp1_b32 s3, 0
	s_cselect_b32 s0, s7, s0
	s_cselect_b32 s1, s10, s1
	v_mov_b32_e32 v1, s0
	v_mov_b32_e32 v2, s1
	s_cselect_b32 s0, s11, s8
	s_cselect_b32 s1, s12, s9
	v_mov_b32_e32 v3, s0
	v_mov_b32_e32 v4, s1
	flat_load_dwordx2 v[1:2], v[1:2]
	flat_load_dwordx2 v[3:4], v[3:4]
	s_waitcnt vmcnt(1) lgkmcnt(1)
	v_cmp_eq_f32_e32 vcc_lo, 0, v1
	v_cmp_eq_f32_e64 s0, 0, v2
	s_and_b32 s3, vcc_lo, s0
	s_mov_b32 s0, -1
	s_and_saveexec_b32 s1, s3
	s_cbranch_execz .LBB218_2
; %bb.1:
	s_waitcnt vmcnt(0) lgkmcnt(0)
	v_cmp_neq_f32_e32 vcc_lo, 1.0, v3
	v_cmp_neq_f32_e64 s0, 0, v4
	s_or_b32 s0, vcc_lo, s0
	s_orn2_b32 s0, s0, exec_lo
.LBB218_2:
	s_or_b32 exec_lo, exec_lo, s1
	s_and_saveexec_b32 s1, s0
	s_cbranch_execz .LBB218_25
; %bb.3:
	s_load_dwordx2 s[0:1], s[4:5], 0x0
	v_lshrrev_b32_e32 v5, 3, v0
	v_lshl_or_b32 v5, s6, 4, v5
	s_waitcnt lgkmcnt(0)
	v_cmp_gt_i32_e32 vcc_lo, s0, v5
	s_and_b32 exec_lo, exec_lo, vcc_lo
	s_cbranch_execz .LBB218_25
; %bb.4:
	s_load_dwordx8 s[8:15], s[4:5], 0x10
	v_ashrrev_i32_e32 v6, 31, v5
	v_and_b32_e32 v0, 7, v0
	s_cmp_lg_u32 s1, 0
	v_lshlrev_b64 v[6:7], 2, v[5:6]
	s_waitcnt lgkmcnt(0)
	v_add_co_u32 v6, vcc_lo, s8, v6
	v_add_co_ci_u32_e64 v7, null, s9, v7, vcc_lo
	global_load_dwordx2 v[7:8], v[6:7], off
	s_waitcnt vmcnt(0)
	v_subrev_nc_u32_e32 v6, s2, v7
	v_subrev_nc_u32_e32 v16, s2, v8
	v_add_nc_u32_e32 v6, v6, v0
	v_cmp_lt_i32_e64 s0, v6, v16
	s_cbranch_scc0 .LBB218_12
; %bb.5:
	v_mov_b32_e32 v14, 0
	v_mov_b32_e32 v17, 0
	;; [unrolled: 1-line block ×4, first 2 shown]
	s_and_saveexec_b32 s1, s0
	s_cbranch_execz .LBB218_11
; %bb.6:
	v_mad_u64_u32 v[8:9], null, v6, 30, 8
	v_mov_b32_e32 v10, 0
	v_mov_b32_e32 v11, v6
	;; [unrolled: 1-line block ×6, first 2 shown]
	s_mov_b32 s3, 0
.LBB218_7:                              ; =>This Loop Header: Depth=1
                                        ;     Child Loop BB218_8 Depth 2
	v_ashrrev_i32_e32 v12, 31, v11
	s_mov_b32 s6, 0
	v_lshlrev_b64 v[12:13], 2, v[11:12]
	v_add_co_u32 v12, vcc_lo, s10, v12
	v_add_co_ci_u32_e64 v13, null, s11, v13, vcc_lo
	global_load_dword v9, v[12:13], off
	v_mov_b32_e32 v12, v8
	s_waitcnt vmcnt(0)
	v_subrev_nc_u32_e32 v9, s2, v9
	v_mul_lo_u32 v19, v9, 15
.LBB218_8:                              ;   Parent Loop BB218_7 Depth=1
                                        ; =>  This Inner Loop Header: Depth=2
	v_add_nc_u32_e32 v9, -8, v12
	v_add_nc_u32_e32 v20, -6, v12
	v_mov_b32_e32 v21, v10
	v_add_nc_u32_e32 v23, -4, v12
	v_mov_b32_e32 v24, v10
	v_lshlrev_b64 v[29:30], 3, v[9:10]
	v_add_nc_u32_e32 v26, -2, v12
	v_mov_b32_e32 v27, v10
	v_lshlrev_b64 v[31:32], 3, v[20:21]
	v_mov_b32_e32 v13, v10
	v_lshlrev_b64 v[33:34], 3, v[23:24]
	v_add_nc_u32_e32 v9, s6, v19
	v_lshlrev_b64 v[35:36], 3, v[26:27]
	v_add_co_u32 v29, vcc_lo, s12, v29
	v_lshlrev_b64 v[37:38], 3, v[12:13]
	v_add_co_ci_u32_e64 v30, null, s13, v30, vcc_lo
	v_add_co_u32 v31, vcc_lo, s12, v31
	v_lshlrev_b64 v[39:40], 3, v[9:10]
	v_add_co_ci_u32_e64 v32, null, s13, v32, vcc_lo
	v_add_co_u32 v33, vcc_lo, s12, v33
	v_mov_b32_e32 v22, v10
	v_add_nc_u32_e32 v21, 1, v9
	v_add_co_ci_u32_e64 v34, null, s13, v34, vcc_lo
	v_add_co_u32 v35, vcc_lo, s12, v35
	v_mov_b32_e32 v25, v10
	v_mov_b32_e32 v28, v10
	v_add_nc_u32_e32 v24, 2, v9
	v_add_nc_u32_e32 v27, 3, v9
	v_add_co_ci_u32_e64 v36, null, s13, v36, vcc_lo
	v_add_co_u32 v37, vcc_lo, s12, v37
	v_add_co_ci_u32_e64 v38, null, s13, v38, vcc_lo
	v_lshlrev_b64 v[41:42], 3, v[21:22]
	v_add_co_u32 v39, vcc_lo, s14, v39
	v_add_co_ci_u32_e64 v40, null, s15, v40, vcc_lo
	v_lshlrev_b64 v[43:44], 3, v[24:25]
	v_lshlrev_b64 v[45:46], 3, v[27:28]
	s_clause 0x3
	global_load_dwordx4 v[20:23], v[29:30], off
	global_load_dwordx4 v[24:27], v[31:32], off
	;; [unrolled: 1-line block ×4, first 2 shown]
	global_load_dwordx2 v[49:50], v[39:40], off
	v_add_co_u32 v39, vcc_lo, s14, v41
	v_add_co_ci_u32_e64 v40, null, s15, v42, vcc_lo
	v_add_co_u32 v41, vcc_lo, s14, v43
	v_add_co_ci_u32_e64 v42, null, s15, v44, vcc_lo
	global_load_dwordx2 v[51:52], v[39:40], off
	v_add_nc_u32_e32 v9, 4, v9
	v_add_nc_u32_e32 v12, 10, v12
	global_load_dwordx2 v[41:42], v[41:42], off
	v_add_co_u32 v39, vcc_lo, s14, v45
	v_add_co_ci_u32_e64 v40, null, s15, v46, vcc_lo
	v_lshlrev_b64 v[47:48], 3, v[9:10]
	s_add_i32 s6, s6, 5
	global_load_dwordx2 v[45:46], v[39:40], off
	s_cmp_eq_u32 s6, 15
	v_add_co_u32 v43, vcc_lo, s14, v47
	v_add_co_ci_u32_e64 v44, null, s15, v48, vcc_lo
	global_load_dwordx4 v[36:39], v[37:38], off
	global_load_dwordx2 v[43:44], v[43:44], off
	s_waitcnt vmcnt(5)
	v_fmac_f32_e32 v17, v20, v49
	v_fmac_f32_e32 v14, v21, v49
	v_fmac_f32_e32 v18, v22, v49
	v_fmac_f32_e32 v15, v23, v49
	v_fma_f32 v9, -v21, v50, v17
	v_fmac_f32_e32 v14, v20, v50
	v_fma_f32 v13, -v23, v50, v18
	v_fmac_f32_e32 v15, v22, v50
	s_waitcnt vmcnt(4)
	v_fmac_f32_e32 v9, v24, v51
	v_fmac_f32_e32 v14, v25, v51
	v_fmac_f32_e32 v13, v26, v51
	v_fmac_f32_e32 v15, v27, v51
	v_fma_f32 v9, -v25, v52, v9
	v_fmac_f32_e32 v14, v24, v52
	v_fma_f32 v13, -v27, v52, v13
	v_fmac_f32_e32 v15, v26, v52
	;; [unrolled: 9-line block ×5, first 2 shown]
	s_cbranch_scc0 .LBB218_8
; %bb.9:                                ;   in Loop: Header=BB218_7 Depth=1
	v_add_nc_u32_e32 v11, 8, v11
	v_add_nc_u32_e32 v8, 0xf0, v8
	v_cmp_ge_i32_e32 vcc_lo, v11, v16
	s_or_b32 s3, vcc_lo, s3
	s_andn2_b32 exec_lo, exec_lo, s3
	s_cbranch_execnz .LBB218_7
; %bb.10:
	s_or_b32 exec_lo, exec_lo, s3
.LBB218_11:
	s_or_b32 exec_lo, exec_lo, s1
	s_cbranch_execz .LBB218_13
	s_branch .LBB218_20
.LBB218_12:
                                        ; implicit-def: $vgpr14
                                        ; implicit-def: $vgpr17
                                        ; implicit-def: $vgpr18
                                        ; implicit-def: $vgpr15
.LBB218_13:
	v_mov_b32_e32 v14, 0
	v_mov_b32_e32 v17, 0
	;; [unrolled: 1-line block ×4, first 2 shown]
	s_and_saveexec_b32 s1, s0
	s_cbranch_execz .LBB218_19
; %bb.14:
	v_mul_lo_u32 v7, v7, 30
	v_mul_lo_u32 v9, v6, 30
	s_mul_i32 s0, s2, 30
	v_mov_b32_e32 v8, 0
	v_mov_b32_e32 v14, 0
	;; [unrolled: 1-line block ×5, first 2 shown]
	v_mad_u32_u24 v7, v0, 30, v7
	v_subrev_nc_u32_e32 v10, s0, v7
	s_mov_b32 s0, 0
.LBB218_15:                             ; =>This Loop Header: Depth=1
                                        ;     Child Loop BB218_16 Depth 2
	v_ashrrev_i32_e32 v7, 31, v6
	s_mov_b32 s3, 0
	v_lshlrev_b64 v[11:12], 2, v[6:7]
	v_add_co_u32 v11, vcc_lo, s10, v11
	v_add_co_ci_u32_e64 v12, null, s11, v12, vcc_lo
	global_load_dword v7, v[11:12], off
	s_waitcnt vmcnt(0)
	v_subrev_nc_u32_e32 v7, s2, v7
	v_mul_lo_u32 v11, v7, 15
.LBB218_16:                             ;   Parent Loop BB218_15 Depth=1
                                        ; =>  This Inner Loop Header: Depth=2
	v_add_nc_u32_e32 v7, s3, v10
	v_add_nc_u32_e32 v48, s3, v9
	v_mov_b32_e32 v13, v8
	v_mov_b32_e32 v20, v8
	;; [unrolled: 1-line block ×3, first 2 shown]
	v_lshlrev_b64 v[36:37], 3, v[7:8]
	v_add_nc_u32_e32 v7, s3, v11
	v_add_nc_u32_e32 v12, 15, v48
	;; [unrolled: 1-line block ×4, first 2 shown]
	v_mov_b32_e32 v25, v8
	v_lshlrev_b64 v[38:39], 3, v[7:8]
	v_lshlrev_b64 v[12:13], 3, v[12:13]
	v_add_nc_u32_e32 v24, 2, v48
	v_lshlrev_b64 v[40:41], 3, v[19:20]
	v_add_co_u32 v36, vcc_lo, s12, v36
	v_mov_b32_e32 v28, v8
	v_add_nc_u32_e32 v27, 17, v48
	v_lshlrev_b64 v[22:23], 3, v[22:23]
	v_add_co_ci_u32_e64 v37, null, s13, v37, vcc_lo
	v_add_co_u32 v38, vcc_lo, s14, v38
	v_mov_b32_e32 v21, v8
	v_mov_b32_e32 v30, v8
	v_add_nc_u32_e32 v29, 3, v48
	v_add_nc_u32_e32 v20, 1, v7
	v_lshlrev_b64 v[42:43], 3, v[24:25]
	v_add_co_ci_u32_e64 v39, null, s15, v39, vcc_lo
	v_add_co_u32 v12, vcc_lo, s12, v12
	v_mov_b32_e32 v33, v8
	v_add_nc_u32_e32 v32, 18, v48
	v_lshlrev_b64 v[27:28], 3, v[27:28]
	v_add_co_ci_u32_e64 v13, null, s13, v13, vcc_lo
	v_add_co_u32 v40, vcc_lo, s12, v40
	v_mov_b32_e32 v26, v8
	v_mov_b32_e32 v35, v8
	v_add_nc_u32_e32 v34, 4, v48
	v_add_nc_u32_e32 v25, 2, v7
	v_lshlrev_b64 v[44:45], 3, v[29:30]
	v_lshlrev_b64 v[19:20], 3, v[20:21]
	v_add_co_ci_u32_e64 v41, null, s13, v41, vcc_lo
	v_add_co_u32 v21, vcc_lo, s12, v22
	v_lshlrev_b64 v[32:33], 3, v[32:33]
	v_add_co_ci_u32_e64 v22, null, s13, v23, vcc_lo
	v_add_co_u32 v42, vcc_lo, s12, v42
	v_mov_b32_e32 v31, v8
	v_add_nc_u32_e32 v30, 3, v7
	v_lshlrev_b64 v[34:35], 3, v[34:35]
	v_lshlrev_b64 v[24:25], 3, v[25:26]
	v_add_co_ci_u32_e64 v43, null, s13, v43, vcc_lo
	v_add_co_u32 v26, vcc_lo, s12, v27
	v_add_co_ci_u32_e64 v27, null, s13, v28, vcc_lo
	v_add_co_u32 v44, vcc_lo, s12, v44
	v_lshlrev_b64 v[29:30], 3, v[30:31]
	v_add_co_ci_u32_e64 v45, null, s13, v45, vcc_lo
	v_add_co_u32 v31, vcc_lo, s12, v32
	global_load_dwordx2 v[36:37], v[36:37], off
	v_add_co_ci_u32_e64 v32, null, s13, v33, vcc_lo
	v_add_co_u32 v33, vcc_lo, s12, v34
	global_load_dwordx2 v[38:39], v[38:39], off
	s_clause 0x1
	global_load_dwordx2 v[12:13], v[12:13], off
	global_load_dwordx2 v[40:41], v[40:41], off
	v_add_co_ci_u32_e64 v34, null, s13, v35, vcc_lo
	v_add_co_u32 v19, vcc_lo, s14, v19
	v_add_co_ci_u32_e64 v20, null, s15, v20, vcc_lo
	s_clause 0x1
	global_load_dwordx2 v[21:22], v[21:22], off
	global_load_dwordx2 v[42:43], v[42:43], off
	v_add_co_u32 v23, vcc_lo, s14, v24
	global_load_dwordx2 v[19:20], v[19:20], off
	v_add_co_ci_u32_e64 v24, null, s15, v25, vcc_lo
	v_add_nc_u32_e32 v7, 4, v7
	s_clause 0x1
	global_load_dwordx2 v[25:26], v[26:27], off
	global_load_dwordx2 v[27:28], v[44:45], off
	v_add_co_u32 v29, vcc_lo, s14, v29
	global_load_dwordx2 v[23:24], v[23:24], off
	v_lshlrev_b64 v[46:47], 3, v[7:8]
	v_add_nc_u32_e32 v7, 19, v48
	v_add_co_ci_u32_e64 v30, null, s15, v30, vcc_lo
	global_load_dwordx2 v[31:32], v[31:32], off
	s_add_i32 s3, s3, 5
	v_lshlrev_b64 v[48:49], 3, v[7:8]
	global_load_dwordx2 v[29:30], v[29:30], off
	v_add_co_u32 v44, vcc_lo, s14, v46
	v_add_co_ci_u32_e64 v45, null, s15, v47, vcc_lo
	v_add_co_u32 v46, vcc_lo, s12, v48
	v_add_co_ci_u32_e64 v47, null, s13, v49, vcc_lo
	global_load_dwordx2 v[33:34], v[33:34], off
	global_load_dwordx2 v[44:45], v[44:45], off
	;; [unrolled: 1-line block ×3, first 2 shown]
	s_cmp_eq_u32 s3, 15
	s_waitcnt vmcnt(13)
	v_fmac_f32_e32 v17, v36, v38
	v_fmac_f32_e32 v14, v37, v38
	s_waitcnt vmcnt(12)
	v_fmac_f32_e32 v18, v12, v38
	v_fmac_f32_e32 v15, v13, v38
	v_fma_f32 v7, -v37, v39, v17
	v_fmac_f32_e32 v14, v36, v39
	v_fma_f32 v13, -v13, v39, v18
	v_fmac_f32_e32 v15, v12, v39
	s_waitcnt vmcnt(8)
	v_fmac_f32_e32 v7, v40, v19
	v_fmac_f32_e32 v14, v41, v19
	v_fmac_f32_e32 v13, v21, v19
	v_fmac_f32_e32 v15, v22, v19
	v_fma_f32 v7, -v41, v20, v7
	v_fmac_f32_e32 v14, v40, v20
	v_fma_f32 v12, -v22, v20, v13
	v_fmac_f32_e32 v15, v21, v20
	s_waitcnt vmcnt(5)
	v_fmac_f32_e32 v7, v42, v23
	v_fmac_f32_e32 v14, v43, v23
	;; [unrolled: 9-line block ×4, first 2 shown]
	s_waitcnt vmcnt(0)
	v_fmac_f32_e32 v12, v46, v44
	v_fmac_f32_e32 v15, v47, v44
	v_fma_f32 v17, -v34, v45, v7
	v_fmac_f32_e32 v14, v33, v45
	v_fma_f32 v18, -v47, v45, v12
	v_fmac_f32_e32 v15, v46, v45
	s_cbranch_scc0 .LBB218_16
; %bb.17:                               ;   in Loop: Header=BB218_15 Depth=1
	v_add_nc_u32_e32 v6, 8, v6
	v_add_nc_u32_e32 v9, 0xf0, v9
	;; [unrolled: 1-line block ×3, first 2 shown]
	v_cmp_ge_i32_e32 vcc_lo, v6, v16
	s_or_b32 s0, vcc_lo, s0
	s_andn2_b32 exec_lo, exec_lo, s0
	s_cbranch_execnz .LBB218_15
; %bb.18:
	s_or_b32 exec_lo, exec_lo, s0
.LBB218_19:
	s_or_b32 exec_lo, exec_lo, s1
.LBB218_20:
	v_mbcnt_lo_u32_b32 v6, -1, 0
	v_xor_b32_e32 v7, 4, v6
	v_xor_b32_e32 v11, 2, v6
	v_cmp_gt_i32_e32 vcc_lo, 32, v7
	v_cndmask_b32_e32 v7, v6, v7, vcc_lo
	v_cmp_gt_i32_e32 vcc_lo, 32, v11
	v_lshlrev_b32_e32 v7, 2, v7
	v_cndmask_b32_e32 v11, v6, v11, vcc_lo
	ds_bpermute_b32 v8, v7, v17
	ds_bpermute_b32 v9, v7, v14
	;; [unrolled: 1-line block ×4, first 2 shown]
	v_lshlrev_b32_e32 v11, 2, v11
	s_waitcnt lgkmcnt(3)
	v_add_f32_e32 v8, v17, v8
	s_waitcnt lgkmcnt(2)
	v_add_f32_e32 v9, v14, v9
	;; [unrolled: 2-line block ×4, first 2 shown]
	v_xor_b32_e32 v15, 1, v6
	ds_bpermute_b32 v12, v11, v8
	ds_bpermute_b32 v13, v11, v9
	;; [unrolled: 1-line block ×4, first 2 shown]
	v_cmp_gt_i32_e32 vcc_lo, 32, v15
	v_cndmask_b32_e32 v6, v6, v15, vcc_lo
	v_cmp_eq_u32_e32 vcc_lo, 7, v0
	v_lshlrev_b32_e32 v15, 2, v6
	s_waitcnt lgkmcnt(3)
	v_add_f32_e32 v8, v8, v12
	s_waitcnt lgkmcnt(2)
	v_add_f32_e32 v9, v9, v13
	;; [unrolled: 2-line block ×4, first 2 shown]
	ds_bpermute_b32 v12, v15, v8
	ds_bpermute_b32 v13, v15, v9
	;; [unrolled: 1-line block ×4, first 2 shown]
	s_and_b32 exec_lo, exec_lo, vcc_lo
	s_cbranch_execz .LBB218_25
; %bb.21:
	s_load_dwordx2 s[2:3], s[4:5], 0x38
	v_cmp_eq_f32_e32 vcc_lo, 0, v3
	v_cmp_eq_f32_e64 s0, 0, v4
	s_waitcnt lgkmcnt(0)
	v_add_f32_e32 v0, v8, v12
	v_add_f32_e32 v8, v9, v13
	;; [unrolled: 1-line block ×4, first 2 shown]
	s_and_b32 s0, vcc_lo, s0
	s_and_saveexec_b32 s1, s0
	s_xor_b32 s0, exec_lo, s1
	s_cbranch_execz .LBB218_23
; %bb.22:
	v_lshlrev_b32_e32 v3, 1, v5
	v_mul_f32_e64 v9, v8, -v2
	v_mul_f32_e32 v10, v1, v8
	v_mul_f32_e64 v11, v7, -v2
	v_mul_f32_e32 v12, v1, v7
	v_ashrrev_i32_e32 v4, 31, v3
	v_fmac_f32_e32 v9, v1, v0
	v_fmac_f32_e32 v10, v2, v0
	;; [unrolled: 1-line block ×4, first 2 shown]
	v_lshlrev_b64 v[3:4], 3, v[3:4]
                                        ; implicit-def: $vgpr5
                                        ; implicit-def: $vgpr8
                                        ; implicit-def: $vgpr7
                                        ; implicit-def: $vgpr6
	v_add_co_u32 v0, vcc_lo, s2, v3
	v_add_co_ci_u32_e64 v1, null, s3, v4, vcc_lo
                                        ; implicit-def: $vgpr3_vgpr4
	global_store_dwordx4 v[0:1], v[9:12], off
                                        ; implicit-def: $vgpr1_vgpr2
                                        ; implicit-def: $vgpr0
.LBB218_23:
	s_andn2_saveexec_b32 s0, s0
	s_cbranch_execz .LBB218_25
; %bb.24:
	v_lshlrev_b32_e32 v9, 1, v5
	v_mul_f32_e64 v5, v8, -v2
	v_mul_f32_e32 v14, v1, v8
	v_mul_f32_e64 v8, v7, -v2
	v_mul_f32_e32 v16, v1, v7
	v_ashrrev_i32_e32 v10, 31, v9
	v_fmac_f32_e32 v5, v1, v0
	v_fmac_f32_e32 v14, v2, v0
	;; [unrolled: 1-line block ×4, first 2 shown]
	v_lshlrev_b64 v[9:10], 3, v[9:10]
	v_add_co_u32 v17, vcc_lo, s2, v9
	v_add_co_ci_u32_e64 v18, null, s3, v10, vcc_lo
	global_load_dwordx4 v[9:12], v[17:18], off
	s_waitcnt vmcnt(0)
	v_fmac_f32_e32 v5, v3, v9
	v_fmac_f32_e32 v14, v4, v9
	;; [unrolled: 1-line block ×4, first 2 shown]
	v_fma_f32 v13, -v4, v10, v5
	v_fmac_f32_e32 v14, v3, v10
	v_fma_f32 v15, -v4, v12, v8
	v_fmac_f32_e32 v16, v3, v12
	global_store_dwordx4 v[17:18], v[13:16], off
.LBB218_25:
	s_endpgm
	.section	.rodata,"a",@progbits
	.p2align	6, 0x0
	.amdhsa_kernel _ZN9rocsparseL19gebsrmvn_2xn_kernelILj128ELj15ELj8E21rocsparse_complex_numIfEEEvi20rocsparse_direction_NS_24const_host_device_scalarIT2_EEPKiS8_PKS5_SA_S6_PS5_21rocsparse_index_base_b
		.amdhsa_group_segment_fixed_size 0
		.amdhsa_private_segment_fixed_size 0
		.amdhsa_kernarg_size 72
		.amdhsa_user_sgpr_count 6
		.amdhsa_user_sgpr_private_segment_buffer 1
		.amdhsa_user_sgpr_dispatch_ptr 0
		.amdhsa_user_sgpr_queue_ptr 0
		.amdhsa_user_sgpr_kernarg_segment_ptr 1
		.amdhsa_user_sgpr_dispatch_id 0
		.amdhsa_user_sgpr_flat_scratch_init 0
		.amdhsa_user_sgpr_private_segment_size 0
		.amdhsa_wavefront_size32 1
		.amdhsa_uses_dynamic_stack 0
		.amdhsa_system_sgpr_private_segment_wavefront_offset 0
		.amdhsa_system_sgpr_workgroup_id_x 1
		.amdhsa_system_sgpr_workgroup_id_y 0
		.amdhsa_system_sgpr_workgroup_id_z 0
		.amdhsa_system_sgpr_workgroup_info 0
		.amdhsa_system_vgpr_workitem_id 0
		.amdhsa_next_free_vgpr 53
		.amdhsa_next_free_sgpr 16
		.amdhsa_reserve_vcc 1
		.amdhsa_reserve_flat_scratch 0
		.amdhsa_float_round_mode_32 0
		.amdhsa_float_round_mode_16_64 0
		.amdhsa_float_denorm_mode_32 3
		.amdhsa_float_denorm_mode_16_64 3
		.amdhsa_dx10_clamp 1
		.amdhsa_ieee_mode 1
		.amdhsa_fp16_overflow 0
		.amdhsa_workgroup_processor_mode 1
		.amdhsa_memory_ordered 1
		.amdhsa_forward_progress 1
		.amdhsa_shared_vgpr_count 0
		.amdhsa_exception_fp_ieee_invalid_op 0
		.amdhsa_exception_fp_denorm_src 0
		.amdhsa_exception_fp_ieee_div_zero 0
		.amdhsa_exception_fp_ieee_overflow 0
		.amdhsa_exception_fp_ieee_underflow 0
		.amdhsa_exception_fp_ieee_inexact 0
		.amdhsa_exception_int_div_zero 0
	.end_amdhsa_kernel
	.section	.text._ZN9rocsparseL19gebsrmvn_2xn_kernelILj128ELj15ELj8E21rocsparse_complex_numIfEEEvi20rocsparse_direction_NS_24const_host_device_scalarIT2_EEPKiS8_PKS5_SA_S6_PS5_21rocsparse_index_base_b,"axG",@progbits,_ZN9rocsparseL19gebsrmvn_2xn_kernelILj128ELj15ELj8E21rocsparse_complex_numIfEEEvi20rocsparse_direction_NS_24const_host_device_scalarIT2_EEPKiS8_PKS5_SA_S6_PS5_21rocsparse_index_base_b,comdat
.Lfunc_end218:
	.size	_ZN9rocsparseL19gebsrmvn_2xn_kernelILj128ELj15ELj8E21rocsparse_complex_numIfEEEvi20rocsparse_direction_NS_24const_host_device_scalarIT2_EEPKiS8_PKS5_SA_S6_PS5_21rocsparse_index_base_b, .Lfunc_end218-_ZN9rocsparseL19gebsrmvn_2xn_kernelILj128ELj15ELj8E21rocsparse_complex_numIfEEEvi20rocsparse_direction_NS_24const_host_device_scalarIT2_EEPKiS8_PKS5_SA_S6_PS5_21rocsparse_index_base_b
                                        ; -- End function
	.set _ZN9rocsparseL19gebsrmvn_2xn_kernelILj128ELj15ELj8E21rocsparse_complex_numIfEEEvi20rocsparse_direction_NS_24const_host_device_scalarIT2_EEPKiS8_PKS5_SA_S6_PS5_21rocsparse_index_base_b.num_vgpr, 53
	.set _ZN9rocsparseL19gebsrmvn_2xn_kernelILj128ELj15ELj8E21rocsparse_complex_numIfEEEvi20rocsparse_direction_NS_24const_host_device_scalarIT2_EEPKiS8_PKS5_SA_S6_PS5_21rocsparse_index_base_b.num_agpr, 0
	.set _ZN9rocsparseL19gebsrmvn_2xn_kernelILj128ELj15ELj8E21rocsparse_complex_numIfEEEvi20rocsparse_direction_NS_24const_host_device_scalarIT2_EEPKiS8_PKS5_SA_S6_PS5_21rocsparse_index_base_b.numbered_sgpr, 16
	.set _ZN9rocsparseL19gebsrmvn_2xn_kernelILj128ELj15ELj8E21rocsparse_complex_numIfEEEvi20rocsparse_direction_NS_24const_host_device_scalarIT2_EEPKiS8_PKS5_SA_S6_PS5_21rocsparse_index_base_b.num_named_barrier, 0
	.set _ZN9rocsparseL19gebsrmvn_2xn_kernelILj128ELj15ELj8E21rocsparse_complex_numIfEEEvi20rocsparse_direction_NS_24const_host_device_scalarIT2_EEPKiS8_PKS5_SA_S6_PS5_21rocsparse_index_base_b.private_seg_size, 0
	.set _ZN9rocsparseL19gebsrmvn_2xn_kernelILj128ELj15ELj8E21rocsparse_complex_numIfEEEvi20rocsparse_direction_NS_24const_host_device_scalarIT2_EEPKiS8_PKS5_SA_S6_PS5_21rocsparse_index_base_b.uses_vcc, 1
	.set _ZN9rocsparseL19gebsrmvn_2xn_kernelILj128ELj15ELj8E21rocsparse_complex_numIfEEEvi20rocsparse_direction_NS_24const_host_device_scalarIT2_EEPKiS8_PKS5_SA_S6_PS5_21rocsparse_index_base_b.uses_flat_scratch, 0
	.set _ZN9rocsparseL19gebsrmvn_2xn_kernelILj128ELj15ELj8E21rocsparse_complex_numIfEEEvi20rocsparse_direction_NS_24const_host_device_scalarIT2_EEPKiS8_PKS5_SA_S6_PS5_21rocsparse_index_base_b.has_dyn_sized_stack, 0
	.set _ZN9rocsparseL19gebsrmvn_2xn_kernelILj128ELj15ELj8E21rocsparse_complex_numIfEEEvi20rocsparse_direction_NS_24const_host_device_scalarIT2_EEPKiS8_PKS5_SA_S6_PS5_21rocsparse_index_base_b.has_recursion, 0
	.set _ZN9rocsparseL19gebsrmvn_2xn_kernelILj128ELj15ELj8E21rocsparse_complex_numIfEEEvi20rocsparse_direction_NS_24const_host_device_scalarIT2_EEPKiS8_PKS5_SA_S6_PS5_21rocsparse_index_base_b.has_indirect_call, 0
	.section	.AMDGPU.csdata,"",@progbits
; Kernel info:
; codeLenInByte = 2604
; TotalNumSgprs: 18
; NumVgprs: 53
; ScratchSize: 0
; MemoryBound: 0
; FloatMode: 240
; IeeeMode: 1
; LDSByteSize: 0 bytes/workgroup (compile time only)
; SGPRBlocks: 0
; VGPRBlocks: 6
; NumSGPRsForWavesPerEU: 18
; NumVGPRsForWavesPerEU: 53
; Occupancy: 16
; WaveLimiterHint : 1
; COMPUTE_PGM_RSRC2:SCRATCH_EN: 0
; COMPUTE_PGM_RSRC2:USER_SGPR: 6
; COMPUTE_PGM_RSRC2:TRAP_HANDLER: 0
; COMPUTE_PGM_RSRC2:TGID_X_EN: 1
; COMPUTE_PGM_RSRC2:TGID_Y_EN: 0
; COMPUTE_PGM_RSRC2:TGID_Z_EN: 0
; COMPUTE_PGM_RSRC2:TIDIG_COMP_CNT: 0
	.section	.text._ZN9rocsparseL19gebsrmvn_2xn_kernelILj128ELj15ELj16E21rocsparse_complex_numIfEEEvi20rocsparse_direction_NS_24const_host_device_scalarIT2_EEPKiS8_PKS5_SA_S6_PS5_21rocsparse_index_base_b,"axG",@progbits,_ZN9rocsparseL19gebsrmvn_2xn_kernelILj128ELj15ELj16E21rocsparse_complex_numIfEEEvi20rocsparse_direction_NS_24const_host_device_scalarIT2_EEPKiS8_PKS5_SA_S6_PS5_21rocsparse_index_base_b,comdat
	.globl	_ZN9rocsparseL19gebsrmvn_2xn_kernelILj128ELj15ELj16E21rocsparse_complex_numIfEEEvi20rocsparse_direction_NS_24const_host_device_scalarIT2_EEPKiS8_PKS5_SA_S6_PS5_21rocsparse_index_base_b ; -- Begin function _ZN9rocsparseL19gebsrmvn_2xn_kernelILj128ELj15ELj16E21rocsparse_complex_numIfEEEvi20rocsparse_direction_NS_24const_host_device_scalarIT2_EEPKiS8_PKS5_SA_S6_PS5_21rocsparse_index_base_b
	.p2align	8
	.type	_ZN9rocsparseL19gebsrmvn_2xn_kernelILj128ELj15ELj16E21rocsparse_complex_numIfEEEvi20rocsparse_direction_NS_24const_host_device_scalarIT2_EEPKiS8_PKS5_SA_S6_PS5_21rocsparse_index_base_b,@function
_ZN9rocsparseL19gebsrmvn_2xn_kernelILj128ELj15ELj16E21rocsparse_complex_numIfEEEvi20rocsparse_direction_NS_24const_host_device_scalarIT2_EEPKiS8_PKS5_SA_S6_PS5_21rocsparse_index_base_b: ; @_ZN9rocsparseL19gebsrmvn_2xn_kernelILj128ELj15ELj16E21rocsparse_complex_numIfEEEvi20rocsparse_direction_NS_24const_host_device_scalarIT2_EEPKiS8_PKS5_SA_S6_PS5_21rocsparse_index_base_b
; %bb.0:
	s_clause 0x2
	s_load_dwordx2 s[2:3], s[4:5], 0x40
	s_load_dwordx2 s[0:1], s[4:5], 0x8
	;; [unrolled: 1-line block ×3, first 2 shown]
	s_add_u32 s7, s4, 8
	s_addc_u32 s10, s5, 0
	s_add_u32 s11, s4, 48
	s_addc_u32 s12, s5, 0
	s_waitcnt lgkmcnt(0)
	s_bitcmp1_b32 s3, 0
	s_cselect_b32 s0, s7, s0
	s_cselect_b32 s1, s10, s1
	v_mov_b32_e32 v1, s0
	v_mov_b32_e32 v2, s1
	s_cselect_b32 s0, s11, s8
	s_cselect_b32 s1, s12, s9
	v_mov_b32_e32 v3, s0
	v_mov_b32_e32 v4, s1
	flat_load_dwordx2 v[1:2], v[1:2]
	flat_load_dwordx2 v[3:4], v[3:4]
	s_waitcnt vmcnt(1) lgkmcnt(1)
	v_cmp_eq_f32_e32 vcc_lo, 0, v1
	v_cmp_eq_f32_e64 s0, 0, v2
	s_and_b32 s3, vcc_lo, s0
	s_mov_b32 s0, -1
	s_and_saveexec_b32 s1, s3
	s_cbranch_execz .LBB219_2
; %bb.1:
	s_waitcnt vmcnt(0) lgkmcnt(0)
	v_cmp_neq_f32_e32 vcc_lo, 1.0, v3
	v_cmp_neq_f32_e64 s0, 0, v4
	s_or_b32 s0, vcc_lo, s0
	s_orn2_b32 s0, s0, exec_lo
.LBB219_2:
	s_or_b32 exec_lo, exec_lo, s1
	s_and_saveexec_b32 s1, s0
	s_cbranch_execz .LBB219_25
; %bb.3:
	s_load_dwordx2 s[0:1], s[4:5], 0x0
	v_lshrrev_b32_e32 v5, 4, v0
	v_lshl_or_b32 v5, s6, 3, v5
	s_waitcnt lgkmcnt(0)
	v_cmp_gt_i32_e32 vcc_lo, s0, v5
	s_and_b32 exec_lo, exec_lo, vcc_lo
	s_cbranch_execz .LBB219_25
; %bb.4:
	s_load_dwordx8 s[8:15], s[4:5], 0x10
	v_ashrrev_i32_e32 v6, 31, v5
	v_and_b32_e32 v0, 15, v0
	s_cmp_lg_u32 s1, 0
	v_lshlrev_b64 v[6:7], 2, v[5:6]
	s_waitcnt lgkmcnt(0)
	v_add_co_u32 v6, vcc_lo, s8, v6
	v_add_co_ci_u32_e64 v7, null, s9, v7, vcc_lo
	global_load_dwordx2 v[7:8], v[6:7], off
	s_waitcnt vmcnt(0)
	v_subrev_nc_u32_e32 v6, s2, v7
	v_subrev_nc_u32_e32 v16, s2, v8
	v_add_nc_u32_e32 v6, v6, v0
	v_cmp_lt_i32_e64 s0, v6, v16
	s_cbranch_scc0 .LBB219_12
; %bb.5:
	v_mov_b32_e32 v14, 0
	v_mov_b32_e32 v17, 0
	;; [unrolled: 1-line block ×4, first 2 shown]
	s_and_saveexec_b32 s1, s0
	s_cbranch_execz .LBB219_11
; %bb.6:
	v_mad_u64_u32 v[8:9], null, v6, 30, 8
	v_mov_b32_e32 v10, 0
	v_mov_b32_e32 v11, v6
	;; [unrolled: 1-line block ×6, first 2 shown]
	s_mov_b32 s3, 0
.LBB219_7:                              ; =>This Loop Header: Depth=1
                                        ;     Child Loop BB219_8 Depth 2
	v_ashrrev_i32_e32 v12, 31, v11
	s_mov_b32 s6, 0
	v_lshlrev_b64 v[12:13], 2, v[11:12]
	v_add_co_u32 v12, vcc_lo, s10, v12
	v_add_co_ci_u32_e64 v13, null, s11, v13, vcc_lo
	global_load_dword v9, v[12:13], off
	v_mov_b32_e32 v12, v8
	s_waitcnt vmcnt(0)
	v_subrev_nc_u32_e32 v9, s2, v9
	v_mul_lo_u32 v19, v9, 15
.LBB219_8:                              ;   Parent Loop BB219_7 Depth=1
                                        ; =>  This Inner Loop Header: Depth=2
	v_add_nc_u32_e32 v9, -8, v12
	v_add_nc_u32_e32 v20, -6, v12
	v_mov_b32_e32 v21, v10
	v_add_nc_u32_e32 v23, -4, v12
	v_mov_b32_e32 v24, v10
	v_lshlrev_b64 v[29:30], 3, v[9:10]
	v_add_nc_u32_e32 v26, -2, v12
	v_mov_b32_e32 v27, v10
	v_lshlrev_b64 v[31:32], 3, v[20:21]
	v_mov_b32_e32 v13, v10
	v_lshlrev_b64 v[33:34], 3, v[23:24]
	v_add_nc_u32_e32 v9, s6, v19
	v_lshlrev_b64 v[35:36], 3, v[26:27]
	v_add_co_u32 v29, vcc_lo, s12, v29
	v_lshlrev_b64 v[37:38], 3, v[12:13]
	v_add_co_ci_u32_e64 v30, null, s13, v30, vcc_lo
	v_add_co_u32 v31, vcc_lo, s12, v31
	v_lshlrev_b64 v[39:40], 3, v[9:10]
	v_add_co_ci_u32_e64 v32, null, s13, v32, vcc_lo
	v_add_co_u32 v33, vcc_lo, s12, v33
	v_mov_b32_e32 v22, v10
	v_add_nc_u32_e32 v21, 1, v9
	v_add_co_ci_u32_e64 v34, null, s13, v34, vcc_lo
	v_add_co_u32 v35, vcc_lo, s12, v35
	v_mov_b32_e32 v25, v10
	v_mov_b32_e32 v28, v10
	v_add_nc_u32_e32 v24, 2, v9
	v_add_nc_u32_e32 v27, 3, v9
	v_add_co_ci_u32_e64 v36, null, s13, v36, vcc_lo
	v_add_co_u32 v37, vcc_lo, s12, v37
	v_add_co_ci_u32_e64 v38, null, s13, v38, vcc_lo
	v_lshlrev_b64 v[41:42], 3, v[21:22]
	v_add_co_u32 v39, vcc_lo, s14, v39
	v_add_co_ci_u32_e64 v40, null, s15, v40, vcc_lo
	v_lshlrev_b64 v[43:44], 3, v[24:25]
	v_lshlrev_b64 v[45:46], 3, v[27:28]
	s_clause 0x3
	global_load_dwordx4 v[20:23], v[29:30], off
	global_load_dwordx4 v[24:27], v[31:32], off
	;; [unrolled: 1-line block ×4, first 2 shown]
	global_load_dwordx2 v[49:50], v[39:40], off
	v_add_co_u32 v39, vcc_lo, s14, v41
	v_add_co_ci_u32_e64 v40, null, s15, v42, vcc_lo
	v_add_co_u32 v41, vcc_lo, s14, v43
	v_add_co_ci_u32_e64 v42, null, s15, v44, vcc_lo
	global_load_dwordx2 v[51:52], v[39:40], off
	v_add_nc_u32_e32 v9, 4, v9
	v_add_nc_u32_e32 v12, 10, v12
	global_load_dwordx2 v[41:42], v[41:42], off
	v_add_co_u32 v39, vcc_lo, s14, v45
	v_add_co_ci_u32_e64 v40, null, s15, v46, vcc_lo
	v_lshlrev_b64 v[47:48], 3, v[9:10]
	s_add_i32 s6, s6, 5
	global_load_dwordx2 v[45:46], v[39:40], off
	s_cmp_eq_u32 s6, 15
	v_add_co_u32 v43, vcc_lo, s14, v47
	v_add_co_ci_u32_e64 v44, null, s15, v48, vcc_lo
	global_load_dwordx4 v[36:39], v[37:38], off
	global_load_dwordx2 v[43:44], v[43:44], off
	s_waitcnt vmcnt(5)
	v_fmac_f32_e32 v17, v20, v49
	v_fmac_f32_e32 v14, v21, v49
	v_fmac_f32_e32 v18, v22, v49
	v_fmac_f32_e32 v15, v23, v49
	v_fma_f32 v9, -v21, v50, v17
	v_fmac_f32_e32 v14, v20, v50
	v_fma_f32 v13, -v23, v50, v18
	v_fmac_f32_e32 v15, v22, v50
	s_waitcnt vmcnt(4)
	v_fmac_f32_e32 v9, v24, v51
	v_fmac_f32_e32 v14, v25, v51
	v_fmac_f32_e32 v13, v26, v51
	v_fmac_f32_e32 v15, v27, v51
	v_fma_f32 v9, -v25, v52, v9
	v_fmac_f32_e32 v14, v24, v52
	v_fma_f32 v13, -v27, v52, v13
	v_fmac_f32_e32 v15, v26, v52
	;; [unrolled: 9-line block ×5, first 2 shown]
	s_cbranch_scc0 .LBB219_8
; %bb.9:                                ;   in Loop: Header=BB219_7 Depth=1
	v_add_nc_u32_e32 v11, 16, v11
	v_add_nc_u32_e32 v8, 0x1e0, v8
	v_cmp_ge_i32_e32 vcc_lo, v11, v16
	s_or_b32 s3, vcc_lo, s3
	s_andn2_b32 exec_lo, exec_lo, s3
	s_cbranch_execnz .LBB219_7
; %bb.10:
	s_or_b32 exec_lo, exec_lo, s3
.LBB219_11:
	s_or_b32 exec_lo, exec_lo, s1
	s_cbranch_execz .LBB219_13
	s_branch .LBB219_20
.LBB219_12:
                                        ; implicit-def: $vgpr14
                                        ; implicit-def: $vgpr17
                                        ; implicit-def: $vgpr18
                                        ; implicit-def: $vgpr15
.LBB219_13:
	v_mov_b32_e32 v14, 0
	v_mov_b32_e32 v17, 0
	;; [unrolled: 1-line block ×4, first 2 shown]
	s_and_saveexec_b32 s1, s0
	s_cbranch_execz .LBB219_19
; %bb.14:
	v_mul_lo_u32 v7, v7, 30
	v_mul_lo_u32 v9, v6, 30
	s_mul_i32 s0, s2, 30
	v_mov_b32_e32 v8, 0
	v_mov_b32_e32 v14, 0
	;; [unrolled: 1-line block ×5, first 2 shown]
	v_mad_u32_u24 v7, v0, 30, v7
	v_subrev_nc_u32_e32 v10, s0, v7
	s_mov_b32 s0, 0
.LBB219_15:                             ; =>This Loop Header: Depth=1
                                        ;     Child Loop BB219_16 Depth 2
	v_ashrrev_i32_e32 v7, 31, v6
	s_mov_b32 s3, 0
	v_lshlrev_b64 v[11:12], 2, v[6:7]
	v_add_co_u32 v11, vcc_lo, s10, v11
	v_add_co_ci_u32_e64 v12, null, s11, v12, vcc_lo
	global_load_dword v7, v[11:12], off
	s_waitcnt vmcnt(0)
	v_subrev_nc_u32_e32 v7, s2, v7
	v_mul_lo_u32 v11, v7, 15
.LBB219_16:                             ;   Parent Loop BB219_15 Depth=1
                                        ; =>  This Inner Loop Header: Depth=2
	v_add_nc_u32_e32 v7, s3, v10
	v_add_nc_u32_e32 v48, s3, v9
	v_mov_b32_e32 v13, v8
	v_mov_b32_e32 v20, v8
	;; [unrolled: 1-line block ×3, first 2 shown]
	v_lshlrev_b64 v[36:37], 3, v[7:8]
	v_add_nc_u32_e32 v7, s3, v11
	v_add_nc_u32_e32 v12, 15, v48
	;; [unrolled: 1-line block ×4, first 2 shown]
	v_mov_b32_e32 v25, v8
	v_lshlrev_b64 v[38:39], 3, v[7:8]
	v_lshlrev_b64 v[12:13], 3, v[12:13]
	v_add_nc_u32_e32 v24, 2, v48
	v_lshlrev_b64 v[40:41], 3, v[19:20]
	v_add_co_u32 v36, vcc_lo, s12, v36
	v_mov_b32_e32 v28, v8
	v_add_nc_u32_e32 v27, 17, v48
	v_lshlrev_b64 v[22:23], 3, v[22:23]
	v_add_co_ci_u32_e64 v37, null, s13, v37, vcc_lo
	v_add_co_u32 v38, vcc_lo, s14, v38
	v_mov_b32_e32 v21, v8
	v_mov_b32_e32 v30, v8
	v_add_nc_u32_e32 v29, 3, v48
	v_add_nc_u32_e32 v20, 1, v7
	v_lshlrev_b64 v[42:43], 3, v[24:25]
	v_add_co_ci_u32_e64 v39, null, s15, v39, vcc_lo
	v_add_co_u32 v12, vcc_lo, s12, v12
	v_mov_b32_e32 v33, v8
	v_add_nc_u32_e32 v32, 18, v48
	v_lshlrev_b64 v[27:28], 3, v[27:28]
	v_add_co_ci_u32_e64 v13, null, s13, v13, vcc_lo
	v_add_co_u32 v40, vcc_lo, s12, v40
	v_mov_b32_e32 v26, v8
	v_mov_b32_e32 v35, v8
	v_add_nc_u32_e32 v34, 4, v48
	v_add_nc_u32_e32 v25, 2, v7
	v_lshlrev_b64 v[44:45], 3, v[29:30]
	v_lshlrev_b64 v[19:20], 3, v[20:21]
	v_add_co_ci_u32_e64 v41, null, s13, v41, vcc_lo
	v_add_co_u32 v21, vcc_lo, s12, v22
	v_lshlrev_b64 v[32:33], 3, v[32:33]
	v_add_co_ci_u32_e64 v22, null, s13, v23, vcc_lo
	v_add_co_u32 v42, vcc_lo, s12, v42
	v_mov_b32_e32 v31, v8
	v_add_nc_u32_e32 v30, 3, v7
	v_lshlrev_b64 v[34:35], 3, v[34:35]
	v_lshlrev_b64 v[24:25], 3, v[25:26]
	v_add_co_ci_u32_e64 v43, null, s13, v43, vcc_lo
	v_add_co_u32 v26, vcc_lo, s12, v27
	v_add_co_ci_u32_e64 v27, null, s13, v28, vcc_lo
	v_add_co_u32 v44, vcc_lo, s12, v44
	v_lshlrev_b64 v[29:30], 3, v[30:31]
	v_add_co_ci_u32_e64 v45, null, s13, v45, vcc_lo
	v_add_co_u32 v31, vcc_lo, s12, v32
	global_load_dwordx2 v[36:37], v[36:37], off
	v_add_co_ci_u32_e64 v32, null, s13, v33, vcc_lo
	v_add_co_u32 v33, vcc_lo, s12, v34
	global_load_dwordx2 v[38:39], v[38:39], off
	s_clause 0x1
	global_load_dwordx2 v[12:13], v[12:13], off
	global_load_dwordx2 v[40:41], v[40:41], off
	v_add_co_ci_u32_e64 v34, null, s13, v35, vcc_lo
	v_add_co_u32 v19, vcc_lo, s14, v19
	v_add_co_ci_u32_e64 v20, null, s15, v20, vcc_lo
	s_clause 0x1
	global_load_dwordx2 v[21:22], v[21:22], off
	global_load_dwordx2 v[42:43], v[42:43], off
	v_add_co_u32 v23, vcc_lo, s14, v24
	global_load_dwordx2 v[19:20], v[19:20], off
	v_add_co_ci_u32_e64 v24, null, s15, v25, vcc_lo
	v_add_nc_u32_e32 v7, 4, v7
	s_clause 0x1
	global_load_dwordx2 v[25:26], v[26:27], off
	global_load_dwordx2 v[27:28], v[44:45], off
	v_add_co_u32 v29, vcc_lo, s14, v29
	global_load_dwordx2 v[23:24], v[23:24], off
	v_lshlrev_b64 v[46:47], 3, v[7:8]
	v_add_nc_u32_e32 v7, 19, v48
	v_add_co_ci_u32_e64 v30, null, s15, v30, vcc_lo
	global_load_dwordx2 v[31:32], v[31:32], off
	s_add_i32 s3, s3, 5
	v_lshlrev_b64 v[48:49], 3, v[7:8]
	global_load_dwordx2 v[29:30], v[29:30], off
	v_add_co_u32 v44, vcc_lo, s14, v46
	v_add_co_ci_u32_e64 v45, null, s15, v47, vcc_lo
	v_add_co_u32 v46, vcc_lo, s12, v48
	v_add_co_ci_u32_e64 v47, null, s13, v49, vcc_lo
	global_load_dwordx2 v[33:34], v[33:34], off
	global_load_dwordx2 v[44:45], v[44:45], off
	global_load_dwordx2 v[46:47], v[46:47], off
	s_cmp_eq_u32 s3, 15
	s_waitcnt vmcnt(13)
	v_fmac_f32_e32 v17, v36, v38
	v_fmac_f32_e32 v14, v37, v38
	s_waitcnt vmcnt(12)
	v_fmac_f32_e32 v18, v12, v38
	v_fmac_f32_e32 v15, v13, v38
	v_fma_f32 v7, -v37, v39, v17
	v_fmac_f32_e32 v14, v36, v39
	v_fma_f32 v13, -v13, v39, v18
	v_fmac_f32_e32 v15, v12, v39
	s_waitcnt vmcnt(8)
	v_fmac_f32_e32 v7, v40, v19
	v_fmac_f32_e32 v14, v41, v19
	v_fmac_f32_e32 v13, v21, v19
	v_fmac_f32_e32 v15, v22, v19
	v_fma_f32 v7, -v41, v20, v7
	v_fmac_f32_e32 v14, v40, v20
	v_fma_f32 v12, -v22, v20, v13
	v_fmac_f32_e32 v15, v21, v20
	s_waitcnt vmcnt(5)
	v_fmac_f32_e32 v7, v42, v23
	v_fmac_f32_e32 v14, v43, v23
	;; [unrolled: 9-line block ×4, first 2 shown]
	s_waitcnt vmcnt(0)
	v_fmac_f32_e32 v12, v46, v44
	v_fmac_f32_e32 v15, v47, v44
	v_fma_f32 v17, -v34, v45, v7
	v_fmac_f32_e32 v14, v33, v45
	v_fma_f32 v18, -v47, v45, v12
	v_fmac_f32_e32 v15, v46, v45
	s_cbranch_scc0 .LBB219_16
; %bb.17:                               ;   in Loop: Header=BB219_15 Depth=1
	v_add_nc_u32_e32 v6, 16, v6
	v_add_nc_u32_e32 v9, 0x1e0, v9
	;; [unrolled: 1-line block ×3, first 2 shown]
	v_cmp_ge_i32_e32 vcc_lo, v6, v16
	s_or_b32 s0, vcc_lo, s0
	s_andn2_b32 exec_lo, exec_lo, s0
	s_cbranch_execnz .LBB219_15
; %bb.18:
	s_or_b32 exec_lo, exec_lo, s0
.LBB219_19:
	s_or_b32 exec_lo, exec_lo, s1
.LBB219_20:
	v_mbcnt_lo_u32_b32 v6, -1, 0
	v_xor_b32_e32 v7, 8, v6
	v_xor_b32_e32 v11, 4, v6
	v_cmp_gt_i32_e32 vcc_lo, 32, v7
	v_cndmask_b32_e32 v7, v6, v7, vcc_lo
	v_cmp_gt_i32_e32 vcc_lo, 32, v11
	v_lshlrev_b32_e32 v7, 2, v7
	v_cndmask_b32_e32 v11, v6, v11, vcc_lo
	ds_bpermute_b32 v8, v7, v17
	ds_bpermute_b32 v9, v7, v14
	;; [unrolled: 1-line block ×4, first 2 shown]
	v_lshlrev_b32_e32 v11, 2, v11
	s_waitcnt lgkmcnt(3)
	v_add_f32_e32 v8, v17, v8
	s_waitcnt lgkmcnt(2)
	v_add_f32_e32 v9, v14, v9
	s_waitcnt lgkmcnt(1)
	v_add_f32_e32 v10, v18, v10
	s_waitcnt lgkmcnt(0)
	v_add_f32_e32 v7, v15, v7
	v_xor_b32_e32 v15, 2, v6
	ds_bpermute_b32 v12, v11, v8
	ds_bpermute_b32 v13, v11, v9
	;; [unrolled: 1-line block ×4, first 2 shown]
	v_cmp_gt_i32_e32 vcc_lo, 32, v15
	v_cndmask_b32_e32 v15, v6, v15, vcc_lo
	v_lshlrev_b32_e32 v15, 2, v15
	s_waitcnt lgkmcnt(3)
	v_add_f32_e32 v8, v8, v12
	s_waitcnt lgkmcnt(2)
	v_add_f32_e32 v9, v9, v13
	;; [unrolled: 2-line block ×4, first 2 shown]
	ds_bpermute_b32 v11, v15, v8
	ds_bpermute_b32 v12, v15, v9
	;; [unrolled: 1-line block ×4, first 2 shown]
	v_xor_b32_e32 v15, 1, v6
	v_cmp_gt_i32_e32 vcc_lo, 32, v15
	v_cndmask_b32_e32 v6, v6, v15, vcc_lo
	v_cmp_eq_u32_e32 vcc_lo, 15, v0
	v_lshlrev_b32_e32 v15, 2, v6
	s_waitcnt lgkmcnt(3)
	v_add_f32_e32 v8, v8, v11
	s_waitcnt lgkmcnt(2)
	v_add_f32_e32 v9, v9, v12
	;; [unrolled: 2-line block ×4, first 2 shown]
	ds_bpermute_b32 v12, v15, v8
	ds_bpermute_b32 v13, v15, v9
	;; [unrolled: 1-line block ×4, first 2 shown]
	s_and_b32 exec_lo, exec_lo, vcc_lo
	s_cbranch_execz .LBB219_25
; %bb.21:
	s_load_dwordx2 s[2:3], s[4:5], 0x38
	v_cmp_eq_f32_e32 vcc_lo, 0, v3
	v_cmp_eq_f32_e64 s0, 0, v4
	s_waitcnt lgkmcnt(0)
	v_add_f32_e32 v0, v8, v12
	v_add_f32_e32 v8, v9, v13
	v_add_f32_e32 v6, v6, v10
	v_add_f32_e32 v7, v7, v11
	s_and_b32 s0, vcc_lo, s0
	s_and_saveexec_b32 s1, s0
	s_xor_b32 s0, exec_lo, s1
	s_cbranch_execz .LBB219_23
; %bb.22:
	v_lshlrev_b32_e32 v3, 1, v5
	v_mul_f32_e64 v9, v8, -v2
	v_mul_f32_e32 v10, v1, v8
	v_mul_f32_e64 v11, v7, -v2
	v_mul_f32_e32 v12, v1, v7
	v_ashrrev_i32_e32 v4, 31, v3
	v_fmac_f32_e32 v9, v1, v0
	v_fmac_f32_e32 v10, v2, v0
	;; [unrolled: 1-line block ×4, first 2 shown]
	v_lshlrev_b64 v[3:4], 3, v[3:4]
                                        ; implicit-def: $vgpr5
                                        ; implicit-def: $vgpr8
                                        ; implicit-def: $vgpr7
                                        ; implicit-def: $vgpr6
	v_add_co_u32 v0, vcc_lo, s2, v3
	v_add_co_ci_u32_e64 v1, null, s3, v4, vcc_lo
                                        ; implicit-def: $vgpr3_vgpr4
	global_store_dwordx4 v[0:1], v[9:12], off
                                        ; implicit-def: $vgpr1_vgpr2
                                        ; implicit-def: $vgpr0
.LBB219_23:
	s_andn2_saveexec_b32 s0, s0
	s_cbranch_execz .LBB219_25
; %bb.24:
	v_lshlrev_b32_e32 v9, 1, v5
	v_mul_f32_e64 v5, v8, -v2
	v_mul_f32_e32 v14, v1, v8
	v_mul_f32_e64 v8, v7, -v2
	v_mul_f32_e32 v16, v1, v7
	v_ashrrev_i32_e32 v10, 31, v9
	v_fmac_f32_e32 v5, v1, v0
	v_fmac_f32_e32 v14, v2, v0
	;; [unrolled: 1-line block ×4, first 2 shown]
	v_lshlrev_b64 v[9:10], 3, v[9:10]
	v_add_co_u32 v17, vcc_lo, s2, v9
	v_add_co_ci_u32_e64 v18, null, s3, v10, vcc_lo
	global_load_dwordx4 v[9:12], v[17:18], off
	s_waitcnt vmcnt(0)
	v_fmac_f32_e32 v5, v3, v9
	v_fmac_f32_e32 v14, v4, v9
	v_fmac_f32_e32 v8, v3, v11
	v_fmac_f32_e32 v16, v4, v11
	v_fma_f32 v13, -v4, v10, v5
	v_fmac_f32_e32 v14, v3, v10
	v_fma_f32 v15, -v4, v12, v8
	v_fmac_f32_e32 v16, v3, v12
	global_store_dwordx4 v[17:18], v[13:16], off
.LBB219_25:
	s_endpgm
	.section	.rodata,"a",@progbits
	.p2align	6, 0x0
	.amdhsa_kernel _ZN9rocsparseL19gebsrmvn_2xn_kernelILj128ELj15ELj16E21rocsparse_complex_numIfEEEvi20rocsparse_direction_NS_24const_host_device_scalarIT2_EEPKiS8_PKS5_SA_S6_PS5_21rocsparse_index_base_b
		.amdhsa_group_segment_fixed_size 0
		.amdhsa_private_segment_fixed_size 0
		.amdhsa_kernarg_size 72
		.amdhsa_user_sgpr_count 6
		.amdhsa_user_sgpr_private_segment_buffer 1
		.amdhsa_user_sgpr_dispatch_ptr 0
		.amdhsa_user_sgpr_queue_ptr 0
		.amdhsa_user_sgpr_kernarg_segment_ptr 1
		.amdhsa_user_sgpr_dispatch_id 0
		.amdhsa_user_sgpr_flat_scratch_init 0
		.amdhsa_user_sgpr_private_segment_size 0
		.amdhsa_wavefront_size32 1
		.amdhsa_uses_dynamic_stack 0
		.amdhsa_system_sgpr_private_segment_wavefront_offset 0
		.amdhsa_system_sgpr_workgroup_id_x 1
		.amdhsa_system_sgpr_workgroup_id_y 0
		.amdhsa_system_sgpr_workgroup_id_z 0
		.amdhsa_system_sgpr_workgroup_info 0
		.amdhsa_system_vgpr_workitem_id 0
		.amdhsa_next_free_vgpr 53
		.amdhsa_next_free_sgpr 16
		.amdhsa_reserve_vcc 1
		.amdhsa_reserve_flat_scratch 0
		.amdhsa_float_round_mode_32 0
		.amdhsa_float_round_mode_16_64 0
		.amdhsa_float_denorm_mode_32 3
		.amdhsa_float_denorm_mode_16_64 3
		.amdhsa_dx10_clamp 1
		.amdhsa_ieee_mode 1
		.amdhsa_fp16_overflow 0
		.amdhsa_workgroup_processor_mode 1
		.amdhsa_memory_ordered 1
		.amdhsa_forward_progress 1
		.amdhsa_shared_vgpr_count 0
		.amdhsa_exception_fp_ieee_invalid_op 0
		.amdhsa_exception_fp_denorm_src 0
		.amdhsa_exception_fp_ieee_div_zero 0
		.amdhsa_exception_fp_ieee_overflow 0
		.amdhsa_exception_fp_ieee_underflow 0
		.amdhsa_exception_fp_ieee_inexact 0
		.amdhsa_exception_int_div_zero 0
	.end_amdhsa_kernel
	.section	.text._ZN9rocsparseL19gebsrmvn_2xn_kernelILj128ELj15ELj16E21rocsparse_complex_numIfEEEvi20rocsparse_direction_NS_24const_host_device_scalarIT2_EEPKiS8_PKS5_SA_S6_PS5_21rocsparse_index_base_b,"axG",@progbits,_ZN9rocsparseL19gebsrmvn_2xn_kernelILj128ELj15ELj16E21rocsparse_complex_numIfEEEvi20rocsparse_direction_NS_24const_host_device_scalarIT2_EEPKiS8_PKS5_SA_S6_PS5_21rocsparse_index_base_b,comdat
.Lfunc_end219:
	.size	_ZN9rocsparseL19gebsrmvn_2xn_kernelILj128ELj15ELj16E21rocsparse_complex_numIfEEEvi20rocsparse_direction_NS_24const_host_device_scalarIT2_EEPKiS8_PKS5_SA_S6_PS5_21rocsparse_index_base_b, .Lfunc_end219-_ZN9rocsparseL19gebsrmvn_2xn_kernelILj128ELj15ELj16E21rocsparse_complex_numIfEEEvi20rocsparse_direction_NS_24const_host_device_scalarIT2_EEPKiS8_PKS5_SA_S6_PS5_21rocsparse_index_base_b
                                        ; -- End function
	.set _ZN9rocsparseL19gebsrmvn_2xn_kernelILj128ELj15ELj16E21rocsparse_complex_numIfEEEvi20rocsparse_direction_NS_24const_host_device_scalarIT2_EEPKiS8_PKS5_SA_S6_PS5_21rocsparse_index_base_b.num_vgpr, 53
	.set _ZN9rocsparseL19gebsrmvn_2xn_kernelILj128ELj15ELj16E21rocsparse_complex_numIfEEEvi20rocsparse_direction_NS_24const_host_device_scalarIT2_EEPKiS8_PKS5_SA_S6_PS5_21rocsparse_index_base_b.num_agpr, 0
	.set _ZN9rocsparseL19gebsrmvn_2xn_kernelILj128ELj15ELj16E21rocsparse_complex_numIfEEEvi20rocsparse_direction_NS_24const_host_device_scalarIT2_EEPKiS8_PKS5_SA_S6_PS5_21rocsparse_index_base_b.numbered_sgpr, 16
	.set _ZN9rocsparseL19gebsrmvn_2xn_kernelILj128ELj15ELj16E21rocsparse_complex_numIfEEEvi20rocsparse_direction_NS_24const_host_device_scalarIT2_EEPKiS8_PKS5_SA_S6_PS5_21rocsparse_index_base_b.num_named_barrier, 0
	.set _ZN9rocsparseL19gebsrmvn_2xn_kernelILj128ELj15ELj16E21rocsparse_complex_numIfEEEvi20rocsparse_direction_NS_24const_host_device_scalarIT2_EEPKiS8_PKS5_SA_S6_PS5_21rocsparse_index_base_b.private_seg_size, 0
	.set _ZN9rocsparseL19gebsrmvn_2xn_kernelILj128ELj15ELj16E21rocsparse_complex_numIfEEEvi20rocsparse_direction_NS_24const_host_device_scalarIT2_EEPKiS8_PKS5_SA_S6_PS5_21rocsparse_index_base_b.uses_vcc, 1
	.set _ZN9rocsparseL19gebsrmvn_2xn_kernelILj128ELj15ELj16E21rocsparse_complex_numIfEEEvi20rocsparse_direction_NS_24const_host_device_scalarIT2_EEPKiS8_PKS5_SA_S6_PS5_21rocsparse_index_base_b.uses_flat_scratch, 0
	.set _ZN9rocsparseL19gebsrmvn_2xn_kernelILj128ELj15ELj16E21rocsparse_complex_numIfEEEvi20rocsparse_direction_NS_24const_host_device_scalarIT2_EEPKiS8_PKS5_SA_S6_PS5_21rocsparse_index_base_b.has_dyn_sized_stack, 0
	.set _ZN9rocsparseL19gebsrmvn_2xn_kernelILj128ELj15ELj16E21rocsparse_complex_numIfEEEvi20rocsparse_direction_NS_24const_host_device_scalarIT2_EEPKiS8_PKS5_SA_S6_PS5_21rocsparse_index_base_b.has_recursion, 0
	.set _ZN9rocsparseL19gebsrmvn_2xn_kernelILj128ELj15ELj16E21rocsparse_complex_numIfEEEvi20rocsparse_direction_NS_24const_host_device_scalarIT2_EEPKiS8_PKS5_SA_S6_PS5_21rocsparse_index_base_b.has_indirect_call, 0
	.section	.AMDGPU.csdata,"",@progbits
; Kernel info:
; codeLenInByte = 2684
; TotalNumSgprs: 18
; NumVgprs: 53
; ScratchSize: 0
; MemoryBound: 0
; FloatMode: 240
; IeeeMode: 1
; LDSByteSize: 0 bytes/workgroup (compile time only)
; SGPRBlocks: 0
; VGPRBlocks: 6
; NumSGPRsForWavesPerEU: 18
; NumVGPRsForWavesPerEU: 53
; Occupancy: 16
; WaveLimiterHint : 1
; COMPUTE_PGM_RSRC2:SCRATCH_EN: 0
; COMPUTE_PGM_RSRC2:USER_SGPR: 6
; COMPUTE_PGM_RSRC2:TRAP_HANDLER: 0
; COMPUTE_PGM_RSRC2:TGID_X_EN: 1
; COMPUTE_PGM_RSRC2:TGID_Y_EN: 0
; COMPUTE_PGM_RSRC2:TGID_Z_EN: 0
; COMPUTE_PGM_RSRC2:TIDIG_COMP_CNT: 0
	.section	.text._ZN9rocsparseL19gebsrmvn_2xn_kernelILj128ELj15ELj32E21rocsparse_complex_numIfEEEvi20rocsparse_direction_NS_24const_host_device_scalarIT2_EEPKiS8_PKS5_SA_S6_PS5_21rocsparse_index_base_b,"axG",@progbits,_ZN9rocsparseL19gebsrmvn_2xn_kernelILj128ELj15ELj32E21rocsparse_complex_numIfEEEvi20rocsparse_direction_NS_24const_host_device_scalarIT2_EEPKiS8_PKS5_SA_S6_PS5_21rocsparse_index_base_b,comdat
	.globl	_ZN9rocsparseL19gebsrmvn_2xn_kernelILj128ELj15ELj32E21rocsparse_complex_numIfEEEvi20rocsparse_direction_NS_24const_host_device_scalarIT2_EEPKiS8_PKS5_SA_S6_PS5_21rocsparse_index_base_b ; -- Begin function _ZN9rocsparseL19gebsrmvn_2xn_kernelILj128ELj15ELj32E21rocsparse_complex_numIfEEEvi20rocsparse_direction_NS_24const_host_device_scalarIT2_EEPKiS8_PKS5_SA_S6_PS5_21rocsparse_index_base_b
	.p2align	8
	.type	_ZN9rocsparseL19gebsrmvn_2xn_kernelILj128ELj15ELj32E21rocsparse_complex_numIfEEEvi20rocsparse_direction_NS_24const_host_device_scalarIT2_EEPKiS8_PKS5_SA_S6_PS5_21rocsparse_index_base_b,@function
_ZN9rocsparseL19gebsrmvn_2xn_kernelILj128ELj15ELj32E21rocsparse_complex_numIfEEEvi20rocsparse_direction_NS_24const_host_device_scalarIT2_EEPKiS8_PKS5_SA_S6_PS5_21rocsparse_index_base_b: ; @_ZN9rocsparseL19gebsrmvn_2xn_kernelILj128ELj15ELj32E21rocsparse_complex_numIfEEEvi20rocsparse_direction_NS_24const_host_device_scalarIT2_EEPKiS8_PKS5_SA_S6_PS5_21rocsparse_index_base_b
; %bb.0:
	s_clause 0x2
	s_load_dwordx2 s[2:3], s[4:5], 0x40
	s_load_dwordx2 s[0:1], s[4:5], 0x8
	s_load_dwordx2 s[8:9], s[4:5], 0x30
	s_add_u32 s7, s4, 8
	s_addc_u32 s10, s5, 0
	s_add_u32 s11, s4, 48
	s_addc_u32 s12, s5, 0
	s_waitcnt lgkmcnt(0)
	s_bitcmp1_b32 s3, 0
	s_cselect_b32 s0, s7, s0
	s_cselect_b32 s1, s10, s1
	v_mov_b32_e32 v1, s0
	v_mov_b32_e32 v2, s1
	s_cselect_b32 s0, s11, s8
	s_cselect_b32 s1, s12, s9
	v_mov_b32_e32 v3, s0
	v_mov_b32_e32 v4, s1
	flat_load_dwordx2 v[1:2], v[1:2]
	flat_load_dwordx2 v[3:4], v[3:4]
	s_waitcnt vmcnt(1) lgkmcnt(1)
	v_cmp_eq_f32_e32 vcc_lo, 0, v1
	v_cmp_eq_f32_e64 s0, 0, v2
	s_and_b32 s3, vcc_lo, s0
	s_mov_b32 s0, -1
	s_and_saveexec_b32 s1, s3
	s_cbranch_execz .LBB220_2
; %bb.1:
	s_waitcnt vmcnt(0) lgkmcnt(0)
	v_cmp_neq_f32_e32 vcc_lo, 1.0, v3
	v_cmp_neq_f32_e64 s0, 0, v4
	s_or_b32 s0, vcc_lo, s0
	s_orn2_b32 s0, s0, exec_lo
.LBB220_2:
	s_or_b32 exec_lo, exec_lo, s1
	s_and_saveexec_b32 s1, s0
	s_cbranch_execz .LBB220_25
; %bb.3:
	s_load_dwordx2 s[0:1], s[4:5], 0x0
	v_lshrrev_b32_e32 v5, 5, v0
	v_lshl_or_b32 v5, s6, 2, v5
	s_waitcnt lgkmcnt(0)
	v_cmp_gt_i32_e32 vcc_lo, s0, v5
	s_and_b32 exec_lo, exec_lo, vcc_lo
	s_cbranch_execz .LBB220_25
; %bb.4:
	s_load_dwordx8 s[8:15], s[4:5], 0x10
	v_ashrrev_i32_e32 v6, 31, v5
	v_and_b32_e32 v0, 31, v0
	s_cmp_lg_u32 s1, 0
	v_lshlrev_b64 v[6:7], 2, v[5:6]
	s_waitcnt lgkmcnt(0)
	v_add_co_u32 v6, vcc_lo, s8, v6
	v_add_co_ci_u32_e64 v7, null, s9, v7, vcc_lo
	global_load_dwordx2 v[7:8], v[6:7], off
	s_waitcnt vmcnt(0)
	v_subrev_nc_u32_e32 v6, s2, v7
	v_subrev_nc_u32_e32 v16, s2, v8
	v_add_nc_u32_e32 v6, v6, v0
	v_cmp_lt_i32_e64 s0, v6, v16
	s_cbranch_scc0 .LBB220_12
; %bb.5:
	v_mov_b32_e32 v14, 0
	v_mov_b32_e32 v17, 0
	;; [unrolled: 1-line block ×4, first 2 shown]
	s_and_saveexec_b32 s1, s0
	s_cbranch_execz .LBB220_11
; %bb.6:
	v_mad_u64_u32 v[8:9], null, v6, 30, 8
	v_mov_b32_e32 v10, 0
	v_mov_b32_e32 v11, v6
	;; [unrolled: 1-line block ×6, first 2 shown]
	s_mov_b32 s3, 0
.LBB220_7:                              ; =>This Loop Header: Depth=1
                                        ;     Child Loop BB220_8 Depth 2
	v_ashrrev_i32_e32 v12, 31, v11
	s_mov_b32 s6, 0
	v_lshlrev_b64 v[12:13], 2, v[11:12]
	v_add_co_u32 v12, vcc_lo, s10, v12
	v_add_co_ci_u32_e64 v13, null, s11, v13, vcc_lo
	global_load_dword v9, v[12:13], off
	v_mov_b32_e32 v12, v8
	s_waitcnt vmcnt(0)
	v_subrev_nc_u32_e32 v9, s2, v9
	v_mul_lo_u32 v19, v9, 15
.LBB220_8:                              ;   Parent Loop BB220_7 Depth=1
                                        ; =>  This Inner Loop Header: Depth=2
	v_add_nc_u32_e32 v9, -8, v12
	v_add_nc_u32_e32 v20, -6, v12
	v_mov_b32_e32 v21, v10
	v_add_nc_u32_e32 v23, -4, v12
	v_mov_b32_e32 v24, v10
	v_lshlrev_b64 v[29:30], 3, v[9:10]
	v_add_nc_u32_e32 v26, -2, v12
	v_mov_b32_e32 v27, v10
	v_lshlrev_b64 v[31:32], 3, v[20:21]
	v_mov_b32_e32 v13, v10
	v_lshlrev_b64 v[33:34], 3, v[23:24]
	v_add_nc_u32_e32 v9, s6, v19
	v_lshlrev_b64 v[35:36], 3, v[26:27]
	v_add_co_u32 v29, vcc_lo, s12, v29
	v_lshlrev_b64 v[37:38], 3, v[12:13]
	v_add_co_ci_u32_e64 v30, null, s13, v30, vcc_lo
	v_add_co_u32 v31, vcc_lo, s12, v31
	v_lshlrev_b64 v[39:40], 3, v[9:10]
	v_add_co_ci_u32_e64 v32, null, s13, v32, vcc_lo
	v_add_co_u32 v33, vcc_lo, s12, v33
	v_mov_b32_e32 v22, v10
	v_add_nc_u32_e32 v21, 1, v9
	v_add_co_ci_u32_e64 v34, null, s13, v34, vcc_lo
	v_add_co_u32 v35, vcc_lo, s12, v35
	v_mov_b32_e32 v25, v10
	v_mov_b32_e32 v28, v10
	v_add_nc_u32_e32 v24, 2, v9
	v_add_nc_u32_e32 v27, 3, v9
	v_add_co_ci_u32_e64 v36, null, s13, v36, vcc_lo
	v_add_co_u32 v37, vcc_lo, s12, v37
	v_add_co_ci_u32_e64 v38, null, s13, v38, vcc_lo
	v_lshlrev_b64 v[41:42], 3, v[21:22]
	v_add_co_u32 v39, vcc_lo, s14, v39
	v_add_co_ci_u32_e64 v40, null, s15, v40, vcc_lo
	v_lshlrev_b64 v[43:44], 3, v[24:25]
	v_lshlrev_b64 v[45:46], 3, v[27:28]
	s_clause 0x3
	global_load_dwordx4 v[20:23], v[29:30], off
	global_load_dwordx4 v[24:27], v[31:32], off
	global_load_dwordx4 v[28:31], v[33:34], off
	global_load_dwordx4 v[32:35], v[35:36], off
	global_load_dwordx2 v[49:50], v[39:40], off
	v_add_co_u32 v39, vcc_lo, s14, v41
	v_add_co_ci_u32_e64 v40, null, s15, v42, vcc_lo
	v_add_co_u32 v41, vcc_lo, s14, v43
	v_add_co_ci_u32_e64 v42, null, s15, v44, vcc_lo
	global_load_dwordx2 v[51:52], v[39:40], off
	v_add_nc_u32_e32 v9, 4, v9
	v_add_nc_u32_e32 v12, 10, v12
	global_load_dwordx2 v[41:42], v[41:42], off
	v_add_co_u32 v39, vcc_lo, s14, v45
	v_add_co_ci_u32_e64 v40, null, s15, v46, vcc_lo
	v_lshlrev_b64 v[47:48], 3, v[9:10]
	s_add_i32 s6, s6, 5
	global_load_dwordx2 v[45:46], v[39:40], off
	s_cmp_eq_u32 s6, 15
	v_add_co_u32 v43, vcc_lo, s14, v47
	v_add_co_ci_u32_e64 v44, null, s15, v48, vcc_lo
	global_load_dwordx4 v[36:39], v[37:38], off
	global_load_dwordx2 v[43:44], v[43:44], off
	s_waitcnt vmcnt(5)
	v_fmac_f32_e32 v17, v20, v49
	v_fmac_f32_e32 v14, v21, v49
	v_fmac_f32_e32 v18, v22, v49
	v_fmac_f32_e32 v15, v23, v49
	v_fma_f32 v9, -v21, v50, v17
	v_fmac_f32_e32 v14, v20, v50
	v_fma_f32 v13, -v23, v50, v18
	v_fmac_f32_e32 v15, v22, v50
	s_waitcnt vmcnt(4)
	v_fmac_f32_e32 v9, v24, v51
	v_fmac_f32_e32 v14, v25, v51
	v_fmac_f32_e32 v13, v26, v51
	v_fmac_f32_e32 v15, v27, v51
	v_fma_f32 v9, -v25, v52, v9
	v_fmac_f32_e32 v14, v24, v52
	v_fma_f32 v13, -v27, v52, v13
	v_fmac_f32_e32 v15, v26, v52
	;; [unrolled: 9-line block ×5, first 2 shown]
	s_cbranch_scc0 .LBB220_8
; %bb.9:                                ;   in Loop: Header=BB220_7 Depth=1
	v_add_nc_u32_e32 v11, 32, v11
	v_add_nc_u32_e32 v8, 0x3c0, v8
	v_cmp_ge_i32_e32 vcc_lo, v11, v16
	s_or_b32 s3, vcc_lo, s3
	s_andn2_b32 exec_lo, exec_lo, s3
	s_cbranch_execnz .LBB220_7
; %bb.10:
	s_or_b32 exec_lo, exec_lo, s3
.LBB220_11:
	s_or_b32 exec_lo, exec_lo, s1
	s_cbranch_execz .LBB220_13
	s_branch .LBB220_20
.LBB220_12:
                                        ; implicit-def: $vgpr14
                                        ; implicit-def: $vgpr17
                                        ; implicit-def: $vgpr18
                                        ; implicit-def: $vgpr15
.LBB220_13:
	v_mov_b32_e32 v14, 0
	v_mov_b32_e32 v17, 0
	;; [unrolled: 1-line block ×4, first 2 shown]
	s_and_saveexec_b32 s1, s0
	s_cbranch_execz .LBB220_19
; %bb.14:
	v_mul_lo_u32 v7, v7, 30
	v_mul_lo_u32 v9, v6, 30
	s_mul_i32 s0, s2, 30
	v_mov_b32_e32 v8, 0
	v_mov_b32_e32 v14, 0
	;; [unrolled: 1-line block ×5, first 2 shown]
	v_mad_u32_u24 v7, v0, 30, v7
	v_subrev_nc_u32_e32 v10, s0, v7
	s_mov_b32 s0, 0
.LBB220_15:                             ; =>This Loop Header: Depth=1
                                        ;     Child Loop BB220_16 Depth 2
	v_ashrrev_i32_e32 v7, 31, v6
	s_mov_b32 s3, 0
	v_lshlrev_b64 v[11:12], 2, v[6:7]
	v_add_co_u32 v11, vcc_lo, s10, v11
	v_add_co_ci_u32_e64 v12, null, s11, v12, vcc_lo
	global_load_dword v7, v[11:12], off
	s_waitcnt vmcnt(0)
	v_subrev_nc_u32_e32 v7, s2, v7
	v_mul_lo_u32 v11, v7, 15
.LBB220_16:                             ;   Parent Loop BB220_15 Depth=1
                                        ; =>  This Inner Loop Header: Depth=2
	v_add_nc_u32_e32 v7, s3, v10
	v_add_nc_u32_e32 v48, s3, v9
	v_mov_b32_e32 v13, v8
	v_mov_b32_e32 v20, v8
	;; [unrolled: 1-line block ×3, first 2 shown]
	v_lshlrev_b64 v[36:37], 3, v[7:8]
	v_add_nc_u32_e32 v7, s3, v11
	v_add_nc_u32_e32 v12, 15, v48
	v_add_nc_u32_e32 v19, 1, v48
	v_add_nc_u32_e32 v22, 16, v48
	v_mov_b32_e32 v25, v8
	v_lshlrev_b64 v[38:39], 3, v[7:8]
	v_lshlrev_b64 v[12:13], 3, v[12:13]
	v_add_nc_u32_e32 v24, 2, v48
	v_lshlrev_b64 v[40:41], 3, v[19:20]
	v_add_co_u32 v36, vcc_lo, s12, v36
	v_mov_b32_e32 v28, v8
	v_add_nc_u32_e32 v27, 17, v48
	v_lshlrev_b64 v[22:23], 3, v[22:23]
	v_add_co_ci_u32_e64 v37, null, s13, v37, vcc_lo
	v_add_co_u32 v38, vcc_lo, s14, v38
	v_mov_b32_e32 v21, v8
	v_mov_b32_e32 v30, v8
	v_add_nc_u32_e32 v29, 3, v48
	v_add_nc_u32_e32 v20, 1, v7
	v_lshlrev_b64 v[42:43], 3, v[24:25]
	v_add_co_ci_u32_e64 v39, null, s15, v39, vcc_lo
	v_add_co_u32 v12, vcc_lo, s12, v12
	v_mov_b32_e32 v33, v8
	v_add_nc_u32_e32 v32, 18, v48
	v_lshlrev_b64 v[27:28], 3, v[27:28]
	v_add_co_ci_u32_e64 v13, null, s13, v13, vcc_lo
	v_add_co_u32 v40, vcc_lo, s12, v40
	v_mov_b32_e32 v26, v8
	v_mov_b32_e32 v35, v8
	v_add_nc_u32_e32 v34, 4, v48
	v_add_nc_u32_e32 v25, 2, v7
	v_lshlrev_b64 v[44:45], 3, v[29:30]
	v_lshlrev_b64 v[19:20], 3, v[20:21]
	v_add_co_ci_u32_e64 v41, null, s13, v41, vcc_lo
	v_add_co_u32 v21, vcc_lo, s12, v22
	v_lshlrev_b64 v[32:33], 3, v[32:33]
	v_add_co_ci_u32_e64 v22, null, s13, v23, vcc_lo
	v_add_co_u32 v42, vcc_lo, s12, v42
	v_mov_b32_e32 v31, v8
	v_add_nc_u32_e32 v30, 3, v7
	v_lshlrev_b64 v[34:35], 3, v[34:35]
	v_lshlrev_b64 v[24:25], 3, v[25:26]
	v_add_co_ci_u32_e64 v43, null, s13, v43, vcc_lo
	v_add_co_u32 v26, vcc_lo, s12, v27
	v_add_co_ci_u32_e64 v27, null, s13, v28, vcc_lo
	v_add_co_u32 v44, vcc_lo, s12, v44
	v_lshlrev_b64 v[29:30], 3, v[30:31]
	v_add_co_ci_u32_e64 v45, null, s13, v45, vcc_lo
	v_add_co_u32 v31, vcc_lo, s12, v32
	global_load_dwordx2 v[36:37], v[36:37], off
	v_add_co_ci_u32_e64 v32, null, s13, v33, vcc_lo
	v_add_co_u32 v33, vcc_lo, s12, v34
	global_load_dwordx2 v[38:39], v[38:39], off
	s_clause 0x1
	global_load_dwordx2 v[12:13], v[12:13], off
	global_load_dwordx2 v[40:41], v[40:41], off
	v_add_co_ci_u32_e64 v34, null, s13, v35, vcc_lo
	v_add_co_u32 v19, vcc_lo, s14, v19
	v_add_co_ci_u32_e64 v20, null, s15, v20, vcc_lo
	s_clause 0x1
	global_load_dwordx2 v[21:22], v[21:22], off
	global_load_dwordx2 v[42:43], v[42:43], off
	v_add_co_u32 v23, vcc_lo, s14, v24
	global_load_dwordx2 v[19:20], v[19:20], off
	v_add_co_ci_u32_e64 v24, null, s15, v25, vcc_lo
	v_add_nc_u32_e32 v7, 4, v7
	s_clause 0x1
	global_load_dwordx2 v[25:26], v[26:27], off
	global_load_dwordx2 v[27:28], v[44:45], off
	v_add_co_u32 v29, vcc_lo, s14, v29
	global_load_dwordx2 v[23:24], v[23:24], off
	v_lshlrev_b64 v[46:47], 3, v[7:8]
	v_add_nc_u32_e32 v7, 19, v48
	v_add_co_ci_u32_e64 v30, null, s15, v30, vcc_lo
	global_load_dwordx2 v[31:32], v[31:32], off
	s_add_i32 s3, s3, 5
	v_lshlrev_b64 v[48:49], 3, v[7:8]
	global_load_dwordx2 v[29:30], v[29:30], off
	v_add_co_u32 v44, vcc_lo, s14, v46
	v_add_co_ci_u32_e64 v45, null, s15, v47, vcc_lo
	v_add_co_u32 v46, vcc_lo, s12, v48
	v_add_co_ci_u32_e64 v47, null, s13, v49, vcc_lo
	global_load_dwordx2 v[33:34], v[33:34], off
	global_load_dwordx2 v[44:45], v[44:45], off
	;; [unrolled: 1-line block ×3, first 2 shown]
	s_cmp_eq_u32 s3, 15
	s_waitcnt vmcnt(13)
	v_fmac_f32_e32 v17, v36, v38
	v_fmac_f32_e32 v14, v37, v38
	s_waitcnt vmcnt(12)
	v_fmac_f32_e32 v18, v12, v38
	v_fmac_f32_e32 v15, v13, v38
	v_fma_f32 v7, -v37, v39, v17
	v_fmac_f32_e32 v14, v36, v39
	v_fma_f32 v13, -v13, v39, v18
	v_fmac_f32_e32 v15, v12, v39
	s_waitcnt vmcnt(8)
	v_fmac_f32_e32 v7, v40, v19
	v_fmac_f32_e32 v14, v41, v19
	v_fmac_f32_e32 v13, v21, v19
	v_fmac_f32_e32 v15, v22, v19
	v_fma_f32 v7, -v41, v20, v7
	v_fmac_f32_e32 v14, v40, v20
	v_fma_f32 v12, -v22, v20, v13
	v_fmac_f32_e32 v15, v21, v20
	s_waitcnt vmcnt(5)
	v_fmac_f32_e32 v7, v42, v23
	v_fmac_f32_e32 v14, v43, v23
	;; [unrolled: 9-line block ×4, first 2 shown]
	s_waitcnt vmcnt(0)
	v_fmac_f32_e32 v12, v46, v44
	v_fmac_f32_e32 v15, v47, v44
	v_fma_f32 v17, -v34, v45, v7
	v_fmac_f32_e32 v14, v33, v45
	v_fma_f32 v18, -v47, v45, v12
	v_fmac_f32_e32 v15, v46, v45
	s_cbranch_scc0 .LBB220_16
; %bb.17:                               ;   in Loop: Header=BB220_15 Depth=1
	v_add_nc_u32_e32 v6, 32, v6
	v_add_nc_u32_e32 v9, 0x3c0, v9
	v_add_nc_u32_e32 v10, 0x3c0, v10
	v_cmp_ge_i32_e32 vcc_lo, v6, v16
	s_or_b32 s0, vcc_lo, s0
	s_andn2_b32 exec_lo, exec_lo, s0
	s_cbranch_execnz .LBB220_15
; %bb.18:
	s_or_b32 exec_lo, exec_lo, s0
.LBB220_19:
	s_or_b32 exec_lo, exec_lo, s1
.LBB220_20:
	v_mbcnt_lo_u32_b32 v6, -1, 0
	v_xor_b32_e32 v7, 16, v6
	v_xor_b32_e32 v11, 8, v6
	v_cmp_gt_i32_e32 vcc_lo, 32, v7
	v_cndmask_b32_e32 v7, v6, v7, vcc_lo
	v_cmp_gt_i32_e32 vcc_lo, 32, v11
	v_lshlrev_b32_e32 v7, 2, v7
	v_cndmask_b32_e32 v11, v6, v11, vcc_lo
	ds_bpermute_b32 v8, v7, v17
	ds_bpermute_b32 v9, v7, v14
	;; [unrolled: 1-line block ×4, first 2 shown]
	v_lshlrev_b32_e32 v11, 2, v11
	s_waitcnt lgkmcnt(3)
	v_add_f32_e32 v8, v17, v8
	s_waitcnt lgkmcnt(2)
	v_add_f32_e32 v9, v14, v9
	;; [unrolled: 2-line block ×4, first 2 shown]
	v_xor_b32_e32 v15, 4, v6
	ds_bpermute_b32 v12, v11, v8
	ds_bpermute_b32 v13, v11, v9
	;; [unrolled: 1-line block ×4, first 2 shown]
	v_cmp_gt_i32_e32 vcc_lo, 32, v15
	v_cndmask_b32_e32 v15, v6, v15, vcc_lo
	v_lshlrev_b32_e32 v15, 2, v15
	s_waitcnt lgkmcnt(3)
	v_add_f32_e32 v8, v8, v12
	s_waitcnt lgkmcnt(2)
	v_add_f32_e32 v9, v9, v13
	;; [unrolled: 2-line block ×4, first 2 shown]
	ds_bpermute_b32 v11, v15, v8
	ds_bpermute_b32 v12, v15, v9
	;; [unrolled: 1-line block ×4, first 2 shown]
	v_xor_b32_e32 v15, 2, v6
	v_cmp_gt_i32_e32 vcc_lo, 32, v15
	v_cndmask_b32_e32 v15, v6, v15, vcc_lo
	v_lshlrev_b32_e32 v15, 2, v15
	s_waitcnt lgkmcnt(3)
	v_add_f32_e32 v8, v8, v11
	s_waitcnt lgkmcnt(2)
	v_add_f32_e32 v9, v9, v12
	;; [unrolled: 2-line block ×4, first 2 shown]
	ds_bpermute_b32 v11, v15, v8
	ds_bpermute_b32 v12, v15, v9
	;; [unrolled: 1-line block ×4, first 2 shown]
	v_xor_b32_e32 v15, 1, v6
	v_cmp_gt_i32_e32 vcc_lo, 32, v15
	v_cndmask_b32_e32 v6, v6, v15, vcc_lo
	v_cmp_eq_u32_e32 vcc_lo, 31, v0
	v_lshlrev_b32_e32 v15, 2, v6
	s_waitcnt lgkmcnt(3)
	v_add_f32_e32 v8, v8, v11
	s_waitcnt lgkmcnt(2)
	v_add_f32_e32 v9, v9, v12
	;; [unrolled: 2-line block ×4, first 2 shown]
	ds_bpermute_b32 v12, v15, v8
	ds_bpermute_b32 v13, v15, v9
	ds_bpermute_b32 v10, v15, v6
	ds_bpermute_b32 v11, v15, v7
	s_and_b32 exec_lo, exec_lo, vcc_lo
	s_cbranch_execz .LBB220_25
; %bb.21:
	s_load_dwordx2 s[2:3], s[4:5], 0x38
	v_cmp_eq_f32_e32 vcc_lo, 0, v3
	v_cmp_eq_f32_e64 s0, 0, v4
	s_waitcnt lgkmcnt(0)
	v_add_f32_e32 v0, v8, v12
	v_add_f32_e32 v8, v9, v13
	;; [unrolled: 1-line block ×4, first 2 shown]
	s_and_b32 s0, vcc_lo, s0
	s_and_saveexec_b32 s1, s0
	s_xor_b32 s0, exec_lo, s1
	s_cbranch_execz .LBB220_23
; %bb.22:
	v_lshlrev_b32_e32 v3, 1, v5
	v_mul_f32_e64 v9, v8, -v2
	v_mul_f32_e32 v10, v1, v8
	v_mul_f32_e64 v11, v7, -v2
	v_mul_f32_e32 v12, v1, v7
	v_ashrrev_i32_e32 v4, 31, v3
	v_fmac_f32_e32 v9, v1, v0
	v_fmac_f32_e32 v10, v2, v0
	;; [unrolled: 1-line block ×4, first 2 shown]
	v_lshlrev_b64 v[3:4], 3, v[3:4]
                                        ; implicit-def: $vgpr5
                                        ; implicit-def: $vgpr8
                                        ; implicit-def: $vgpr7
                                        ; implicit-def: $vgpr6
	v_add_co_u32 v0, vcc_lo, s2, v3
	v_add_co_ci_u32_e64 v1, null, s3, v4, vcc_lo
                                        ; implicit-def: $vgpr3_vgpr4
	global_store_dwordx4 v[0:1], v[9:12], off
                                        ; implicit-def: $vgpr1_vgpr2
                                        ; implicit-def: $vgpr0
.LBB220_23:
	s_andn2_saveexec_b32 s0, s0
	s_cbranch_execz .LBB220_25
; %bb.24:
	v_lshlrev_b32_e32 v9, 1, v5
	v_mul_f32_e64 v5, v8, -v2
	v_mul_f32_e32 v14, v1, v8
	v_mul_f32_e64 v8, v7, -v2
	v_mul_f32_e32 v16, v1, v7
	v_ashrrev_i32_e32 v10, 31, v9
	v_fmac_f32_e32 v5, v1, v0
	v_fmac_f32_e32 v14, v2, v0
	;; [unrolled: 1-line block ×4, first 2 shown]
	v_lshlrev_b64 v[9:10], 3, v[9:10]
	v_add_co_u32 v17, vcc_lo, s2, v9
	v_add_co_ci_u32_e64 v18, null, s3, v10, vcc_lo
	global_load_dwordx4 v[9:12], v[17:18], off
	s_waitcnt vmcnt(0)
	v_fmac_f32_e32 v5, v3, v9
	v_fmac_f32_e32 v14, v4, v9
	;; [unrolled: 1-line block ×4, first 2 shown]
	v_fma_f32 v13, -v4, v10, v5
	v_fmac_f32_e32 v14, v3, v10
	v_fma_f32 v15, -v4, v12, v8
	v_fmac_f32_e32 v16, v3, v12
	global_store_dwordx4 v[17:18], v[13:16], off
.LBB220_25:
	s_endpgm
	.section	.rodata,"a",@progbits
	.p2align	6, 0x0
	.amdhsa_kernel _ZN9rocsparseL19gebsrmvn_2xn_kernelILj128ELj15ELj32E21rocsparse_complex_numIfEEEvi20rocsparse_direction_NS_24const_host_device_scalarIT2_EEPKiS8_PKS5_SA_S6_PS5_21rocsparse_index_base_b
		.amdhsa_group_segment_fixed_size 0
		.amdhsa_private_segment_fixed_size 0
		.amdhsa_kernarg_size 72
		.amdhsa_user_sgpr_count 6
		.amdhsa_user_sgpr_private_segment_buffer 1
		.amdhsa_user_sgpr_dispatch_ptr 0
		.amdhsa_user_sgpr_queue_ptr 0
		.amdhsa_user_sgpr_kernarg_segment_ptr 1
		.amdhsa_user_sgpr_dispatch_id 0
		.amdhsa_user_sgpr_flat_scratch_init 0
		.amdhsa_user_sgpr_private_segment_size 0
		.amdhsa_wavefront_size32 1
		.amdhsa_uses_dynamic_stack 0
		.amdhsa_system_sgpr_private_segment_wavefront_offset 0
		.amdhsa_system_sgpr_workgroup_id_x 1
		.amdhsa_system_sgpr_workgroup_id_y 0
		.amdhsa_system_sgpr_workgroup_id_z 0
		.amdhsa_system_sgpr_workgroup_info 0
		.amdhsa_system_vgpr_workitem_id 0
		.amdhsa_next_free_vgpr 53
		.amdhsa_next_free_sgpr 16
		.amdhsa_reserve_vcc 1
		.amdhsa_reserve_flat_scratch 0
		.amdhsa_float_round_mode_32 0
		.amdhsa_float_round_mode_16_64 0
		.amdhsa_float_denorm_mode_32 3
		.amdhsa_float_denorm_mode_16_64 3
		.amdhsa_dx10_clamp 1
		.amdhsa_ieee_mode 1
		.amdhsa_fp16_overflow 0
		.amdhsa_workgroup_processor_mode 1
		.amdhsa_memory_ordered 1
		.amdhsa_forward_progress 1
		.amdhsa_shared_vgpr_count 0
		.amdhsa_exception_fp_ieee_invalid_op 0
		.amdhsa_exception_fp_denorm_src 0
		.amdhsa_exception_fp_ieee_div_zero 0
		.amdhsa_exception_fp_ieee_overflow 0
		.amdhsa_exception_fp_ieee_underflow 0
		.amdhsa_exception_fp_ieee_inexact 0
		.amdhsa_exception_int_div_zero 0
	.end_amdhsa_kernel
	.section	.text._ZN9rocsparseL19gebsrmvn_2xn_kernelILj128ELj15ELj32E21rocsparse_complex_numIfEEEvi20rocsparse_direction_NS_24const_host_device_scalarIT2_EEPKiS8_PKS5_SA_S6_PS5_21rocsparse_index_base_b,"axG",@progbits,_ZN9rocsparseL19gebsrmvn_2xn_kernelILj128ELj15ELj32E21rocsparse_complex_numIfEEEvi20rocsparse_direction_NS_24const_host_device_scalarIT2_EEPKiS8_PKS5_SA_S6_PS5_21rocsparse_index_base_b,comdat
.Lfunc_end220:
	.size	_ZN9rocsparseL19gebsrmvn_2xn_kernelILj128ELj15ELj32E21rocsparse_complex_numIfEEEvi20rocsparse_direction_NS_24const_host_device_scalarIT2_EEPKiS8_PKS5_SA_S6_PS5_21rocsparse_index_base_b, .Lfunc_end220-_ZN9rocsparseL19gebsrmvn_2xn_kernelILj128ELj15ELj32E21rocsparse_complex_numIfEEEvi20rocsparse_direction_NS_24const_host_device_scalarIT2_EEPKiS8_PKS5_SA_S6_PS5_21rocsparse_index_base_b
                                        ; -- End function
	.set _ZN9rocsparseL19gebsrmvn_2xn_kernelILj128ELj15ELj32E21rocsparse_complex_numIfEEEvi20rocsparse_direction_NS_24const_host_device_scalarIT2_EEPKiS8_PKS5_SA_S6_PS5_21rocsparse_index_base_b.num_vgpr, 53
	.set _ZN9rocsparseL19gebsrmvn_2xn_kernelILj128ELj15ELj32E21rocsparse_complex_numIfEEEvi20rocsparse_direction_NS_24const_host_device_scalarIT2_EEPKiS8_PKS5_SA_S6_PS5_21rocsparse_index_base_b.num_agpr, 0
	.set _ZN9rocsparseL19gebsrmvn_2xn_kernelILj128ELj15ELj32E21rocsparse_complex_numIfEEEvi20rocsparse_direction_NS_24const_host_device_scalarIT2_EEPKiS8_PKS5_SA_S6_PS5_21rocsparse_index_base_b.numbered_sgpr, 16
	.set _ZN9rocsparseL19gebsrmvn_2xn_kernelILj128ELj15ELj32E21rocsparse_complex_numIfEEEvi20rocsparse_direction_NS_24const_host_device_scalarIT2_EEPKiS8_PKS5_SA_S6_PS5_21rocsparse_index_base_b.num_named_barrier, 0
	.set _ZN9rocsparseL19gebsrmvn_2xn_kernelILj128ELj15ELj32E21rocsparse_complex_numIfEEEvi20rocsparse_direction_NS_24const_host_device_scalarIT2_EEPKiS8_PKS5_SA_S6_PS5_21rocsparse_index_base_b.private_seg_size, 0
	.set _ZN9rocsparseL19gebsrmvn_2xn_kernelILj128ELj15ELj32E21rocsparse_complex_numIfEEEvi20rocsparse_direction_NS_24const_host_device_scalarIT2_EEPKiS8_PKS5_SA_S6_PS5_21rocsparse_index_base_b.uses_vcc, 1
	.set _ZN9rocsparseL19gebsrmvn_2xn_kernelILj128ELj15ELj32E21rocsparse_complex_numIfEEEvi20rocsparse_direction_NS_24const_host_device_scalarIT2_EEPKiS8_PKS5_SA_S6_PS5_21rocsparse_index_base_b.uses_flat_scratch, 0
	.set _ZN9rocsparseL19gebsrmvn_2xn_kernelILj128ELj15ELj32E21rocsparse_complex_numIfEEEvi20rocsparse_direction_NS_24const_host_device_scalarIT2_EEPKiS8_PKS5_SA_S6_PS5_21rocsparse_index_base_b.has_dyn_sized_stack, 0
	.set _ZN9rocsparseL19gebsrmvn_2xn_kernelILj128ELj15ELj32E21rocsparse_complex_numIfEEEvi20rocsparse_direction_NS_24const_host_device_scalarIT2_EEPKiS8_PKS5_SA_S6_PS5_21rocsparse_index_base_b.has_recursion, 0
	.set _ZN9rocsparseL19gebsrmvn_2xn_kernelILj128ELj15ELj32E21rocsparse_complex_numIfEEEvi20rocsparse_direction_NS_24const_host_device_scalarIT2_EEPKiS8_PKS5_SA_S6_PS5_21rocsparse_index_base_b.has_indirect_call, 0
	.section	.AMDGPU.csdata,"",@progbits
; Kernel info:
; codeLenInByte = 2764
; TotalNumSgprs: 18
; NumVgprs: 53
; ScratchSize: 0
; MemoryBound: 0
; FloatMode: 240
; IeeeMode: 1
; LDSByteSize: 0 bytes/workgroup (compile time only)
; SGPRBlocks: 0
; VGPRBlocks: 6
; NumSGPRsForWavesPerEU: 18
; NumVGPRsForWavesPerEU: 53
; Occupancy: 16
; WaveLimiterHint : 1
; COMPUTE_PGM_RSRC2:SCRATCH_EN: 0
; COMPUTE_PGM_RSRC2:USER_SGPR: 6
; COMPUTE_PGM_RSRC2:TRAP_HANDLER: 0
; COMPUTE_PGM_RSRC2:TGID_X_EN: 1
; COMPUTE_PGM_RSRC2:TGID_Y_EN: 0
; COMPUTE_PGM_RSRC2:TGID_Z_EN: 0
; COMPUTE_PGM_RSRC2:TIDIG_COMP_CNT: 0
	.section	.text._ZN9rocsparseL19gebsrmvn_2xn_kernelILj128ELj15ELj64E21rocsparse_complex_numIfEEEvi20rocsparse_direction_NS_24const_host_device_scalarIT2_EEPKiS8_PKS5_SA_S6_PS5_21rocsparse_index_base_b,"axG",@progbits,_ZN9rocsparseL19gebsrmvn_2xn_kernelILj128ELj15ELj64E21rocsparse_complex_numIfEEEvi20rocsparse_direction_NS_24const_host_device_scalarIT2_EEPKiS8_PKS5_SA_S6_PS5_21rocsparse_index_base_b,comdat
	.globl	_ZN9rocsparseL19gebsrmvn_2xn_kernelILj128ELj15ELj64E21rocsparse_complex_numIfEEEvi20rocsparse_direction_NS_24const_host_device_scalarIT2_EEPKiS8_PKS5_SA_S6_PS5_21rocsparse_index_base_b ; -- Begin function _ZN9rocsparseL19gebsrmvn_2xn_kernelILj128ELj15ELj64E21rocsparse_complex_numIfEEEvi20rocsparse_direction_NS_24const_host_device_scalarIT2_EEPKiS8_PKS5_SA_S6_PS5_21rocsparse_index_base_b
	.p2align	8
	.type	_ZN9rocsparseL19gebsrmvn_2xn_kernelILj128ELj15ELj64E21rocsparse_complex_numIfEEEvi20rocsparse_direction_NS_24const_host_device_scalarIT2_EEPKiS8_PKS5_SA_S6_PS5_21rocsparse_index_base_b,@function
_ZN9rocsparseL19gebsrmvn_2xn_kernelILj128ELj15ELj64E21rocsparse_complex_numIfEEEvi20rocsparse_direction_NS_24const_host_device_scalarIT2_EEPKiS8_PKS5_SA_S6_PS5_21rocsparse_index_base_b: ; @_ZN9rocsparseL19gebsrmvn_2xn_kernelILj128ELj15ELj64E21rocsparse_complex_numIfEEEvi20rocsparse_direction_NS_24const_host_device_scalarIT2_EEPKiS8_PKS5_SA_S6_PS5_21rocsparse_index_base_b
; %bb.0:
	s_clause 0x2
	s_load_dwordx2 s[2:3], s[4:5], 0x40
	s_load_dwordx2 s[0:1], s[4:5], 0x8
	;; [unrolled: 1-line block ×3, first 2 shown]
	s_add_u32 s7, s4, 8
	s_addc_u32 s10, s5, 0
	s_add_u32 s11, s4, 48
	s_addc_u32 s12, s5, 0
	s_waitcnt lgkmcnt(0)
	s_bitcmp1_b32 s3, 0
	s_cselect_b32 s0, s7, s0
	s_cselect_b32 s1, s10, s1
	v_mov_b32_e32 v1, s0
	v_mov_b32_e32 v2, s1
	s_cselect_b32 s0, s11, s8
	s_cselect_b32 s1, s12, s9
	v_mov_b32_e32 v3, s0
	v_mov_b32_e32 v4, s1
	flat_load_dwordx2 v[1:2], v[1:2]
	flat_load_dwordx2 v[3:4], v[3:4]
	s_waitcnt vmcnt(1) lgkmcnt(1)
	v_cmp_eq_f32_e32 vcc_lo, 0, v1
	v_cmp_eq_f32_e64 s0, 0, v2
	s_and_b32 s3, vcc_lo, s0
	s_mov_b32 s0, -1
	s_and_saveexec_b32 s1, s3
	s_cbranch_execz .LBB221_2
; %bb.1:
	s_waitcnt vmcnt(0) lgkmcnt(0)
	v_cmp_neq_f32_e32 vcc_lo, 1.0, v3
	v_cmp_neq_f32_e64 s0, 0, v4
	s_or_b32 s0, vcc_lo, s0
	s_orn2_b32 s0, s0, exec_lo
.LBB221_2:
	s_or_b32 exec_lo, exec_lo, s1
	s_and_saveexec_b32 s1, s0
	s_cbranch_execz .LBB221_25
; %bb.3:
	s_load_dwordx2 s[0:1], s[4:5], 0x0
	v_lshrrev_b32_e32 v5, 6, v0
	v_lshl_or_b32 v5, s6, 1, v5
	s_waitcnt lgkmcnt(0)
	v_cmp_gt_i32_e32 vcc_lo, s0, v5
	s_and_b32 exec_lo, exec_lo, vcc_lo
	s_cbranch_execz .LBB221_25
; %bb.4:
	s_load_dwordx8 s[8:15], s[4:5], 0x10
	v_ashrrev_i32_e32 v6, 31, v5
	v_and_b32_e32 v0, 63, v0
	s_cmp_lg_u32 s1, 0
	v_lshlrev_b64 v[6:7], 2, v[5:6]
	s_waitcnt lgkmcnt(0)
	v_add_co_u32 v6, vcc_lo, s8, v6
	v_add_co_ci_u32_e64 v7, null, s9, v7, vcc_lo
	global_load_dwordx2 v[7:8], v[6:7], off
	s_waitcnt vmcnt(0)
	v_subrev_nc_u32_e32 v6, s2, v7
	v_subrev_nc_u32_e32 v16, s2, v8
	v_add_nc_u32_e32 v6, v6, v0
	v_cmp_lt_i32_e64 s0, v6, v16
	s_cbranch_scc0 .LBB221_12
; %bb.5:
	v_mov_b32_e32 v14, 0
	v_mov_b32_e32 v17, 0
	;; [unrolled: 1-line block ×4, first 2 shown]
	s_and_saveexec_b32 s1, s0
	s_cbranch_execz .LBB221_11
; %bb.6:
	v_mad_u64_u32 v[8:9], null, v6, 30, 8
	v_mov_b32_e32 v10, 0
	v_mov_b32_e32 v11, v6
	;; [unrolled: 1-line block ×6, first 2 shown]
	s_mov_b32 s3, 0
.LBB221_7:                              ; =>This Loop Header: Depth=1
                                        ;     Child Loop BB221_8 Depth 2
	v_ashrrev_i32_e32 v12, 31, v11
	s_mov_b32 s6, 0
	v_lshlrev_b64 v[12:13], 2, v[11:12]
	v_add_co_u32 v12, vcc_lo, s10, v12
	v_add_co_ci_u32_e64 v13, null, s11, v13, vcc_lo
	global_load_dword v9, v[12:13], off
	v_mov_b32_e32 v12, v8
	s_waitcnt vmcnt(0)
	v_subrev_nc_u32_e32 v9, s2, v9
	v_mul_lo_u32 v19, v9, 15
.LBB221_8:                              ;   Parent Loop BB221_7 Depth=1
                                        ; =>  This Inner Loop Header: Depth=2
	v_add_nc_u32_e32 v9, -8, v12
	v_add_nc_u32_e32 v20, -6, v12
	v_mov_b32_e32 v21, v10
	v_add_nc_u32_e32 v23, -4, v12
	v_mov_b32_e32 v24, v10
	v_lshlrev_b64 v[29:30], 3, v[9:10]
	v_add_nc_u32_e32 v26, -2, v12
	v_mov_b32_e32 v27, v10
	v_lshlrev_b64 v[31:32], 3, v[20:21]
	v_mov_b32_e32 v13, v10
	v_lshlrev_b64 v[33:34], 3, v[23:24]
	v_add_nc_u32_e32 v9, s6, v19
	v_lshlrev_b64 v[35:36], 3, v[26:27]
	v_add_co_u32 v29, vcc_lo, s12, v29
	v_lshlrev_b64 v[37:38], 3, v[12:13]
	v_add_co_ci_u32_e64 v30, null, s13, v30, vcc_lo
	v_add_co_u32 v31, vcc_lo, s12, v31
	v_lshlrev_b64 v[39:40], 3, v[9:10]
	v_add_co_ci_u32_e64 v32, null, s13, v32, vcc_lo
	v_add_co_u32 v33, vcc_lo, s12, v33
	v_mov_b32_e32 v22, v10
	v_add_nc_u32_e32 v21, 1, v9
	v_add_co_ci_u32_e64 v34, null, s13, v34, vcc_lo
	v_add_co_u32 v35, vcc_lo, s12, v35
	v_mov_b32_e32 v25, v10
	v_mov_b32_e32 v28, v10
	v_add_nc_u32_e32 v24, 2, v9
	v_add_nc_u32_e32 v27, 3, v9
	v_add_co_ci_u32_e64 v36, null, s13, v36, vcc_lo
	v_add_co_u32 v37, vcc_lo, s12, v37
	v_add_co_ci_u32_e64 v38, null, s13, v38, vcc_lo
	v_lshlrev_b64 v[41:42], 3, v[21:22]
	v_add_co_u32 v39, vcc_lo, s14, v39
	v_add_co_ci_u32_e64 v40, null, s15, v40, vcc_lo
	v_lshlrev_b64 v[43:44], 3, v[24:25]
	v_lshlrev_b64 v[45:46], 3, v[27:28]
	s_clause 0x3
	global_load_dwordx4 v[20:23], v[29:30], off
	global_load_dwordx4 v[24:27], v[31:32], off
	global_load_dwordx4 v[28:31], v[33:34], off
	global_load_dwordx4 v[32:35], v[35:36], off
	global_load_dwordx2 v[49:50], v[39:40], off
	v_add_co_u32 v39, vcc_lo, s14, v41
	v_add_co_ci_u32_e64 v40, null, s15, v42, vcc_lo
	v_add_co_u32 v41, vcc_lo, s14, v43
	v_add_co_ci_u32_e64 v42, null, s15, v44, vcc_lo
	global_load_dwordx2 v[51:52], v[39:40], off
	v_add_nc_u32_e32 v9, 4, v9
	v_add_nc_u32_e32 v12, 10, v12
	global_load_dwordx2 v[41:42], v[41:42], off
	v_add_co_u32 v39, vcc_lo, s14, v45
	v_add_co_ci_u32_e64 v40, null, s15, v46, vcc_lo
	v_lshlrev_b64 v[47:48], 3, v[9:10]
	s_add_i32 s6, s6, 5
	global_load_dwordx2 v[45:46], v[39:40], off
	s_cmp_eq_u32 s6, 15
	v_add_co_u32 v43, vcc_lo, s14, v47
	v_add_co_ci_u32_e64 v44, null, s15, v48, vcc_lo
	global_load_dwordx4 v[36:39], v[37:38], off
	global_load_dwordx2 v[43:44], v[43:44], off
	s_waitcnt vmcnt(5)
	v_fmac_f32_e32 v17, v20, v49
	v_fmac_f32_e32 v14, v21, v49
	v_fmac_f32_e32 v18, v22, v49
	v_fmac_f32_e32 v15, v23, v49
	v_fma_f32 v9, -v21, v50, v17
	v_fmac_f32_e32 v14, v20, v50
	v_fma_f32 v13, -v23, v50, v18
	v_fmac_f32_e32 v15, v22, v50
	s_waitcnt vmcnt(4)
	v_fmac_f32_e32 v9, v24, v51
	v_fmac_f32_e32 v14, v25, v51
	v_fmac_f32_e32 v13, v26, v51
	v_fmac_f32_e32 v15, v27, v51
	v_fma_f32 v9, -v25, v52, v9
	v_fmac_f32_e32 v14, v24, v52
	v_fma_f32 v13, -v27, v52, v13
	v_fmac_f32_e32 v15, v26, v52
	;; [unrolled: 9-line block ×5, first 2 shown]
	s_cbranch_scc0 .LBB221_8
; %bb.9:                                ;   in Loop: Header=BB221_7 Depth=1
	v_add_nc_u32_e32 v11, 64, v11
	v_add_nc_u32_e32 v8, 0x780, v8
	v_cmp_ge_i32_e32 vcc_lo, v11, v16
	s_or_b32 s3, vcc_lo, s3
	s_andn2_b32 exec_lo, exec_lo, s3
	s_cbranch_execnz .LBB221_7
; %bb.10:
	s_or_b32 exec_lo, exec_lo, s3
.LBB221_11:
	s_or_b32 exec_lo, exec_lo, s1
	s_cbranch_execz .LBB221_13
	s_branch .LBB221_20
.LBB221_12:
                                        ; implicit-def: $vgpr14
                                        ; implicit-def: $vgpr17
                                        ; implicit-def: $vgpr18
                                        ; implicit-def: $vgpr15
.LBB221_13:
	v_mov_b32_e32 v14, 0
	v_mov_b32_e32 v17, 0
	;; [unrolled: 1-line block ×4, first 2 shown]
	s_and_saveexec_b32 s1, s0
	s_cbranch_execz .LBB221_19
; %bb.14:
	v_mul_lo_u32 v7, v7, 30
	v_mul_lo_u32 v9, v6, 30
	s_mul_i32 s0, s2, 30
	v_mov_b32_e32 v8, 0
	v_mov_b32_e32 v14, 0
	;; [unrolled: 1-line block ×5, first 2 shown]
	v_mad_u32_u24 v7, v0, 30, v7
	v_subrev_nc_u32_e32 v10, s0, v7
	s_mov_b32 s0, 0
.LBB221_15:                             ; =>This Loop Header: Depth=1
                                        ;     Child Loop BB221_16 Depth 2
	v_ashrrev_i32_e32 v7, 31, v6
	s_mov_b32 s3, 0
	v_lshlrev_b64 v[11:12], 2, v[6:7]
	v_add_co_u32 v11, vcc_lo, s10, v11
	v_add_co_ci_u32_e64 v12, null, s11, v12, vcc_lo
	global_load_dword v7, v[11:12], off
	s_waitcnt vmcnt(0)
	v_subrev_nc_u32_e32 v7, s2, v7
	v_mul_lo_u32 v11, v7, 15
.LBB221_16:                             ;   Parent Loop BB221_15 Depth=1
                                        ; =>  This Inner Loop Header: Depth=2
	v_add_nc_u32_e32 v7, s3, v10
	v_add_nc_u32_e32 v48, s3, v9
	v_mov_b32_e32 v13, v8
	v_mov_b32_e32 v20, v8
	;; [unrolled: 1-line block ×3, first 2 shown]
	v_lshlrev_b64 v[36:37], 3, v[7:8]
	v_add_nc_u32_e32 v7, s3, v11
	v_add_nc_u32_e32 v12, 15, v48
	;; [unrolled: 1-line block ×4, first 2 shown]
	v_mov_b32_e32 v25, v8
	v_lshlrev_b64 v[38:39], 3, v[7:8]
	v_lshlrev_b64 v[12:13], 3, v[12:13]
	v_add_nc_u32_e32 v24, 2, v48
	v_lshlrev_b64 v[40:41], 3, v[19:20]
	v_add_co_u32 v36, vcc_lo, s12, v36
	v_mov_b32_e32 v28, v8
	v_add_nc_u32_e32 v27, 17, v48
	v_lshlrev_b64 v[22:23], 3, v[22:23]
	v_add_co_ci_u32_e64 v37, null, s13, v37, vcc_lo
	v_add_co_u32 v38, vcc_lo, s14, v38
	v_mov_b32_e32 v21, v8
	v_mov_b32_e32 v30, v8
	v_add_nc_u32_e32 v29, 3, v48
	v_add_nc_u32_e32 v20, 1, v7
	v_lshlrev_b64 v[42:43], 3, v[24:25]
	v_add_co_ci_u32_e64 v39, null, s15, v39, vcc_lo
	v_add_co_u32 v12, vcc_lo, s12, v12
	v_mov_b32_e32 v33, v8
	v_add_nc_u32_e32 v32, 18, v48
	v_lshlrev_b64 v[27:28], 3, v[27:28]
	v_add_co_ci_u32_e64 v13, null, s13, v13, vcc_lo
	v_add_co_u32 v40, vcc_lo, s12, v40
	v_mov_b32_e32 v26, v8
	v_mov_b32_e32 v35, v8
	v_add_nc_u32_e32 v34, 4, v48
	v_add_nc_u32_e32 v25, 2, v7
	v_lshlrev_b64 v[44:45], 3, v[29:30]
	v_lshlrev_b64 v[19:20], 3, v[20:21]
	v_add_co_ci_u32_e64 v41, null, s13, v41, vcc_lo
	v_add_co_u32 v21, vcc_lo, s12, v22
	v_lshlrev_b64 v[32:33], 3, v[32:33]
	v_add_co_ci_u32_e64 v22, null, s13, v23, vcc_lo
	v_add_co_u32 v42, vcc_lo, s12, v42
	v_mov_b32_e32 v31, v8
	v_add_nc_u32_e32 v30, 3, v7
	v_lshlrev_b64 v[34:35], 3, v[34:35]
	v_lshlrev_b64 v[24:25], 3, v[25:26]
	v_add_co_ci_u32_e64 v43, null, s13, v43, vcc_lo
	v_add_co_u32 v26, vcc_lo, s12, v27
	v_add_co_ci_u32_e64 v27, null, s13, v28, vcc_lo
	v_add_co_u32 v44, vcc_lo, s12, v44
	v_lshlrev_b64 v[29:30], 3, v[30:31]
	v_add_co_ci_u32_e64 v45, null, s13, v45, vcc_lo
	v_add_co_u32 v31, vcc_lo, s12, v32
	global_load_dwordx2 v[36:37], v[36:37], off
	v_add_co_ci_u32_e64 v32, null, s13, v33, vcc_lo
	v_add_co_u32 v33, vcc_lo, s12, v34
	global_load_dwordx2 v[38:39], v[38:39], off
	s_clause 0x1
	global_load_dwordx2 v[12:13], v[12:13], off
	global_load_dwordx2 v[40:41], v[40:41], off
	v_add_co_ci_u32_e64 v34, null, s13, v35, vcc_lo
	v_add_co_u32 v19, vcc_lo, s14, v19
	v_add_co_ci_u32_e64 v20, null, s15, v20, vcc_lo
	s_clause 0x1
	global_load_dwordx2 v[21:22], v[21:22], off
	global_load_dwordx2 v[42:43], v[42:43], off
	v_add_co_u32 v23, vcc_lo, s14, v24
	global_load_dwordx2 v[19:20], v[19:20], off
	v_add_co_ci_u32_e64 v24, null, s15, v25, vcc_lo
	v_add_nc_u32_e32 v7, 4, v7
	s_clause 0x1
	global_load_dwordx2 v[25:26], v[26:27], off
	global_load_dwordx2 v[27:28], v[44:45], off
	v_add_co_u32 v29, vcc_lo, s14, v29
	global_load_dwordx2 v[23:24], v[23:24], off
	v_lshlrev_b64 v[46:47], 3, v[7:8]
	v_add_nc_u32_e32 v7, 19, v48
	v_add_co_ci_u32_e64 v30, null, s15, v30, vcc_lo
	global_load_dwordx2 v[31:32], v[31:32], off
	s_add_i32 s3, s3, 5
	v_lshlrev_b64 v[48:49], 3, v[7:8]
	global_load_dwordx2 v[29:30], v[29:30], off
	v_add_co_u32 v44, vcc_lo, s14, v46
	v_add_co_ci_u32_e64 v45, null, s15, v47, vcc_lo
	v_add_co_u32 v46, vcc_lo, s12, v48
	v_add_co_ci_u32_e64 v47, null, s13, v49, vcc_lo
	global_load_dwordx2 v[33:34], v[33:34], off
	global_load_dwordx2 v[44:45], v[44:45], off
	;; [unrolled: 1-line block ×3, first 2 shown]
	s_cmp_eq_u32 s3, 15
	s_waitcnt vmcnt(13)
	v_fmac_f32_e32 v17, v36, v38
	v_fmac_f32_e32 v14, v37, v38
	s_waitcnt vmcnt(12)
	v_fmac_f32_e32 v18, v12, v38
	v_fmac_f32_e32 v15, v13, v38
	v_fma_f32 v7, -v37, v39, v17
	v_fmac_f32_e32 v14, v36, v39
	v_fma_f32 v13, -v13, v39, v18
	v_fmac_f32_e32 v15, v12, v39
	s_waitcnt vmcnt(8)
	v_fmac_f32_e32 v7, v40, v19
	v_fmac_f32_e32 v14, v41, v19
	v_fmac_f32_e32 v13, v21, v19
	v_fmac_f32_e32 v15, v22, v19
	v_fma_f32 v7, -v41, v20, v7
	v_fmac_f32_e32 v14, v40, v20
	v_fma_f32 v12, -v22, v20, v13
	v_fmac_f32_e32 v15, v21, v20
	s_waitcnt vmcnt(5)
	v_fmac_f32_e32 v7, v42, v23
	v_fmac_f32_e32 v14, v43, v23
	v_fmac_f32_e32 v12, v25, v23
	v_fmac_f32_e32 v15, v26, v23
	v_fma_f32 v7, -v43, v24, v7
	v_fmac_f32_e32 v14, v42, v24
	v_fma_f32 v12, -v26, v24, v12
	v_fmac_f32_e32 v15, v25, v24
	s_waitcnt vmcnt(3)
	v_fmac_f32_e32 v7, v27, v29
	v_fmac_f32_e32 v14, v28, v29
	v_fmac_f32_e32 v12, v31, v29
	v_fmac_f32_e32 v15, v32, v29
	v_fma_f32 v7, -v28, v30, v7
	v_fmac_f32_e32 v14, v27, v30
	v_fma_f32 v12, -v32, v30, v12
	v_fmac_f32_e32 v15, v31, v30
	s_waitcnt vmcnt(1)
	v_fmac_f32_e32 v7, v33, v44
	v_fmac_f32_e32 v14, v34, v44
	s_waitcnt vmcnt(0)
	v_fmac_f32_e32 v12, v46, v44
	v_fmac_f32_e32 v15, v47, v44
	v_fma_f32 v17, -v34, v45, v7
	v_fmac_f32_e32 v14, v33, v45
	v_fma_f32 v18, -v47, v45, v12
	v_fmac_f32_e32 v15, v46, v45
	s_cbranch_scc0 .LBB221_16
; %bb.17:                               ;   in Loop: Header=BB221_15 Depth=1
	v_add_nc_u32_e32 v6, 64, v6
	v_add_nc_u32_e32 v9, 0x780, v9
	;; [unrolled: 1-line block ×3, first 2 shown]
	v_cmp_ge_i32_e32 vcc_lo, v6, v16
	s_or_b32 s0, vcc_lo, s0
	s_andn2_b32 exec_lo, exec_lo, s0
	s_cbranch_execnz .LBB221_15
; %bb.18:
	s_or_b32 exec_lo, exec_lo, s0
.LBB221_19:
	s_or_b32 exec_lo, exec_lo, s1
.LBB221_20:
	v_mbcnt_lo_u32_b32 v6, -1, 0
	v_or_b32_e32 v7, 32, v6
	v_xor_b32_e32 v11, 16, v6
	v_cmp_gt_i32_e32 vcc_lo, 32, v7
	v_cndmask_b32_e32 v7, v6, v7, vcc_lo
	v_cmp_gt_i32_e32 vcc_lo, 32, v11
	v_lshlrev_b32_e32 v7, 2, v7
	v_cndmask_b32_e32 v11, v6, v11, vcc_lo
	ds_bpermute_b32 v8, v7, v17
	ds_bpermute_b32 v9, v7, v14
	;; [unrolled: 1-line block ×4, first 2 shown]
	v_lshlrev_b32_e32 v11, 2, v11
	s_waitcnt lgkmcnt(3)
	v_add_f32_e32 v8, v17, v8
	s_waitcnt lgkmcnt(2)
	v_add_f32_e32 v9, v14, v9
	;; [unrolled: 2-line block ×4, first 2 shown]
	v_xor_b32_e32 v15, 8, v6
	ds_bpermute_b32 v12, v11, v8
	ds_bpermute_b32 v13, v11, v9
	;; [unrolled: 1-line block ×4, first 2 shown]
	v_cmp_gt_i32_e32 vcc_lo, 32, v15
	v_cndmask_b32_e32 v15, v6, v15, vcc_lo
	v_lshlrev_b32_e32 v15, 2, v15
	s_waitcnt lgkmcnt(3)
	v_add_f32_e32 v8, v8, v12
	s_waitcnt lgkmcnt(2)
	v_add_f32_e32 v9, v9, v13
	s_waitcnt lgkmcnt(1)
	v_add_f32_e32 v10, v10, v14
	s_waitcnt lgkmcnt(0)
	v_add_f32_e32 v7, v7, v11
	ds_bpermute_b32 v11, v15, v8
	ds_bpermute_b32 v12, v15, v9
	ds_bpermute_b32 v13, v15, v10
	ds_bpermute_b32 v14, v15, v7
	v_xor_b32_e32 v15, 4, v6
	v_cmp_gt_i32_e32 vcc_lo, 32, v15
	v_cndmask_b32_e32 v15, v6, v15, vcc_lo
	v_lshlrev_b32_e32 v15, 2, v15
	s_waitcnt lgkmcnt(3)
	v_add_f32_e32 v8, v8, v11
	s_waitcnt lgkmcnt(2)
	v_add_f32_e32 v9, v9, v12
	s_waitcnt lgkmcnt(1)
	v_add_f32_e32 v10, v10, v13
	s_waitcnt lgkmcnt(0)
	v_add_f32_e32 v7, v7, v14
	ds_bpermute_b32 v11, v15, v8
	ds_bpermute_b32 v12, v15, v9
	ds_bpermute_b32 v13, v15, v10
	ds_bpermute_b32 v14, v15, v7
	v_xor_b32_e32 v15, 2, v6
	;; [unrolled: 16-line block ×3, first 2 shown]
	v_cmp_gt_i32_e32 vcc_lo, 32, v15
	v_cndmask_b32_e32 v6, v6, v15, vcc_lo
	v_cmp_eq_u32_e32 vcc_lo, 63, v0
	v_lshlrev_b32_e32 v15, 2, v6
	s_waitcnt lgkmcnt(3)
	v_add_f32_e32 v8, v8, v11
	s_waitcnt lgkmcnt(2)
	v_add_f32_e32 v9, v9, v12
	;; [unrolled: 2-line block ×4, first 2 shown]
	ds_bpermute_b32 v12, v15, v8
	ds_bpermute_b32 v13, v15, v9
	;; [unrolled: 1-line block ×4, first 2 shown]
	s_and_b32 exec_lo, exec_lo, vcc_lo
	s_cbranch_execz .LBB221_25
; %bb.21:
	s_load_dwordx2 s[2:3], s[4:5], 0x38
	v_cmp_eq_f32_e32 vcc_lo, 0, v3
	v_cmp_eq_f32_e64 s0, 0, v4
	s_waitcnt lgkmcnt(0)
	v_add_f32_e32 v0, v8, v12
	v_add_f32_e32 v8, v9, v13
	;; [unrolled: 1-line block ×4, first 2 shown]
	s_and_b32 s0, vcc_lo, s0
	s_and_saveexec_b32 s1, s0
	s_xor_b32 s0, exec_lo, s1
	s_cbranch_execz .LBB221_23
; %bb.22:
	v_lshlrev_b32_e32 v3, 1, v5
	v_mul_f32_e64 v9, v8, -v2
	v_mul_f32_e32 v10, v1, v8
	v_mul_f32_e64 v11, v7, -v2
	v_mul_f32_e32 v12, v1, v7
	v_ashrrev_i32_e32 v4, 31, v3
	v_fmac_f32_e32 v9, v1, v0
	v_fmac_f32_e32 v10, v2, v0
	;; [unrolled: 1-line block ×4, first 2 shown]
	v_lshlrev_b64 v[3:4], 3, v[3:4]
                                        ; implicit-def: $vgpr5
                                        ; implicit-def: $vgpr8
                                        ; implicit-def: $vgpr7
                                        ; implicit-def: $vgpr6
	v_add_co_u32 v0, vcc_lo, s2, v3
	v_add_co_ci_u32_e64 v1, null, s3, v4, vcc_lo
                                        ; implicit-def: $vgpr3_vgpr4
	global_store_dwordx4 v[0:1], v[9:12], off
                                        ; implicit-def: $vgpr1_vgpr2
                                        ; implicit-def: $vgpr0
.LBB221_23:
	s_andn2_saveexec_b32 s0, s0
	s_cbranch_execz .LBB221_25
; %bb.24:
	v_lshlrev_b32_e32 v9, 1, v5
	v_mul_f32_e64 v5, v8, -v2
	v_mul_f32_e32 v14, v1, v8
	v_mul_f32_e64 v8, v7, -v2
	v_mul_f32_e32 v16, v1, v7
	v_ashrrev_i32_e32 v10, 31, v9
	v_fmac_f32_e32 v5, v1, v0
	v_fmac_f32_e32 v14, v2, v0
	;; [unrolled: 1-line block ×4, first 2 shown]
	v_lshlrev_b64 v[9:10], 3, v[9:10]
	v_add_co_u32 v17, vcc_lo, s2, v9
	v_add_co_ci_u32_e64 v18, null, s3, v10, vcc_lo
	global_load_dwordx4 v[9:12], v[17:18], off
	s_waitcnt vmcnt(0)
	v_fmac_f32_e32 v5, v3, v9
	v_fmac_f32_e32 v14, v4, v9
	;; [unrolled: 1-line block ×4, first 2 shown]
	v_fma_f32 v13, -v4, v10, v5
	v_fmac_f32_e32 v14, v3, v10
	v_fma_f32 v15, -v4, v12, v8
	v_fmac_f32_e32 v16, v3, v12
	global_store_dwordx4 v[17:18], v[13:16], off
.LBB221_25:
	s_endpgm
	.section	.rodata,"a",@progbits
	.p2align	6, 0x0
	.amdhsa_kernel _ZN9rocsparseL19gebsrmvn_2xn_kernelILj128ELj15ELj64E21rocsparse_complex_numIfEEEvi20rocsparse_direction_NS_24const_host_device_scalarIT2_EEPKiS8_PKS5_SA_S6_PS5_21rocsparse_index_base_b
		.amdhsa_group_segment_fixed_size 0
		.amdhsa_private_segment_fixed_size 0
		.amdhsa_kernarg_size 72
		.amdhsa_user_sgpr_count 6
		.amdhsa_user_sgpr_private_segment_buffer 1
		.amdhsa_user_sgpr_dispatch_ptr 0
		.amdhsa_user_sgpr_queue_ptr 0
		.amdhsa_user_sgpr_kernarg_segment_ptr 1
		.amdhsa_user_sgpr_dispatch_id 0
		.amdhsa_user_sgpr_flat_scratch_init 0
		.amdhsa_user_sgpr_private_segment_size 0
		.amdhsa_wavefront_size32 1
		.amdhsa_uses_dynamic_stack 0
		.amdhsa_system_sgpr_private_segment_wavefront_offset 0
		.amdhsa_system_sgpr_workgroup_id_x 1
		.amdhsa_system_sgpr_workgroup_id_y 0
		.amdhsa_system_sgpr_workgroup_id_z 0
		.amdhsa_system_sgpr_workgroup_info 0
		.amdhsa_system_vgpr_workitem_id 0
		.amdhsa_next_free_vgpr 53
		.amdhsa_next_free_sgpr 16
		.amdhsa_reserve_vcc 1
		.amdhsa_reserve_flat_scratch 0
		.amdhsa_float_round_mode_32 0
		.amdhsa_float_round_mode_16_64 0
		.amdhsa_float_denorm_mode_32 3
		.amdhsa_float_denorm_mode_16_64 3
		.amdhsa_dx10_clamp 1
		.amdhsa_ieee_mode 1
		.amdhsa_fp16_overflow 0
		.amdhsa_workgroup_processor_mode 1
		.amdhsa_memory_ordered 1
		.amdhsa_forward_progress 1
		.amdhsa_shared_vgpr_count 0
		.amdhsa_exception_fp_ieee_invalid_op 0
		.amdhsa_exception_fp_denorm_src 0
		.amdhsa_exception_fp_ieee_div_zero 0
		.amdhsa_exception_fp_ieee_overflow 0
		.amdhsa_exception_fp_ieee_underflow 0
		.amdhsa_exception_fp_ieee_inexact 0
		.amdhsa_exception_int_div_zero 0
	.end_amdhsa_kernel
	.section	.text._ZN9rocsparseL19gebsrmvn_2xn_kernelILj128ELj15ELj64E21rocsparse_complex_numIfEEEvi20rocsparse_direction_NS_24const_host_device_scalarIT2_EEPKiS8_PKS5_SA_S6_PS5_21rocsparse_index_base_b,"axG",@progbits,_ZN9rocsparseL19gebsrmvn_2xn_kernelILj128ELj15ELj64E21rocsparse_complex_numIfEEEvi20rocsparse_direction_NS_24const_host_device_scalarIT2_EEPKiS8_PKS5_SA_S6_PS5_21rocsparse_index_base_b,comdat
.Lfunc_end221:
	.size	_ZN9rocsparseL19gebsrmvn_2xn_kernelILj128ELj15ELj64E21rocsparse_complex_numIfEEEvi20rocsparse_direction_NS_24const_host_device_scalarIT2_EEPKiS8_PKS5_SA_S6_PS5_21rocsparse_index_base_b, .Lfunc_end221-_ZN9rocsparseL19gebsrmvn_2xn_kernelILj128ELj15ELj64E21rocsparse_complex_numIfEEEvi20rocsparse_direction_NS_24const_host_device_scalarIT2_EEPKiS8_PKS5_SA_S6_PS5_21rocsparse_index_base_b
                                        ; -- End function
	.set _ZN9rocsparseL19gebsrmvn_2xn_kernelILj128ELj15ELj64E21rocsparse_complex_numIfEEEvi20rocsparse_direction_NS_24const_host_device_scalarIT2_EEPKiS8_PKS5_SA_S6_PS5_21rocsparse_index_base_b.num_vgpr, 53
	.set _ZN9rocsparseL19gebsrmvn_2xn_kernelILj128ELj15ELj64E21rocsparse_complex_numIfEEEvi20rocsparse_direction_NS_24const_host_device_scalarIT2_EEPKiS8_PKS5_SA_S6_PS5_21rocsparse_index_base_b.num_agpr, 0
	.set _ZN9rocsparseL19gebsrmvn_2xn_kernelILj128ELj15ELj64E21rocsparse_complex_numIfEEEvi20rocsparse_direction_NS_24const_host_device_scalarIT2_EEPKiS8_PKS5_SA_S6_PS5_21rocsparse_index_base_b.numbered_sgpr, 16
	.set _ZN9rocsparseL19gebsrmvn_2xn_kernelILj128ELj15ELj64E21rocsparse_complex_numIfEEEvi20rocsparse_direction_NS_24const_host_device_scalarIT2_EEPKiS8_PKS5_SA_S6_PS5_21rocsparse_index_base_b.num_named_barrier, 0
	.set _ZN9rocsparseL19gebsrmvn_2xn_kernelILj128ELj15ELj64E21rocsparse_complex_numIfEEEvi20rocsparse_direction_NS_24const_host_device_scalarIT2_EEPKiS8_PKS5_SA_S6_PS5_21rocsparse_index_base_b.private_seg_size, 0
	.set _ZN9rocsparseL19gebsrmvn_2xn_kernelILj128ELj15ELj64E21rocsparse_complex_numIfEEEvi20rocsparse_direction_NS_24const_host_device_scalarIT2_EEPKiS8_PKS5_SA_S6_PS5_21rocsparse_index_base_b.uses_vcc, 1
	.set _ZN9rocsparseL19gebsrmvn_2xn_kernelILj128ELj15ELj64E21rocsparse_complex_numIfEEEvi20rocsparse_direction_NS_24const_host_device_scalarIT2_EEPKiS8_PKS5_SA_S6_PS5_21rocsparse_index_base_b.uses_flat_scratch, 0
	.set _ZN9rocsparseL19gebsrmvn_2xn_kernelILj128ELj15ELj64E21rocsparse_complex_numIfEEEvi20rocsparse_direction_NS_24const_host_device_scalarIT2_EEPKiS8_PKS5_SA_S6_PS5_21rocsparse_index_base_b.has_dyn_sized_stack, 0
	.set _ZN9rocsparseL19gebsrmvn_2xn_kernelILj128ELj15ELj64E21rocsparse_complex_numIfEEEvi20rocsparse_direction_NS_24const_host_device_scalarIT2_EEPKiS8_PKS5_SA_S6_PS5_21rocsparse_index_base_b.has_recursion, 0
	.set _ZN9rocsparseL19gebsrmvn_2xn_kernelILj128ELj15ELj64E21rocsparse_complex_numIfEEEvi20rocsparse_direction_NS_24const_host_device_scalarIT2_EEPKiS8_PKS5_SA_S6_PS5_21rocsparse_index_base_b.has_indirect_call, 0
	.section	.AMDGPU.csdata,"",@progbits
; Kernel info:
; codeLenInByte = 2844
; TotalNumSgprs: 18
; NumVgprs: 53
; ScratchSize: 0
; MemoryBound: 0
; FloatMode: 240
; IeeeMode: 1
; LDSByteSize: 0 bytes/workgroup (compile time only)
; SGPRBlocks: 0
; VGPRBlocks: 6
; NumSGPRsForWavesPerEU: 18
; NumVGPRsForWavesPerEU: 53
; Occupancy: 16
; WaveLimiterHint : 1
; COMPUTE_PGM_RSRC2:SCRATCH_EN: 0
; COMPUTE_PGM_RSRC2:USER_SGPR: 6
; COMPUTE_PGM_RSRC2:TRAP_HANDLER: 0
; COMPUTE_PGM_RSRC2:TGID_X_EN: 1
; COMPUTE_PGM_RSRC2:TGID_Y_EN: 0
; COMPUTE_PGM_RSRC2:TGID_Z_EN: 0
; COMPUTE_PGM_RSRC2:TIDIG_COMP_CNT: 0
	.section	.text._ZN9rocsparseL19gebsrmvn_2xn_kernelILj128ELj16ELj4E21rocsparse_complex_numIfEEEvi20rocsparse_direction_NS_24const_host_device_scalarIT2_EEPKiS8_PKS5_SA_S6_PS5_21rocsparse_index_base_b,"axG",@progbits,_ZN9rocsparseL19gebsrmvn_2xn_kernelILj128ELj16ELj4E21rocsparse_complex_numIfEEEvi20rocsparse_direction_NS_24const_host_device_scalarIT2_EEPKiS8_PKS5_SA_S6_PS5_21rocsparse_index_base_b,comdat
	.globl	_ZN9rocsparseL19gebsrmvn_2xn_kernelILj128ELj16ELj4E21rocsparse_complex_numIfEEEvi20rocsparse_direction_NS_24const_host_device_scalarIT2_EEPKiS8_PKS5_SA_S6_PS5_21rocsparse_index_base_b ; -- Begin function _ZN9rocsparseL19gebsrmvn_2xn_kernelILj128ELj16ELj4E21rocsparse_complex_numIfEEEvi20rocsparse_direction_NS_24const_host_device_scalarIT2_EEPKiS8_PKS5_SA_S6_PS5_21rocsparse_index_base_b
	.p2align	8
	.type	_ZN9rocsparseL19gebsrmvn_2xn_kernelILj128ELj16ELj4E21rocsparse_complex_numIfEEEvi20rocsparse_direction_NS_24const_host_device_scalarIT2_EEPKiS8_PKS5_SA_S6_PS5_21rocsparse_index_base_b,@function
_ZN9rocsparseL19gebsrmvn_2xn_kernelILj128ELj16ELj4E21rocsparse_complex_numIfEEEvi20rocsparse_direction_NS_24const_host_device_scalarIT2_EEPKiS8_PKS5_SA_S6_PS5_21rocsparse_index_base_b: ; @_ZN9rocsparseL19gebsrmvn_2xn_kernelILj128ELj16ELj4E21rocsparse_complex_numIfEEEvi20rocsparse_direction_NS_24const_host_device_scalarIT2_EEPKiS8_PKS5_SA_S6_PS5_21rocsparse_index_base_b
; %bb.0:
	s_clause 0x2
	s_load_dwordx2 s[2:3], s[4:5], 0x40
	s_load_dwordx2 s[0:1], s[4:5], 0x8
	;; [unrolled: 1-line block ×3, first 2 shown]
	s_add_u32 s7, s4, 8
	s_addc_u32 s10, s5, 0
	s_add_u32 s11, s4, 48
	s_addc_u32 s12, s5, 0
	s_waitcnt lgkmcnt(0)
	s_bitcmp1_b32 s3, 0
	s_cselect_b32 s0, s7, s0
	s_cselect_b32 s1, s10, s1
	v_mov_b32_e32 v1, s0
	v_mov_b32_e32 v2, s1
	s_cselect_b32 s0, s11, s8
	s_cselect_b32 s1, s12, s9
	v_mov_b32_e32 v3, s0
	v_mov_b32_e32 v4, s1
	flat_load_dwordx2 v[1:2], v[1:2]
	flat_load_dwordx2 v[3:4], v[3:4]
	s_waitcnt vmcnt(1) lgkmcnt(1)
	v_cmp_eq_f32_e32 vcc_lo, 0, v1
	v_cmp_eq_f32_e64 s0, 0, v2
	s_and_b32 s3, vcc_lo, s0
	s_mov_b32 s0, -1
	s_and_saveexec_b32 s1, s3
	s_cbranch_execz .LBB222_2
; %bb.1:
	s_waitcnt vmcnt(0) lgkmcnt(0)
	v_cmp_neq_f32_e32 vcc_lo, 1.0, v3
	v_cmp_neq_f32_e64 s0, 0, v4
	s_or_b32 s0, vcc_lo, s0
	s_orn2_b32 s0, s0, exec_lo
.LBB222_2:
	s_or_b32 exec_lo, exec_lo, s1
	s_and_saveexec_b32 s1, s0
	s_cbranch_execz .LBB222_25
; %bb.3:
	s_load_dwordx2 s[0:1], s[4:5], 0x0
	v_lshrrev_b32_e32 v5, 2, v0
	v_lshl_or_b32 v5, s6, 5, v5
	s_waitcnt lgkmcnt(0)
	v_cmp_gt_i32_e32 vcc_lo, s0, v5
	s_and_b32 exec_lo, exec_lo, vcc_lo
	s_cbranch_execz .LBB222_25
; %bb.4:
	s_load_dwordx8 s[8:15], s[4:5], 0x10
	v_ashrrev_i32_e32 v6, 31, v5
	v_and_b32_e32 v0, 3, v0
	s_cmp_lg_u32 s1, 0
	v_lshlrev_b64 v[6:7], 2, v[5:6]
	s_waitcnt lgkmcnt(0)
	v_add_co_u32 v6, vcc_lo, s8, v6
	v_add_co_ci_u32_e64 v7, null, s9, v7, vcc_lo
	global_load_dwordx2 v[6:7], v[6:7], off
	s_waitcnt vmcnt(0)
	v_subrev_nc_u32_e32 v6, s2, v6
	v_subrev_nc_u32_e32 v18, s2, v7
	v_add_nc_u32_e32 v6, v6, v0
	v_cmp_lt_i32_e64 s0, v6, v18
	s_cbranch_scc0 .LBB222_12
; %bb.5:
	v_mov_b32_e32 v16, 0
	v_mov_b32_e32 v19, 0
	;; [unrolled: 1-line block ×4, first 2 shown]
	s_and_saveexec_b32 s3, s0
	s_cbranch_execz .LBB222_11
; %bb.6:
	v_lshlrev_b32_e32 v7, 5, v6
	v_mov_b32_e32 v10, 0
	v_mov_b32_e32 v11, v6
	;; [unrolled: 1-line block ×4, first 2 shown]
	v_or_b32_e32 v21, 6, v7
	v_mov_b32_e32 v20, 0
	v_mov_b32_e32 v17, 0
	s_add_u32 s8, s12, 8
	s_addc_u32 s16, s13, 0
	s_mov_b32 s9, 0
.LBB222_7:                              ; =>This Loop Header: Depth=1
                                        ;     Child Loop BB222_8 Depth 2
	v_ashrrev_i32_e32 v12, 31, v11
	v_mov_b32_e32 v14, v21
	s_mov_b64 s[6:7], 0
	v_lshlrev_b64 v[8:9], 2, v[11:12]
	v_add_co_u32 v8, vcc_lo, s10, v8
	v_add_co_ci_u32_e64 v9, null, s11, v9, vcc_lo
	global_load_dword v8, v[8:9], off
	s_waitcnt vmcnt(0)
	v_subrev_nc_u32_e32 v9, s2, v8
	v_mov_b32_e32 v8, v10
	v_lshlrev_b32_e32 v9, 4, v9
	v_lshlrev_b64 v[12:13], 3, v[7:8]
	v_lshlrev_b64 v[8:9], 3, v[9:10]
	v_add_co_u32 v12, vcc_lo, s8, v12
	v_add_co_ci_u32_e64 v13, null, s16, v13, vcc_lo
	v_add_co_u32 v8, vcc_lo, s14, v8
	v_add_co_ci_u32_e64 v22, null, s15, v9, vcc_lo
.LBB222_8:                              ;   Parent Loop BB222_7 Depth=1
                                        ; =>  This Inner Loop Header: Depth=2
	v_add_nc_u32_e32 v9, -4, v14
	v_add_co_u32 v31, vcc_lo, v8, s6
	v_add_co_ci_u32_e64 v32, null, s7, v22, vcc_lo
	v_lshlrev_b64 v[35:36], 3, v[9:10]
	global_load_dwordx4 v[23:26], v[12:13], off offset:-8
	s_clause 0x1
	global_load_dwordx4 v[27:30], v[31:32], off offset:16
	global_load_dwordx4 v[31:34], v[31:32], off
	v_add_nc_u32_e32 v9, -2, v14
	v_mov_b32_e32 v15, v10
	v_add_co_u32 v35, vcc_lo, s12, v35
	v_add_co_ci_u32_e64 v36, null, s13, v36, vcc_lo
	v_lshlrev_b64 v[39:40], 3, v[9:10]
	v_lshlrev_b64 v[42:43], 3, v[14:15]
	v_add_nc_u32_e32 v14, 8, v14
	global_load_dwordx4 v[35:38], v[35:36], off
	s_add_u32 s6, s6, 32
	s_addc_u32 s7, s7, 0
	v_add_co_u32 v39, s1, s12, v39
	v_add_co_ci_u32_e64 v40, null, s13, v40, s1
	v_add_co_u32 v44, vcc_lo, s12, v42
	v_add_co_ci_u32_e64 v45, null, s13, v43, vcc_lo
	global_load_dwordx4 v[39:42], v[39:40], off
	v_add_co_u32 v12, vcc_lo, v12, 64
	global_load_dwordx4 v[43:46], v[44:45], off
	v_add_co_ci_u32_e64 v13, null, 0, v13, vcc_lo
	s_cmpk_eq_i32 s6, 0x80
	s_waitcnt vmcnt(3)
	v_fmac_f32_e32 v19, v23, v31
	v_fmac_f32_e32 v16, v24, v31
	v_fmac_f32_e32 v20, v25, v31
	v_fmac_f32_e32 v17, v26, v31
	v_fma_f32 v9, -v24, v32, v19
	v_fmac_f32_e32 v16, v23, v32
	v_fma_f32 v15, -v26, v32, v20
	v_fmac_f32_e32 v17, v25, v32
	s_waitcnt vmcnt(2)
	v_fmac_f32_e32 v9, v35, v33
	v_fmac_f32_e32 v16, v36, v33
	v_fmac_f32_e32 v15, v37, v33
	v_fmac_f32_e32 v17, v38, v33
	v_fma_f32 v9, -v36, v34, v9
	v_fmac_f32_e32 v16, v35, v34
	v_fma_f32 v15, -v38, v34, v15
	v_fmac_f32_e32 v17, v37, v34
	;; [unrolled: 9-line block ×4, first 2 shown]
	s_cbranch_scc0 .LBB222_8
; %bb.9:                                ;   in Loop: Header=BB222_7 Depth=1
	v_add_nc_u32_e32 v11, 4, v11
	v_add_nc_u32_e32 v21, 0x80, v21
	;; [unrolled: 1-line block ×3, first 2 shown]
	v_cmp_ge_i32_e32 vcc_lo, v11, v18
	s_or_b32 s9, vcc_lo, s9
	s_andn2_b32 exec_lo, exec_lo, s9
	s_cbranch_execnz .LBB222_7
; %bb.10:
	s_or_b32 exec_lo, exec_lo, s9
.LBB222_11:
	s_or_b32 exec_lo, exec_lo, s3
	s_cbranch_execz .LBB222_13
	s_branch .LBB222_20
.LBB222_12:
                                        ; implicit-def: $vgpr16
                                        ; implicit-def: $vgpr19
                                        ; implicit-def: $vgpr20
                                        ; implicit-def: $vgpr17
.LBB222_13:
	v_mov_b32_e32 v16, 0
	v_mov_b32_e32 v19, 0
	;; [unrolled: 1-line block ×4, first 2 shown]
	s_and_saveexec_b32 s3, s0
	s_cbranch_execz .LBB222_19
; %bb.14:
	v_mov_b32_e32 v9, 0
	v_lshlrev_b32_e32 v8, 5, v6
	s_mov_b32 s6, 0
	v_mov_b32_e32 v16, v9
	v_mov_b32_e32 v19, v9
	;; [unrolled: 1-line block ×4, first 2 shown]
.LBB222_15:                             ; =>This Loop Header: Depth=1
                                        ;     Child Loop BB222_16 Depth 2
	v_ashrrev_i32_e32 v7, 31, v6
	v_lshlrev_b64 v[12:13], 3, v[8:9]
	s_mov_b64 s[0:1], 0
	v_lshlrev_b64 v[10:11], 2, v[6:7]
	v_add_co_u32 v10, vcc_lo, s10, v10
	v_add_co_ci_u32_e64 v11, null, s11, v11, vcc_lo
	global_load_dword v7, v[10:11], off
	v_mov_b32_e32 v11, v9
	s_waitcnt vmcnt(0)
	v_subrev_nc_u32_e32 v7, s2, v7
	v_lshlrev_b32_e32 v10, 4, v7
	v_add_co_u32 v7, vcc_lo, s12, v12
	v_lshlrev_b64 v[14:15], 3, v[10:11]
	v_add_co_ci_u32_e64 v10, null, s13, v13, vcc_lo
	v_add_co_u32 v11, vcc_lo, s14, v14
	v_add_co_ci_u32_e64 v12, null, s15, v15, vcc_lo
.LBB222_16:                             ;   Parent Loop BB222_15 Depth=1
                                        ; =>  This Inner Loop Header: Depth=2
	v_add_co_u32 v13, vcc_lo, v7, s0
	v_add_co_ci_u32_e64 v14, null, s1, v10, vcc_lo
	v_add_co_u32 v37, vcc_lo, v11, s0
	v_add_co_ci_u32_e64 v38, null, s1, v12, vcc_lo
	global_load_dwordx4 v[21:24], v[13:14], off
	global_load_dwordx4 v[25:28], v[37:38], off
	s_clause 0x1
	global_load_dwordx4 v[29:32], v[13:14], off offset:128
	global_load_dwordx4 v[33:36], v[13:14], off offset:16
	;; [unrolled: 1-line block ×4, first 2 shown]
	s_add_u32 s0, s0, 32
	s_addc_u32 s1, s1, 0
	s_cmpk_eq_i32 s0, 0x80
	s_waitcnt vmcnt(4)
	v_fmac_f32_e32 v19, v21, v25
	v_fmac_f32_e32 v16, v22, v25
	s_waitcnt vmcnt(3)
	v_fmac_f32_e32 v20, v29, v25
	v_fmac_f32_e32 v17, v30, v25
	v_fma_f32 v13, -v22, v26, v19
	v_fmac_f32_e32 v16, v21, v26
	v_fma_f32 v14, -v30, v26, v20
	v_fmac_f32_e32 v17, v29, v26
	v_fmac_f32_e32 v13, v23, v27
	;; [unrolled: 1-line block ×5, first 2 shown]
	v_fma_f32 v13, -v24, v28, v13
	v_fmac_f32_e32 v16, v23, v28
	v_fma_f32 v14, -v32, v28, v14
	v_fmac_f32_e32 v17, v31, v28
	s_waitcnt vmcnt(1)
	v_fmac_f32_e32 v13, v33, v37
	v_fmac_f32_e32 v16, v34, v37
	s_waitcnt vmcnt(0)
	v_fmac_f32_e32 v14, v41, v37
	v_fmac_f32_e32 v17, v42, v37
	v_fma_f32 v13, -v34, v38, v13
	v_fmac_f32_e32 v16, v33, v38
	v_fma_f32 v14, -v42, v38, v14
	v_fmac_f32_e32 v17, v41, v38
	v_fmac_f32_e32 v13, v35, v39
	;; [unrolled: 1-line block ×5, first 2 shown]
	v_fma_f32 v19, -v36, v40, v13
	v_fmac_f32_e32 v16, v35, v40
	v_fma_f32 v20, -v44, v40, v14
	v_fmac_f32_e32 v17, v43, v40
	s_cbranch_scc0 .LBB222_16
; %bb.17:                               ;   in Loop: Header=BB222_15 Depth=1
	v_add_nc_u32_e32 v6, 4, v6
	v_add_nc_u32_e32 v8, 0x80, v8
	v_cmp_ge_i32_e32 vcc_lo, v6, v18
	s_or_b32 s6, vcc_lo, s6
	s_andn2_b32 exec_lo, exec_lo, s6
	s_cbranch_execnz .LBB222_15
; %bb.18:
	s_or_b32 exec_lo, exec_lo, s6
.LBB222_19:
	s_or_b32 exec_lo, exec_lo, s3
.LBB222_20:
	v_mbcnt_lo_u32_b32 v6, -1, 0
	v_xor_b32_e32 v7, 2, v6
	v_xor_b32_e32 v11, 1, v6
	v_cmp_gt_i32_e32 vcc_lo, 32, v7
	v_cndmask_b32_e32 v7, v6, v7, vcc_lo
	v_cmp_gt_i32_e32 vcc_lo, 32, v11
	v_lshlrev_b32_e32 v7, 2, v7
	v_cndmask_b32_e32 v6, v6, v11, vcc_lo
	v_cmp_eq_u32_e32 vcc_lo, 3, v0
	ds_bpermute_b32 v8, v7, v19
	ds_bpermute_b32 v9, v7, v16
	;; [unrolled: 1-line block ×4, first 2 shown]
	v_lshlrev_b32_e32 v11, 2, v6
	s_waitcnt lgkmcnt(3)
	v_add_f32_e32 v8, v19, v8
	s_waitcnt lgkmcnt(2)
	v_add_f32_e32 v9, v16, v9
	;; [unrolled: 2-line block ×4, first 2 shown]
	ds_bpermute_b32 v12, v11, v8
	ds_bpermute_b32 v13, v11, v9
	ds_bpermute_b32 v10, v11, v6
	ds_bpermute_b32 v11, v11, v7
	s_and_b32 exec_lo, exec_lo, vcc_lo
	s_cbranch_execz .LBB222_25
; %bb.21:
	s_load_dwordx2 s[2:3], s[4:5], 0x38
	v_cmp_eq_f32_e32 vcc_lo, 0, v3
	v_cmp_eq_f32_e64 s0, 0, v4
	s_waitcnt lgkmcnt(0)
	v_add_f32_e32 v0, v8, v12
	v_add_f32_e32 v8, v9, v13
	;; [unrolled: 1-line block ×4, first 2 shown]
	s_and_b32 s0, vcc_lo, s0
	s_and_saveexec_b32 s1, s0
	s_xor_b32 s0, exec_lo, s1
	s_cbranch_execz .LBB222_23
; %bb.22:
	v_lshlrev_b32_e32 v3, 1, v5
	v_mul_f32_e64 v9, v8, -v2
	v_mul_f32_e32 v10, v1, v8
	v_mul_f32_e64 v11, v7, -v2
	v_mul_f32_e32 v12, v1, v7
	v_ashrrev_i32_e32 v4, 31, v3
	v_fmac_f32_e32 v9, v1, v0
	v_fmac_f32_e32 v10, v2, v0
	v_fmac_f32_e32 v11, v1, v6
	v_fmac_f32_e32 v12, v2, v6
	v_lshlrev_b64 v[3:4], 3, v[3:4]
                                        ; implicit-def: $vgpr5
                                        ; implicit-def: $vgpr8
                                        ; implicit-def: $vgpr7
                                        ; implicit-def: $vgpr6
	v_add_co_u32 v0, vcc_lo, s2, v3
	v_add_co_ci_u32_e64 v1, null, s3, v4, vcc_lo
                                        ; implicit-def: $vgpr3_vgpr4
	global_store_dwordx4 v[0:1], v[9:12], off
                                        ; implicit-def: $vgpr1_vgpr2
                                        ; implicit-def: $vgpr0
.LBB222_23:
	s_andn2_saveexec_b32 s0, s0
	s_cbranch_execz .LBB222_25
; %bb.24:
	v_lshlrev_b32_e32 v9, 1, v5
	v_mul_f32_e64 v5, v8, -v2
	v_mul_f32_e32 v14, v1, v8
	v_mul_f32_e64 v8, v7, -v2
	v_mul_f32_e32 v16, v1, v7
	v_ashrrev_i32_e32 v10, 31, v9
	v_fmac_f32_e32 v5, v1, v0
	v_fmac_f32_e32 v14, v2, v0
	;; [unrolled: 1-line block ×4, first 2 shown]
	v_lshlrev_b64 v[9:10], 3, v[9:10]
	v_add_co_u32 v17, vcc_lo, s2, v9
	v_add_co_ci_u32_e64 v18, null, s3, v10, vcc_lo
	global_load_dwordx4 v[9:12], v[17:18], off
	s_waitcnt vmcnt(0)
	v_fmac_f32_e32 v5, v3, v9
	v_fmac_f32_e32 v14, v4, v9
	v_fmac_f32_e32 v8, v3, v11
	v_fmac_f32_e32 v16, v4, v11
	v_fma_f32 v13, -v4, v10, v5
	v_fmac_f32_e32 v14, v3, v10
	v_fma_f32 v15, -v4, v12, v8
	v_fmac_f32_e32 v16, v3, v12
	global_store_dwordx4 v[17:18], v[13:16], off
.LBB222_25:
	s_endpgm
	.section	.rodata,"a",@progbits
	.p2align	6, 0x0
	.amdhsa_kernel _ZN9rocsparseL19gebsrmvn_2xn_kernelILj128ELj16ELj4E21rocsparse_complex_numIfEEEvi20rocsparse_direction_NS_24const_host_device_scalarIT2_EEPKiS8_PKS5_SA_S6_PS5_21rocsparse_index_base_b
		.amdhsa_group_segment_fixed_size 0
		.amdhsa_private_segment_fixed_size 0
		.amdhsa_kernarg_size 72
		.amdhsa_user_sgpr_count 6
		.amdhsa_user_sgpr_private_segment_buffer 1
		.amdhsa_user_sgpr_dispatch_ptr 0
		.amdhsa_user_sgpr_queue_ptr 0
		.amdhsa_user_sgpr_kernarg_segment_ptr 1
		.amdhsa_user_sgpr_dispatch_id 0
		.amdhsa_user_sgpr_flat_scratch_init 0
		.amdhsa_user_sgpr_private_segment_size 0
		.amdhsa_wavefront_size32 1
		.amdhsa_uses_dynamic_stack 0
		.amdhsa_system_sgpr_private_segment_wavefront_offset 0
		.amdhsa_system_sgpr_workgroup_id_x 1
		.amdhsa_system_sgpr_workgroup_id_y 0
		.amdhsa_system_sgpr_workgroup_id_z 0
		.amdhsa_system_sgpr_workgroup_info 0
		.amdhsa_system_vgpr_workitem_id 0
		.amdhsa_next_free_vgpr 47
		.amdhsa_next_free_sgpr 17
		.amdhsa_reserve_vcc 1
		.amdhsa_reserve_flat_scratch 0
		.amdhsa_float_round_mode_32 0
		.amdhsa_float_round_mode_16_64 0
		.amdhsa_float_denorm_mode_32 3
		.amdhsa_float_denorm_mode_16_64 3
		.amdhsa_dx10_clamp 1
		.amdhsa_ieee_mode 1
		.amdhsa_fp16_overflow 0
		.amdhsa_workgroup_processor_mode 1
		.amdhsa_memory_ordered 1
		.amdhsa_forward_progress 1
		.amdhsa_shared_vgpr_count 0
		.amdhsa_exception_fp_ieee_invalid_op 0
		.amdhsa_exception_fp_denorm_src 0
		.amdhsa_exception_fp_ieee_div_zero 0
		.amdhsa_exception_fp_ieee_overflow 0
		.amdhsa_exception_fp_ieee_underflow 0
		.amdhsa_exception_fp_ieee_inexact 0
		.amdhsa_exception_int_div_zero 0
	.end_amdhsa_kernel
	.section	.text._ZN9rocsparseL19gebsrmvn_2xn_kernelILj128ELj16ELj4E21rocsparse_complex_numIfEEEvi20rocsparse_direction_NS_24const_host_device_scalarIT2_EEPKiS8_PKS5_SA_S6_PS5_21rocsparse_index_base_b,"axG",@progbits,_ZN9rocsparseL19gebsrmvn_2xn_kernelILj128ELj16ELj4E21rocsparse_complex_numIfEEEvi20rocsparse_direction_NS_24const_host_device_scalarIT2_EEPKiS8_PKS5_SA_S6_PS5_21rocsparse_index_base_b,comdat
.Lfunc_end222:
	.size	_ZN9rocsparseL19gebsrmvn_2xn_kernelILj128ELj16ELj4E21rocsparse_complex_numIfEEEvi20rocsparse_direction_NS_24const_host_device_scalarIT2_EEPKiS8_PKS5_SA_S6_PS5_21rocsparse_index_base_b, .Lfunc_end222-_ZN9rocsparseL19gebsrmvn_2xn_kernelILj128ELj16ELj4E21rocsparse_complex_numIfEEEvi20rocsparse_direction_NS_24const_host_device_scalarIT2_EEPKiS8_PKS5_SA_S6_PS5_21rocsparse_index_base_b
                                        ; -- End function
	.set _ZN9rocsparseL19gebsrmvn_2xn_kernelILj128ELj16ELj4E21rocsparse_complex_numIfEEEvi20rocsparse_direction_NS_24const_host_device_scalarIT2_EEPKiS8_PKS5_SA_S6_PS5_21rocsparse_index_base_b.num_vgpr, 47
	.set _ZN9rocsparseL19gebsrmvn_2xn_kernelILj128ELj16ELj4E21rocsparse_complex_numIfEEEvi20rocsparse_direction_NS_24const_host_device_scalarIT2_EEPKiS8_PKS5_SA_S6_PS5_21rocsparse_index_base_b.num_agpr, 0
	.set _ZN9rocsparseL19gebsrmvn_2xn_kernelILj128ELj16ELj4E21rocsparse_complex_numIfEEEvi20rocsparse_direction_NS_24const_host_device_scalarIT2_EEPKiS8_PKS5_SA_S6_PS5_21rocsparse_index_base_b.numbered_sgpr, 17
	.set _ZN9rocsparseL19gebsrmvn_2xn_kernelILj128ELj16ELj4E21rocsparse_complex_numIfEEEvi20rocsparse_direction_NS_24const_host_device_scalarIT2_EEPKiS8_PKS5_SA_S6_PS5_21rocsparse_index_base_b.num_named_barrier, 0
	.set _ZN9rocsparseL19gebsrmvn_2xn_kernelILj128ELj16ELj4E21rocsparse_complex_numIfEEEvi20rocsparse_direction_NS_24const_host_device_scalarIT2_EEPKiS8_PKS5_SA_S6_PS5_21rocsparse_index_base_b.private_seg_size, 0
	.set _ZN9rocsparseL19gebsrmvn_2xn_kernelILj128ELj16ELj4E21rocsparse_complex_numIfEEEvi20rocsparse_direction_NS_24const_host_device_scalarIT2_EEPKiS8_PKS5_SA_S6_PS5_21rocsparse_index_base_b.uses_vcc, 1
	.set _ZN9rocsparseL19gebsrmvn_2xn_kernelILj128ELj16ELj4E21rocsparse_complex_numIfEEEvi20rocsparse_direction_NS_24const_host_device_scalarIT2_EEPKiS8_PKS5_SA_S6_PS5_21rocsparse_index_base_b.uses_flat_scratch, 0
	.set _ZN9rocsparseL19gebsrmvn_2xn_kernelILj128ELj16ELj4E21rocsparse_complex_numIfEEEvi20rocsparse_direction_NS_24const_host_device_scalarIT2_EEPKiS8_PKS5_SA_S6_PS5_21rocsparse_index_base_b.has_dyn_sized_stack, 0
	.set _ZN9rocsparseL19gebsrmvn_2xn_kernelILj128ELj16ELj4E21rocsparse_complex_numIfEEEvi20rocsparse_direction_NS_24const_host_device_scalarIT2_EEPKiS8_PKS5_SA_S6_PS5_21rocsparse_index_base_b.has_recursion, 0
	.set _ZN9rocsparseL19gebsrmvn_2xn_kernelILj128ELj16ELj4E21rocsparse_complex_numIfEEEvi20rocsparse_direction_NS_24const_host_device_scalarIT2_EEPKiS8_PKS5_SA_S6_PS5_21rocsparse_index_base_b.has_indirect_call, 0
	.section	.AMDGPU.csdata,"",@progbits
; Kernel info:
; codeLenInByte = 1776
; TotalNumSgprs: 19
; NumVgprs: 47
; ScratchSize: 0
; MemoryBound: 0
; FloatMode: 240
; IeeeMode: 1
; LDSByteSize: 0 bytes/workgroup (compile time only)
; SGPRBlocks: 0
; VGPRBlocks: 5
; NumSGPRsForWavesPerEU: 19
; NumVGPRsForWavesPerEU: 47
; Occupancy: 16
; WaveLimiterHint : 1
; COMPUTE_PGM_RSRC2:SCRATCH_EN: 0
; COMPUTE_PGM_RSRC2:USER_SGPR: 6
; COMPUTE_PGM_RSRC2:TRAP_HANDLER: 0
; COMPUTE_PGM_RSRC2:TGID_X_EN: 1
; COMPUTE_PGM_RSRC2:TGID_Y_EN: 0
; COMPUTE_PGM_RSRC2:TGID_Z_EN: 0
; COMPUTE_PGM_RSRC2:TIDIG_COMP_CNT: 0
	.section	.text._ZN9rocsparseL19gebsrmvn_2xn_kernelILj128ELj16ELj8E21rocsparse_complex_numIfEEEvi20rocsparse_direction_NS_24const_host_device_scalarIT2_EEPKiS8_PKS5_SA_S6_PS5_21rocsparse_index_base_b,"axG",@progbits,_ZN9rocsparseL19gebsrmvn_2xn_kernelILj128ELj16ELj8E21rocsparse_complex_numIfEEEvi20rocsparse_direction_NS_24const_host_device_scalarIT2_EEPKiS8_PKS5_SA_S6_PS5_21rocsparse_index_base_b,comdat
	.globl	_ZN9rocsparseL19gebsrmvn_2xn_kernelILj128ELj16ELj8E21rocsparse_complex_numIfEEEvi20rocsparse_direction_NS_24const_host_device_scalarIT2_EEPKiS8_PKS5_SA_S6_PS5_21rocsparse_index_base_b ; -- Begin function _ZN9rocsparseL19gebsrmvn_2xn_kernelILj128ELj16ELj8E21rocsparse_complex_numIfEEEvi20rocsparse_direction_NS_24const_host_device_scalarIT2_EEPKiS8_PKS5_SA_S6_PS5_21rocsparse_index_base_b
	.p2align	8
	.type	_ZN9rocsparseL19gebsrmvn_2xn_kernelILj128ELj16ELj8E21rocsparse_complex_numIfEEEvi20rocsparse_direction_NS_24const_host_device_scalarIT2_EEPKiS8_PKS5_SA_S6_PS5_21rocsparse_index_base_b,@function
_ZN9rocsparseL19gebsrmvn_2xn_kernelILj128ELj16ELj8E21rocsparse_complex_numIfEEEvi20rocsparse_direction_NS_24const_host_device_scalarIT2_EEPKiS8_PKS5_SA_S6_PS5_21rocsparse_index_base_b: ; @_ZN9rocsparseL19gebsrmvn_2xn_kernelILj128ELj16ELj8E21rocsparse_complex_numIfEEEvi20rocsparse_direction_NS_24const_host_device_scalarIT2_EEPKiS8_PKS5_SA_S6_PS5_21rocsparse_index_base_b
; %bb.0:
	s_clause 0x2
	s_load_dwordx2 s[2:3], s[4:5], 0x40
	s_load_dwordx2 s[0:1], s[4:5], 0x8
	;; [unrolled: 1-line block ×3, first 2 shown]
	s_add_u32 s7, s4, 8
	s_addc_u32 s10, s5, 0
	s_add_u32 s11, s4, 48
	s_addc_u32 s12, s5, 0
	s_waitcnt lgkmcnt(0)
	s_bitcmp1_b32 s3, 0
	s_cselect_b32 s0, s7, s0
	s_cselect_b32 s1, s10, s1
	v_mov_b32_e32 v1, s0
	v_mov_b32_e32 v2, s1
	s_cselect_b32 s0, s11, s8
	s_cselect_b32 s1, s12, s9
	v_mov_b32_e32 v3, s0
	v_mov_b32_e32 v4, s1
	flat_load_dwordx2 v[1:2], v[1:2]
	flat_load_dwordx2 v[3:4], v[3:4]
	s_waitcnt vmcnt(1) lgkmcnt(1)
	v_cmp_eq_f32_e32 vcc_lo, 0, v1
	v_cmp_eq_f32_e64 s0, 0, v2
	s_and_b32 s3, vcc_lo, s0
	s_mov_b32 s0, -1
	s_and_saveexec_b32 s1, s3
	s_cbranch_execz .LBB223_2
; %bb.1:
	s_waitcnt vmcnt(0) lgkmcnt(0)
	v_cmp_neq_f32_e32 vcc_lo, 1.0, v3
	v_cmp_neq_f32_e64 s0, 0, v4
	s_or_b32 s0, vcc_lo, s0
	s_orn2_b32 s0, s0, exec_lo
.LBB223_2:
	s_or_b32 exec_lo, exec_lo, s1
	s_and_saveexec_b32 s1, s0
	s_cbranch_execz .LBB223_25
; %bb.3:
	s_load_dwordx2 s[0:1], s[4:5], 0x0
	v_lshrrev_b32_e32 v5, 3, v0
	v_lshl_or_b32 v5, s6, 4, v5
	s_waitcnt lgkmcnt(0)
	v_cmp_gt_i32_e32 vcc_lo, s0, v5
	s_and_b32 exec_lo, exec_lo, vcc_lo
	s_cbranch_execz .LBB223_25
; %bb.4:
	s_load_dwordx8 s[8:15], s[4:5], 0x10
	v_ashrrev_i32_e32 v6, 31, v5
	v_and_b32_e32 v0, 7, v0
	s_cmp_lg_u32 s1, 0
	v_lshlrev_b64 v[6:7], 2, v[5:6]
	s_waitcnt lgkmcnt(0)
	v_add_co_u32 v6, vcc_lo, s8, v6
	v_add_co_ci_u32_e64 v7, null, s9, v7, vcc_lo
	global_load_dwordx2 v[6:7], v[6:7], off
	s_waitcnt vmcnt(0)
	v_subrev_nc_u32_e32 v6, s2, v6
	v_subrev_nc_u32_e32 v18, s2, v7
	v_add_nc_u32_e32 v6, v6, v0
	v_cmp_lt_i32_e64 s0, v6, v18
	s_cbranch_scc0 .LBB223_12
; %bb.5:
	v_mov_b32_e32 v16, 0
	v_mov_b32_e32 v19, 0
	;; [unrolled: 1-line block ×4, first 2 shown]
	s_and_saveexec_b32 s3, s0
	s_cbranch_execz .LBB223_11
; %bb.6:
	v_lshlrev_b32_e32 v7, 5, v6
	v_mov_b32_e32 v10, 0
	v_mov_b32_e32 v11, v6
	;; [unrolled: 1-line block ×4, first 2 shown]
	v_or_b32_e32 v21, 6, v7
	v_mov_b32_e32 v20, 0
	v_mov_b32_e32 v17, 0
	s_add_u32 s8, s12, 8
	s_addc_u32 s16, s13, 0
	s_mov_b32 s9, 0
.LBB223_7:                              ; =>This Loop Header: Depth=1
                                        ;     Child Loop BB223_8 Depth 2
	v_ashrrev_i32_e32 v12, 31, v11
	v_mov_b32_e32 v14, v21
	s_mov_b64 s[6:7], 0
	v_lshlrev_b64 v[8:9], 2, v[11:12]
	v_add_co_u32 v8, vcc_lo, s10, v8
	v_add_co_ci_u32_e64 v9, null, s11, v9, vcc_lo
	global_load_dword v8, v[8:9], off
	s_waitcnt vmcnt(0)
	v_subrev_nc_u32_e32 v9, s2, v8
	v_mov_b32_e32 v8, v10
	v_lshlrev_b32_e32 v9, 4, v9
	v_lshlrev_b64 v[12:13], 3, v[7:8]
	v_lshlrev_b64 v[8:9], 3, v[9:10]
	v_add_co_u32 v12, vcc_lo, s8, v12
	v_add_co_ci_u32_e64 v13, null, s16, v13, vcc_lo
	v_add_co_u32 v8, vcc_lo, s14, v8
	v_add_co_ci_u32_e64 v22, null, s15, v9, vcc_lo
.LBB223_8:                              ;   Parent Loop BB223_7 Depth=1
                                        ; =>  This Inner Loop Header: Depth=2
	v_add_nc_u32_e32 v9, -4, v14
	v_add_co_u32 v31, vcc_lo, v8, s6
	v_add_co_ci_u32_e64 v32, null, s7, v22, vcc_lo
	v_lshlrev_b64 v[35:36], 3, v[9:10]
	global_load_dwordx4 v[23:26], v[12:13], off offset:-8
	s_clause 0x1
	global_load_dwordx4 v[27:30], v[31:32], off offset:16
	global_load_dwordx4 v[31:34], v[31:32], off
	v_add_nc_u32_e32 v9, -2, v14
	v_mov_b32_e32 v15, v10
	v_add_co_u32 v35, vcc_lo, s12, v35
	v_add_co_ci_u32_e64 v36, null, s13, v36, vcc_lo
	v_lshlrev_b64 v[39:40], 3, v[9:10]
	v_lshlrev_b64 v[42:43], 3, v[14:15]
	v_add_nc_u32_e32 v14, 8, v14
	global_load_dwordx4 v[35:38], v[35:36], off
	s_add_u32 s6, s6, 32
	s_addc_u32 s7, s7, 0
	v_add_co_u32 v39, s1, s12, v39
	v_add_co_ci_u32_e64 v40, null, s13, v40, s1
	v_add_co_u32 v44, vcc_lo, s12, v42
	v_add_co_ci_u32_e64 v45, null, s13, v43, vcc_lo
	global_load_dwordx4 v[39:42], v[39:40], off
	v_add_co_u32 v12, vcc_lo, v12, 64
	global_load_dwordx4 v[43:46], v[44:45], off
	v_add_co_ci_u32_e64 v13, null, 0, v13, vcc_lo
	s_cmpk_eq_i32 s6, 0x80
	s_waitcnt vmcnt(3)
	v_fmac_f32_e32 v19, v23, v31
	v_fmac_f32_e32 v16, v24, v31
	v_fmac_f32_e32 v20, v25, v31
	v_fmac_f32_e32 v17, v26, v31
	v_fma_f32 v9, -v24, v32, v19
	v_fmac_f32_e32 v16, v23, v32
	v_fma_f32 v15, -v26, v32, v20
	v_fmac_f32_e32 v17, v25, v32
	s_waitcnt vmcnt(2)
	v_fmac_f32_e32 v9, v35, v33
	v_fmac_f32_e32 v16, v36, v33
	v_fmac_f32_e32 v15, v37, v33
	v_fmac_f32_e32 v17, v38, v33
	v_fma_f32 v9, -v36, v34, v9
	v_fmac_f32_e32 v16, v35, v34
	v_fma_f32 v15, -v38, v34, v15
	v_fmac_f32_e32 v17, v37, v34
	;; [unrolled: 9-line block ×4, first 2 shown]
	s_cbranch_scc0 .LBB223_8
; %bb.9:                                ;   in Loop: Header=BB223_7 Depth=1
	v_add_nc_u32_e32 v11, 8, v11
	v_add_nc_u32_e32 v21, 0x100, v21
	;; [unrolled: 1-line block ×3, first 2 shown]
	v_cmp_ge_i32_e32 vcc_lo, v11, v18
	s_or_b32 s9, vcc_lo, s9
	s_andn2_b32 exec_lo, exec_lo, s9
	s_cbranch_execnz .LBB223_7
; %bb.10:
	s_or_b32 exec_lo, exec_lo, s9
.LBB223_11:
	s_or_b32 exec_lo, exec_lo, s3
	s_cbranch_execz .LBB223_13
	s_branch .LBB223_20
.LBB223_12:
                                        ; implicit-def: $vgpr16
                                        ; implicit-def: $vgpr19
                                        ; implicit-def: $vgpr20
                                        ; implicit-def: $vgpr17
.LBB223_13:
	v_mov_b32_e32 v16, 0
	v_mov_b32_e32 v19, 0
	;; [unrolled: 1-line block ×4, first 2 shown]
	s_and_saveexec_b32 s3, s0
	s_cbranch_execz .LBB223_19
; %bb.14:
	v_mov_b32_e32 v9, 0
	v_lshlrev_b32_e32 v8, 5, v6
	s_mov_b32 s6, 0
	v_mov_b32_e32 v16, v9
	v_mov_b32_e32 v19, v9
	;; [unrolled: 1-line block ×4, first 2 shown]
.LBB223_15:                             ; =>This Loop Header: Depth=1
                                        ;     Child Loop BB223_16 Depth 2
	v_ashrrev_i32_e32 v7, 31, v6
	v_lshlrev_b64 v[12:13], 3, v[8:9]
	s_mov_b64 s[0:1], 0
	v_lshlrev_b64 v[10:11], 2, v[6:7]
	v_add_co_u32 v10, vcc_lo, s10, v10
	v_add_co_ci_u32_e64 v11, null, s11, v11, vcc_lo
	global_load_dword v7, v[10:11], off
	v_mov_b32_e32 v11, v9
	s_waitcnt vmcnt(0)
	v_subrev_nc_u32_e32 v7, s2, v7
	v_lshlrev_b32_e32 v10, 4, v7
	v_add_co_u32 v7, vcc_lo, s12, v12
	v_lshlrev_b64 v[14:15], 3, v[10:11]
	v_add_co_ci_u32_e64 v10, null, s13, v13, vcc_lo
	v_add_co_u32 v11, vcc_lo, s14, v14
	v_add_co_ci_u32_e64 v12, null, s15, v15, vcc_lo
.LBB223_16:                             ;   Parent Loop BB223_15 Depth=1
                                        ; =>  This Inner Loop Header: Depth=2
	v_add_co_u32 v13, vcc_lo, v7, s0
	v_add_co_ci_u32_e64 v14, null, s1, v10, vcc_lo
	v_add_co_u32 v37, vcc_lo, v11, s0
	v_add_co_ci_u32_e64 v38, null, s1, v12, vcc_lo
	global_load_dwordx4 v[21:24], v[13:14], off
	global_load_dwordx4 v[25:28], v[37:38], off
	s_clause 0x1
	global_load_dwordx4 v[29:32], v[13:14], off offset:128
	global_load_dwordx4 v[33:36], v[13:14], off offset:16
	;; [unrolled: 1-line block ×4, first 2 shown]
	s_add_u32 s0, s0, 32
	s_addc_u32 s1, s1, 0
	s_cmpk_eq_i32 s0, 0x80
	s_waitcnt vmcnt(4)
	v_fmac_f32_e32 v19, v21, v25
	v_fmac_f32_e32 v16, v22, v25
	s_waitcnt vmcnt(3)
	v_fmac_f32_e32 v20, v29, v25
	v_fmac_f32_e32 v17, v30, v25
	v_fma_f32 v13, -v22, v26, v19
	v_fmac_f32_e32 v16, v21, v26
	v_fma_f32 v14, -v30, v26, v20
	v_fmac_f32_e32 v17, v29, v26
	v_fmac_f32_e32 v13, v23, v27
	;; [unrolled: 1-line block ×5, first 2 shown]
	v_fma_f32 v13, -v24, v28, v13
	v_fmac_f32_e32 v16, v23, v28
	v_fma_f32 v14, -v32, v28, v14
	v_fmac_f32_e32 v17, v31, v28
	s_waitcnt vmcnt(1)
	v_fmac_f32_e32 v13, v33, v37
	v_fmac_f32_e32 v16, v34, v37
	s_waitcnt vmcnt(0)
	v_fmac_f32_e32 v14, v41, v37
	v_fmac_f32_e32 v17, v42, v37
	v_fma_f32 v13, -v34, v38, v13
	v_fmac_f32_e32 v16, v33, v38
	v_fma_f32 v14, -v42, v38, v14
	v_fmac_f32_e32 v17, v41, v38
	v_fmac_f32_e32 v13, v35, v39
	;; [unrolled: 1-line block ×5, first 2 shown]
	v_fma_f32 v19, -v36, v40, v13
	v_fmac_f32_e32 v16, v35, v40
	v_fma_f32 v20, -v44, v40, v14
	v_fmac_f32_e32 v17, v43, v40
	s_cbranch_scc0 .LBB223_16
; %bb.17:                               ;   in Loop: Header=BB223_15 Depth=1
	v_add_nc_u32_e32 v6, 8, v6
	v_add_nc_u32_e32 v8, 0x100, v8
	v_cmp_ge_i32_e32 vcc_lo, v6, v18
	s_or_b32 s6, vcc_lo, s6
	s_andn2_b32 exec_lo, exec_lo, s6
	s_cbranch_execnz .LBB223_15
; %bb.18:
	s_or_b32 exec_lo, exec_lo, s6
.LBB223_19:
	s_or_b32 exec_lo, exec_lo, s3
.LBB223_20:
	v_mbcnt_lo_u32_b32 v6, -1, 0
	v_xor_b32_e32 v7, 4, v6
	v_xor_b32_e32 v11, 2, v6
	;; [unrolled: 1-line block ×3, first 2 shown]
	v_cmp_gt_i32_e32 vcc_lo, 32, v7
	v_cndmask_b32_e32 v7, v6, v7, vcc_lo
	v_cmp_gt_i32_e32 vcc_lo, 32, v11
	v_lshlrev_b32_e32 v7, 2, v7
	v_cndmask_b32_e32 v11, v6, v11, vcc_lo
	v_cmp_gt_i32_e32 vcc_lo, 32, v15
	ds_bpermute_b32 v8, v7, v19
	ds_bpermute_b32 v9, v7, v16
	;; [unrolled: 1-line block ×4, first 2 shown]
	v_lshlrev_b32_e32 v11, 2, v11
	v_cndmask_b32_e32 v6, v6, v15, vcc_lo
	v_cmp_eq_u32_e32 vcc_lo, 7, v0
	v_lshlrev_b32_e32 v15, 2, v6
	s_waitcnt lgkmcnt(3)
	v_add_f32_e32 v8, v19, v8
	s_waitcnt lgkmcnt(2)
	v_add_f32_e32 v9, v16, v9
	;; [unrolled: 2-line block ×4, first 2 shown]
	ds_bpermute_b32 v12, v11, v8
	ds_bpermute_b32 v13, v11, v9
	;; [unrolled: 1-line block ×4, first 2 shown]
	s_waitcnt lgkmcnt(3)
	v_add_f32_e32 v8, v8, v12
	s_waitcnt lgkmcnt(2)
	v_add_f32_e32 v9, v9, v13
	s_waitcnt lgkmcnt(1)
	v_add_f32_e32 v6, v10, v14
	s_waitcnt lgkmcnt(0)
	v_add_f32_e32 v7, v7, v11
	ds_bpermute_b32 v12, v15, v8
	ds_bpermute_b32 v13, v15, v9
	;; [unrolled: 1-line block ×4, first 2 shown]
	s_and_b32 exec_lo, exec_lo, vcc_lo
	s_cbranch_execz .LBB223_25
; %bb.21:
	s_load_dwordx2 s[2:3], s[4:5], 0x38
	v_cmp_eq_f32_e32 vcc_lo, 0, v3
	v_cmp_eq_f32_e64 s0, 0, v4
	s_waitcnt lgkmcnt(0)
	v_add_f32_e32 v0, v8, v12
	v_add_f32_e32 v8, v9, v13
	;; [unrolled: 1-line block ×4, first 2 shown]
	s_and_b32 s0, vcc_lo, s0
	s_and_saveexec_b32 s1, s0
	s_xor_b32 s0, exec_lo, s1
	s_cbranch_execz .LBB223_23
; %bb.22:
	v_lshlrev_b32_e32 v3, 1, v5
	v_mul_f32_e64 v9, v8, -v2
	v_mul_f32_e32 v10, v1, v8
	v_mul_f32_e64 v11, v7, -v2
	v_mul_f32_e32 v12, v1, v7
	v_ashrrev_i32_e32 v4, 31, v3
	v_fmac_f32_e32 v9, v1, v0
	v_fmac_f32_e32 v10, v2, v0
	;; [unrolled: 1-line block ×4, first 2 shown]
	v_lshlrev_b64 v[3:4], 3, v[3:4]
                                        ; implicit-def: $vgpr5
                                        ; implicit-def: $vgpr8
                                        ; implicit-def: $vgpr7
                                        ; implicit-def: $vgpr6
	v_add_co_u32 v0, vcc_lo, s2, v3
	v_add_co_ci_u32_e64 v1, null, s3, v4, vcc_lo
                                        ; implicit-def: $vgpr3_vgpr4
	global_store_dwordx4 v[0:1], v[9:12], off
                                        ; implicit-def: $vgpr1_vgpr2
                                        ; implicit-def: $vgpr0
.LBB223_23:
	s_andn2_saveexec_b32 s0, s0
	s_cbranch_execz .LBB223_25
; %bb.24:
	v_lshlrev_b32_e32 v9, 1, v5
	v_mul_f32_e64 v5, v8, -v2
	v_mul_f32_e32 v14, v1, v8
	v_mul_f32_e64 v8, v7, -v2
	v_mul_f32_e32 v16, v1, v7
	v_ashrrev_i32_e32 v10, 31, v9
	v_fmac_f32_e32 v5, v1, v0
	v_fmac_f32_e32 v14, v2, v0
	;; [unrolled: 1-line block ×4, first 2 shown]
	v_lshlrev_b64 v[9:10], 3, v[9:10]
	v_add_co_u32 v17, vcc_lo, s2, v9
	v_add_co_ci_u32_e64 v18, null, s3, v10, vcc_lo
	global_load_dwordx4 v[9:12], v[17:18], off
	s_waitcnt vmcnt(0)
	v_fmac_f32_e32 v5, v3, v9
	v_fmac_f32_e32 v14, v4, v9
	;; [unrolled: 1-line block ×4, first 2 shown]
	v_fma_f32 v13, -v4, v10, v5
	v_fmac_f32_e32 v14, v3, v10
	v_fma_f32 v15, -v4, v12, v8
	v_fmac_f32_e32 v16, v3, v12
	global_store_dwordx4 v[17:18], v[13:16], off
.LBB223_25:
	s_endpgm
	.section	.rodata,"a",@progbits
	.p2align	6, 0x0
	.amdhsa_kernel _ZN9rocsparseL19gebsrmvn_2xn_kernelILj128ELj16ELj8E21rocsparse_complex_numIfEEEvi20rocsparse_direction_NS_24const_host_device_scalarIT2_EEPKiS8_PKS5_SA_S6_PS5_21rocsparse_index_base_b
		.amdhsa_group_segment_fixed_size 0
		.amdhsa_private_segment_fixed_size 0
		.amdhsa_kernarg_size 72
		.amdhsa_user_sgpr_count 6
		.amdhsa_user_sgpr_private_segment_buffer 1
		.amdhsa_user_sgpr_dispatch_ptr 0
		.amdhsa_user_sgpr_queue_ptr 0
		.amdhsa_user_sgpr_kernarg_segment_ptr 1
		.amdhsa_user_sgpr_dispatch_id 0
		.amdhsa_user_sgpr_flat_scratch_init 0
		.amdhsa_user_sgpr_private_segment_size 0
		.amdhsa_wavefront_size32 1
		.amdhsa_uses_dynamic_stack 0
		.amdhsa_system_sgpr_private_segment_wavefront_offset 0
		.amdhsa_system_sgpr_workgroup_id_x 1
		.amdhsa_system_sgpr_workgroup_id_y 0
		.amdhsa_system_sgpr_workgroup_id_z 0
		.amdhsa_system_sgpr_workgroup_info 0
		.amdhsa_system_vgpr_workitem_id 0
		.amdhsa_next_free_vgpr 47
		.amdhsa_next_free_sgpr 17
		.amdhsa_reserve_vcc 1
		.amdhsa_reserve_flat_scratch 0
		.amdhsa_float_round_mode_32 0
		.amdhsa_float_round_mode_16_64 0
		.amdhsa_float_denorm_mode_32 3
		.amdhsa_float_denorm_mode_16_64 3
		.amdhsa_dx10_clamp 1
		.amdhsa_ieee_mode 1
		.amdhsa_fp16_overflow 0
		.amdhsa_workgroup_processor_mode 1
		.amdhsa_memory_ordered 1
		.amdhsa_forward_progress 1
		.amdhsa_shared_vgpr_count 0
		.amdhsa_exception_fp_ieee_invalid_op 0
		.amdhsa_exception_fp_denorm_src 0
		.amdhsa_exception_fp_ieee_div_zero 0
		.amdhsa_exception_fp_ieee_overflow 0
		.amdhsa_exception_fp_ieee_underflow 0
		.amdhsa_exception_fp_ieee_inexact 0
		.amdhsa_exception_int_div_zero 0
	.end_amdhsa_kernel
	.section	.text._ZN9rocsparseL19gebsrmvn_2xn_kernelILj128ELj16ELj8E21rocsparse_complex_numIfEEEvi20rocsparse_direction_NS_24const_host_device_scalarIT2_EEPKiS8_PKS5_SA_S6_PS5_21rocsparse_index_base_b,"axG",@progbits,_ZN9rocsparseL19gebsrmvn_2xn_kernelILj128ELj16ELj8E21rocsparse_complex_numIfEEEvi20rocsparse_direction_NS_24const_host_device_scalarIT2_EEPKiS8_PKS5_SA_S6_PS5_21rocsparse_index_base_b,comdat
.Lfunc_end223:
	.size	_ZN9rocsparseL19gebsrmvn_2xn_kernelILj128ELj16ELj8E21rocsparse_complex_numIfEEEvi20rocsparse_direction_NS_24const_host_device_scalarIT2_EEPKiS8_PKS5_SA_S6_PS5_21rocsparse_index_base_b, .Lfunc_end223-_ZN9rocsparseL19gebsrmvn_2xn_kernelILj128ELj16ELj8E21rocsparse_complex_numIfEEEvi20rocsparse_direction_NS_24const_host_device_scalarIT2_EEPKiS8_PKS5_SA_S6_PS5_21rocsparse_index_base_b
                                        ; -- End function
	.set _ZN9rocsparseL19gebsrmvn_2xn_kernelILj128ELj16ELj8E21rocsparse_complex_numIfEEEvi20rocsparse_direction_NS_24const_host_device_scalarIT2_EEPKiS8_PKS5_SA_S6_PS5_21rocsparse_index_base_b.num_vgpr, 47
	.set _ZN9rocsparseL19gebsrmvn_2xn_kernelILj128ELj16ELj8E21rocsparse_complex_numIfEEEvi20rocsparse_direction_NS_24const_host_device_scalarIT2_EEPKiS8_PKS5_SA_S6_PS5_21rocsparse_index_base_b.num_agpr, 0
	.set _ZN9rocsparseL19gebsrmvn_2xn_kernelILj128ELj16ELj8E21rocsparse_complex_numIfEEEvi20rocsparse_direction_NS_24const_host_device_scalarIT2_EEPKiS8_PKS5_SA_S6_PS5_21rocsparse_index_base_b.numbered_sgpr, 17
	.set _ZN9rocsparseL19gebsrmvn_2xn_kernelILj128ELj16ELj8E21rocsparse_complex_numIfEEEvi20rocsparse_direction_NS_24const_host_device_scalarIT2_EEPKiS8_PKS5_SA_S6_PS5_21rocsparse_index_base_b.num_named_barrier, 0
	.set _ZN9rocsparseL19gebsrmvn_2xn_kernelILj128ELj16ELj8E21rocsparse_complex_numIfEEEvi20rocsparse_direction_NS_24const_host_device_scalarIT2_EEPKiS8_PKS5_SA_S6_PS5_21rocsparse_index_base_b.private_seg_size, 0
	.set _ZN9rocsparseL19gebsrmvn_2xn_kernelILj128ELj16ELj8E21rocsparse_complex_numIfEEEvi20rocsparse_direction_NS_24const_host_device_scalarIT2_EEPKiS8_PKS5_SA_S6_PS5_21rocsparse_index_base_b.uses_vcc, 1
	.set _ZN9rocsparseL19gebsrmvn_2xn_kernelILj128ELj16ELj8E21rocsparse_complex_numIfEEEvi20rocsparse_direction_NS_24const_host_device_scalarIT2_EEPKiS8_PKS5_SA_S6_PS5_21rocsparse_index_base_b.uses_flat_scratch, 0
	.set _ZN9rocsparseL19gebsrmvn_2xn_kernelILj128ELj16ELj8E21rocsparse_complex_numIfEEEvi20rocsparse_direction_NS_24const_host_device_scalarIT2_EEPKiS8_PKS5_SA_S6_PS5_21rocsparse_index_base_b.has_dyn_sized_stack, 0
	.set _ZN9rocsparseL19gebsrmvn_2xn_kernelILj128ELj16ELj8E21rocsparse_complex_numIfEEEvi20rocsparse_direction_NS_24const_host_device_scalarIT2_EEPKiS8_PKS5_SA_S6_PS5_21rocsparse_index_base_b.has_recursion, 0
	.set _ZN9rocsparseL19gebsrmvn_2xn_kernelILj128ELj16ELj8E21rocsparse_complex_numIfEEEvi20rocsparse_direction_NS_24const_host_device_scalarIT2_EEPKiS8_PKS5_SA_S6_PS5_21rocsparse_index_base_b.has_indirect_call, 0
	.section	.AMDGPU.csdata,"",@progbits
; Kernel info:
; codeLenInByte = 1856
; TotalNumSgprs: 19
; NumVgprs: 47
; ScratchSize: 0
; MemoryBound: 0
; FloatMode: 240
; IeeeMode: 1
; LDSByteSize: 0 bytes/workgroup (compile time only)
; SGPRBlocks: 0
; VGPRBlocks: 5
; NumSGPRsForWavesPerEU: 19
; NumVGPRsForWavesPerEU: 47
; Occupancy: 16
; WaveLimiterHint : 1
; COMPUTE_PGM_RSRC2:SCRATCH_EN: 0
; COMPUTE_PGM_RSRC2:USER_SGPR: 6
; COMPUTE_PGM_RSRC2:TRAP_HANDLER: 0
; COMPUTE_PGM_RSRC2:TGID_X_EN: 1
; COMPUTE_PGM_RSRC2:TGID_Y_EN: 0
; COMPUTE_PGM_RSRC2:TGID_Z_EN: 0
; COMPUTE_PGM_RSRC2:TIDIG_COMP_CNT: 0
	.section	.text._ZN9rocsparseL19gebsrmvn_2xn_kernelILj128ELj16ELj16E21rocsparse_complex_numIfEEEvi20rocsparse_direction_NS_24const_host_device_scalarIT2_EEPKiS8_PKS5_SA_S6_PS5_21rocsparse_index_base_b,"axG",@progbits,_ZN9rocsparseL19gebsrmvn_2xn_kernelILj128ELj16ELj16E21rocsparse_complex_numIfEEEvi20rocsparse_direction_NS_24const_host_device_scalarIT2_EEPKiS8_PKS5_SA_S6_PS5_21rocsparse_index_base_b,comdat
	.globl	_ZN9rocsparseL19gebsrmvn_2xn_kernelILj128ELj16ELj16E21rocsparse_complex_numIfEEEvi20rocsparse_direction_NS_24const_host_device_scalarIT2_EEPKiS8_PKS5_SA_S6_PS5_21rocsparse_index_base_b ; -- Begin function _ZN9rocsparseL19gebsrmvn_2xn_kernelILj128ELj16ELj16E21rocsparse_complex_numIfEEEvi20rocsparse_direction_NS_24const_host_device_scalarIT2_EEPKiS8_PKS5_SA_S6_PS5_21rocsparse_index_base_b
	.p2align	8
	.type	_ZN9rocsparseL19gebsrmvn_2xn_kernelILj128ELj16ELj16E21rocsparse_complex_numIfEEEvi20rocsparse_direction_NS_24const_host_device_scalarIT2_EEPKiS8_PKS5_SA_S6_PS5_21rocsparse_index_base_b,@function
_ZN9rocsparseL19gebsrmvn_2xn_kernelILj128ELj16ELj16E21rocsparse_complex_numIfEEEvi20rocsparse_direction_NS_24const_host_device_scalarIT2_EEPKiS8_PKS5_SA_S6_PS5_21rocsparse_index_base_b: ; @_ZN9rocsparseL19gebsrmvn_2xn_kernelILj128ELj16ELj16E21rocsparse_complex_numIfEEEvi20rocsparse_direction_NS_24const_host_device_scalarIT2_EEPKiS8_PKS5_SA_S6_PS5_21rocsparse_index_base_b
; %bb.0:
	s_clause 0x2
	s_load_dwordx2 s[2:3], s[4:5], 0x40
	s_load_dwordx2 s[0:1], s[4:5], 0x8
	;; [unrolled: 1-line block ×3, first 2 shown]
	s_add_u32 s7, s4, 8
	s_addc_u32 s10, s5, 0
	s_add_u32 s11, s4, 48
	s_addc_u32 s12, s5, 0
	s_waitcnt lgkmcnt(0)
	s_bitcmp1_b32 s3, 0
	s_cselect_b32 s0, s7, s0
	s_cselect_b32 s1, s10, s1
	v_mov_b32_e32 v1, s0
	v_mov_b32_e32 v2, s1
	s_cselect_b32 s0, s11, s8
	s_cselect_b32 s1, s12, s9
	v_mov_b32_e32 v3, s0
	v_mov_b32_e32 v4, s1
	flat_load_dwordx2 v[1:2], v[1:2]
	flat_load_dwordx2 v[3:4], v[3:4]
	s_waitcnt vmcnt(1) lgkmcnt(1)
	v_cmp_eq_f32_e32 vcc_lo, 0, v1
	v_cmp_eq_f32_e64 s0, 0, v2
	s_and_b32 s3, vcc_lo, s0
	s_mov_b32 s0, -1
	s_and_saveexec_b32 s1, s3
	s_cbranch_execz .LBB224_2
; %bb.1:
	s_waitcnt vmcnt(0) lgkmcnt(0)
	v_cmp_neq_f32_e32 vcc_lo, 1.0, v3
	v_cmp_neq_f32_e64 s0, 0, v4
	s_or_b32 s0, vcc_lo, s0
	s_orn2_b32 s0, s0, exec_lo
.LBB224_2:
	s_or_b32 exec_lo, exec_lo, s1
	s_and_saveexec_b32 s1, s0
	s_cbranch_execz .LBB224_25
; %bb.3:
	s_load_dwordx2 s[0:1], s[4:5], 0x0
	v_lshrrev_b32_e32 v5, 4, v0
	v_lshl_or_b32 v5, s6, 3, v5
	s_waitcnt lgkmcnt(0)
	v_cmp_gt_i32_e32 vcc_lo, s0, v5
	s_and_b32 exec_lo, exec_lo, vcc_lo
	s_cbranch_execz .LBB224_25
; %bb.4:
	s_load_dwordx8 s[8:15], s[4:5], 0x10
	v_ashrrev_i32_e32 v6, 31, v5
	v_and_b32_e32 v0, 15, v0
	s_cmp_lg_u32 s1, 0
	v_lshlrev_b64 v[6:7], 2, v[5:6]
	s_waitcnt lgkmcnt(0)
	v_add_co_u32 v6, vcc_lo, s8, v6
	v_add_co_ci_u32_e64 v7, null, s9, v7, vcc_lo
	global_load_dwordx2 v[6:7], v[6:7], off
	s_waitcnt vmcnt(0)
	v_subrev_nc_u32_e32 v6, s2, v6
	v_subrev_nc_u32_e32 v18, s2, v7
	v_add_nc_u32_e32 v6, v6, v0
	v_cmp_lt_i32_e64 s0, v6, v18
	s_cbranch_scc0 .LBB224_12
; %bb.5:
	v_mov_b32_e32 v16, 0
	v_mov_b32_e32 v19, 0
	;; [unrolled: 1-line block ×4, first 2 shown]
	s_and_saveexec_b32 s3, s0
	s_cbranch_execz .LBB224_11
; %bb.6:
	v_lshlrev_b32_e32 v7, 5, v6
	v_mov_b32_e32 v10, 0
	v_mov_b32_e32 v11, v6
	;; [unrolled: 1-line block ×4, first 2 shown]
	v_or_b32_e32 v21, 6, v7
	v_mov_b32_e32 v20, 0
	v_mov_b32_e32 v17, 0
	s_add_u32 s8, s12, 8
	s_addc_u32 s16, s13, 0
	s_mov_b32 s9, 0
.LBB224_7:                              ; =>This Loop Header: Depth=1
                                        ;     Child Loop BB224_8 Depth 2
	v_ashrrev_i32_e32 v12, 31, v11
	v_mov_b32_e32 v14, v21
	s_mov_b64 s[6:7], 0
	v_lshlrev_b64 v[8:9], 2, v[11:12]
	v_add_co_u32 v8, vcc_lo, s10, v8
	v_add_co_ci_u32_e64 v9, null, s11, v9, vcc_lo
	global_load_dword v8, v[8:9], off
	s_waitcnt vmcnt(0)
	v_subrev_nc_u32_e32 v9, s2, v8
	v_mov_b32_e32 v8, v10
	v_lshlrev_b32_e32 v9, 4, v9
	v_lshlrev_b64 v[12:13], 3, v[7:8]
	v_lshlrev_b64 v[8:9], 3, v[9:10]
	v_add_co_u32 v12, vcc_lo, s8, v12
	v_add_co_ci_u32_e64 v13, null, s16, v13, vcc_lo
	v_add_co_u32 v8, vcc_lo, s14, v8
	v_add_co_ci_u32_e64 v22, null, s15, v9, vcc_lo
.LBB224_8:                              ;   Parent Loop BB224_7 Depth=1
                                        ; =>  This Inner Loop Header: Depth=2
	v_add_nc_u32_e32 v9, -4, v14
	v_add_co_u32 v31, vcc_lo, v8, s6
	v_add_co_ci_u32_e64 v32, null, s7, v22, vcc_lo
	v_lshlrev_b64 v[35:36], 3, v[9:10]
	global_load_dwordx4 v[23:26], v[12:13], off offset:-8
	s_clause 0x1
	global_load_dwordx4 v[27:30], v[31:32], off offset:16
	global_load_dwordx4 v[31:34], v[31:32], off
	v_add_nc_u32_e32 v9, -2, v14
	v_mov_b32_e32 v15, v10
	v_add_co_u32 v35, vcc_lo, s12, v35
	v_add_co_ci_u32_e64 v36, null, s13, v36, vcc_lo
	v_lshlrev_b64 v[39:40], 3, v[9:10]
	v_lshlrev_b64 v[42:43], 3, v[14:15]
	v_add_nc_u32_e32 v14, 8, v14
	global_load_dwordx4 v[35:38], v[35:36], off
	s_add_u32 s6, s6, 32
	s_addc_u32 s7, s7, 0
	v_add_co_u32 v39, s1, s12, v39
	v_add_co_ci_u32_e64 v40, null, s13, v40, s1
	v_add_co_u32 v44, vcc_lo, s12, v42
	v_add_co_ci_u32_e64 v45, null, s13, v43, vcc_lo
	global_load_dwordx4 v[39:42], v[39:40], off
	v_add_co_u32 v12, vcc_lo, v12, 64
	global_load_dwordx4 v[43:46], v[44:45], off
	v_add_co_ci_u32_e64 v13, null, 0, v13, vcc_lo
	s_cmpk_eq_i32 s6, 0x80
	s_waitcnt vmcnt(3)
	v_fmac_f32_e32 v19, v23, v31
	v_fmac_f32_e32 v16, v24, v31
	v_fmac_f32_e32 v20, v25, v31
	v_fmac_f32_e32 v17, v26, v31
	v_fma_f32 v9, -v24, v32, v19
	v_fmac_f32_e32 v16, v23, v32
	v_fma_f32 v15, -v26, v32, v20
	v_fmac_f32_e32 v17, v25, v32
	s_waitcnt vmcnt(2)
	v_fmac_f32_e32 v9, v35, v33
	v_fmac_f32_e32 v16, v36, v33
	v_fmac_f32_e32 v15, v37, v33
	v_fmac_f32_e32 v17, v38, v33
	v_fma_f32 v9, -v36, v34, v9
	v_fmac_f32_e32 v16, v35, v34
	v_fma_f32 v15, -v38, v34, v15
	v_fmac_f32_e32 v17, v37, v34
	s_waitcnt vmcnt(1)
	v_fmac_f32_e32 v9, v39, v27
	v_fmac_f32_e32 v16, v40, v27
	v_fmac_f32_e32 v15, v41, v27
	v_fmac_f32_e32 v17, v42, v27
	v_fma_f32 v9, -v40, v28, v9
	v_fmac_f32_e32 v16, v39, v28
	v_fma_f32 v15, -v42, v28, v15
	v_fmac_f32_e32 v17, v41, v28
	s_waitcnt vmcnt(0)
	v_fmac_f32_e32 v9, v43, v29
	v_fmac_f32_e32 v16, v44, v29
	v_fmac_f32_e32 v15, v45, v29
	v_fmac_f32_e32 v17, v46, v29
	v_fma_f32 v19, -v44, v30, v9
	v_fmac_f32_e32 v16, v43, v30
	v_fma_f32 v20, -v46, v30, v15
	v_fmac_f32_e32 v17, v45, v30
	s_cbranch_scc0 .LBB224_8
; %bb.9:                                ;   in Loop: Header=BB224_7 Depth=1
	v_add_nc_u32_e32 v11, 16, v11
	v_add_nc_u32_e32 v21, 0x200, v21
	v_add_nc_u32_e32 v7, 0x200, v7
	v_cmp_ge_i32_e32 vcc_lo, v11, v18
	s_or_b32 s9, vcc_lo, s9
	s_andn2_b32 exec_lo, exec_lo, s9
	s_cbranch_execnz .LBB224_7
; %bb.10:
	s_or_b32 exec_lo, exec_lo, s9
.LBB224_11:
	s_or_b32 exec_lo, exec_lo, s3
	s_cbranch_execz .LBB224_13
	s_branch .LBB224_20
.LBB224_12:
                                        ; implicit-def: $vgpr16
                                        ; implicit-def: $vgpr19
                                        ; implicit-def: $vgpr20
                                        ; implicit-def: $vgpr17
.LBB224_13:
	v_mov_b32_e32 v16, 0
	v_mov_b32_e32 v19, 0
	v_mov_b32_e32 v20, 0
	v_mov_b32_e32 v17, 0
	s_and_saveexec_b32 s3, s0
	s_cbranch_execz .LBB224_19
; %bb.14:
	v_mov_b32_e32 v9, 0
	v_lshlrev_b32_e32 v8, 5, v6
	s_mov_b32 s6, 0
	v_mov_b32_e32 v16, v9
	v_mov_b32_e32 v19, v9
	;; [unrolled: 1-line block ×4, first 2 shown]
.LBB224_15:                             ; =>This Loop Header: Depth=1
                                        ;     Child Loop BB224_16 Depth 2
	v_ashrrev_i32_e32 v7, 31, v6
	v_lshlrev_b64 v[12:13], 3, v[8:9]
	s_mov_b64 s[0:1], 0
	v_lshlrev_b64 v[10:11], 2, v[6:7]
	v_add_co_u32 v10, vcc_lo, s10, v10
	v_add_co_ci_u32_e64 v11, null, s11, v11, vcc_lo
	global_load_dword v7, v[10:11], off
	v_mov_b32_e32 v11, v9
	s_waitcnt vmcnt(0)
	v_subrev_nc_u32_e32 v7, s2, v7
	v_lshlrev_b32_e32 v10, 4, v7
	v_add_co_u32 v7, vcc_lo, s12, v12
	v_lshlrev_b64 v[14:15], 3, v[10:11]
	v_add_co_ci_u32_e64 v10, null, s13, v13, vcc_lo
	v_add_co_u32 v11, vcc_lo, s14, v14
	v_add_co_ci_u32_e64 v12, null, s15, v15, vcc_lo
.LBB224_16:                             ;   Parent Loop BB224_15 Depth=1
                                        ; =>  This Inner Loop Header: Depth=2
	v_add_co_u32 v13, vcc_lo, v7, s0
	v_add_co_ci_u32_e64 v14, null, s1, v10, vcc_lo
	v_add_co_u32 v37, vcc_lo, v11, s0
	v_add_co_ci_u32_e64 v38, null, s1, v12, vcc_lo
	global_load_dwordx4 v[21:24], v[13:14], off
	global_load_dwordx4 v[25:28], v[37:38], off
	s_clause 0x1
	global_load_dwordx4 v[29:32], v[13:14], off offset:128
	global_load_dwordx4 v[33:36], v[13:14], off offset:16
	;; [unrolled: 1-line block ×4, first 2 shown]
	s_add_u32 s0, s0, 32
	s_addc_u32 s1, s1, 0
	s_cmpk_eq_i32 s0, 0x80
	s_waitcnt vmcnt(4)
	v_fmac_f32_e32 v19, v21, v25
	v_fmac_f32_e32 v16, v22, v25
	s_waitcnt vmcnt(3)
	v_fmac_f32_e32 v20, v29, v25
	v_fmac_f32_e32 v17, v30, v25
	v_fma_f32 v13, -v22, v26, v19
	v_fmac_f32_e32 v16, v21, v26
	v_fma_f32 v14, -v30, v26, v20
	v_fmac_f32_e32 v17, v29, v26
	v_fmac_f32_e32 v13, v23, v27
	;; [unrolled: 1-line block ×5, first 2 shown]
	v_fma_f32 v13, -v24, v28, v13
	v_fmac_f32_e32 v16, v23, v28
	v_fma_f32 v14, -v32, v28, v14
	v_fmac_f32_e32 v17, v31, v28
	s_waitcnt vmcnt(1)
	v_fmac_f32_e32 v13, v33, v37
	v_fmac_f32_e32 v16, v34, v37
	s_waitcnt vmcnt(0)
	v_fmac_f32_e32 v14, v41, v37
	v_fmac_f32_e32 v17, v42, v37
	v_fma_f32 v13, -v34, v38, v13
	v_fmac_f32_e32 v16, v33, v38
	v_fma_f32 v14, -v42, v38, v14
	v_fmac_f32_e32 v17, v41, v38
	v_fmac_f32_e32 v13, v35, v39
	;; [unrolled: 1-line block ×5, first 2 shown]
	v_fma_f32 v19, -v36, v40, v13
	v_fmac_f32_e32 v16, v35, v40
	v_fma_f32 v20, -v44, v40, v14
	v_fmac_f32_e32 v17, v43, v40
	s_cbranch_scc0 .LBB224_16
; %bb.17:                               ;   in Loop: Header=BB224_15 Depth=1
	v_add_nc_u32_e32 v6, 16, v6
	v_add_nc_u32_e32 v8, 0x200, v8
	v_cmp_ge_i32_e32 vcc_lo, v6, v18
	s_or_b32 s6, vcc_lo, s6
	s_andn2_b32 exec_lo, exec_lo, s6
	s_cbranch_execnz .LBB224_15
; %bb.18:
	s_or_b32 exec_lo, exec_lo, s6
.LBB224_19:
	s_or_b32 exec_lo, exec_lo, s3
.LBB224_20:
	v_mbcnt_lo_u32_b32 v6, -1, 0
	v_xor_b32_e32 v7, 8, v6
	v_xor_b32_e32 v11, 4, v6
	;; [unrolled: 1-line block ×3, first 2 shown]
	v_cmp_gt_i32_e32 vcc_lo, 32, v7
	v_cndmask_b32_e32 v7, v6, v7, vcc_lo
	v_cmp_gt_i32_e32 vcc_lo, 32, v11
	v_lshlrev_b32_e32 v7, 2, v7
	v_cndmask_b32_e32 v11, v6, v11, vcc_lo
	v_cmp_gt_i32_e32 vcc_lo, 32, v15
	ds_bpermute_b32 v8, v7, v19
	ds_bpermute_b32 v9, v7, v16
	;; [unrolled: 1-line block ×4, first 2 shown]
	v_lshlrev_b32_e32 v11, 2, v11
	v_cndmask_b32_e32 v15, v6, v15, vcc_lo
	v_lshlrev_b32_e32 v15, 2, v15
	s_waitcnt lgkmcnt(3)
	v_add_f32_e32 v8, v19, v8
	s_waitcnt lgkmcnt(2)
	v_add_f32_e32 v9, v16, v9
	;; [unrolled: 2-line block ×4, first 2 shown]
	ds_bpermute_b32 v12, v11, v8
	ds_bpermute_b32 v13, v11, v9
	;; [unrolled: 1-line block ×4, first 2 shown]
	s_waitcnt lgkmcnt(3)
	v_add_f32_e32 v8, v8, v12
	s_waitcnt lgkmcnt(2)
	v_add_f32_e32 v9, v9, v13
	;; [unrolled: 2-line block ×4, first 2 shown]
	ds_bpermute_b32 v11, v15, v8
	ds_bpermute_b32 v12, v15, v9
	;; [unrolled: 1-line block ×4, first 2 shown]
	v_xor_b32_e32 v15, 1, v6
	v_cmp_gt_i32_e32 vcc_lo, 32, v15
	v_cndmask_b32_e32 v6, v6, v15, vcc_lo
	v_cmp_eq_u32_e32 vcc_lo, 15, v0
	v_lshlrev_b32_e32 v15, 2, v6
	s_waitcnt lgkmcnt(3)
	v_add_f32_e32 v8, v8, v11
	s_waitcnt lgkmcnt(2)
	v_add_f32_e32 v9, v9, v12
	;; [unrolled: 2-line block ×4, first 2 shown]
	ds_bpermute_b32 v12, v15, v8
	ds_bpermute_b32 v13, v15, v9
	;; [unrolled: 1-line block ×4, first 2 shown]
	s_and_b32 exec_lo, exec_lo, vcc_lo
	s_cbranch_execz .LBB224_25
; %bb.21:
	s_load_dwordx2 s[2:3], s[4:5], 0x38
	v_cmp_eq_f32_e32 vcc_lo, 0, v3
	v_cmp_eq_f32_e64 s0, 0, v4
	s_waitcnt lgkmcnt(0)
	v_add_f32_e32 v0, v8, v12
	v_add_f32_e32 v8, v9, v13
	;; [unrolled: 1-line block ×4, first 2 shown]
	s_and_b32 s0, vcc_lo, s0
	s_and_saveexec_b32 s1, s0
	s_xor_b32 s0, exec_lo, s1
	s_cbranch_execz .LBB224_23
; %bb.22:
	v_lshlrev_b32_e32 v3, 1, v5
	v_mul_f32_e64 v9, v8, -v2
	v_mul_f32_e32 v10, v1, v8
	v_mul_f32_e64 v11, v7, -v2
	v_mul_f32_e32 v12, v1, v7
	v_ashrrev_i32_e32 v4, 31, v3
	v_fmac_f32_e32 v9, v1, v0
	v_fmac_f32_e32 v10, v2, v0
	;; [unrolled: 1-line block ×4, first 2 shown]
	v_lshlrev_b64 v[3:4], 3, v[3:4]
                                        ; implicit-def: $vgpr5
                                        ; implicit-def: $vgpr8
                                        ; implicit-def: $vgpr7
                                        ; implicit-def: $vgpr6
	v_add_co_u32 v0, vcc_lo, s2, v3
	v_add_co_ci_u32_e64 v1, null, s3, v4, vcc_lo
                                        ; implicit-def: $vgpr3_vgpr4
	global_store_dwordx4 v[0:1], v[9:12], off
                                        ; implicit-def: $vgpr1_vgpr2
                                        ; implicit-def: $vgpr0
.LBB224_23:
	s_andn2_saveexec_b32 s0, s0
	s_cbranch_execz .LBB224_25
; %bb.24:
	v_lshlrev_b32_e32 v9, 1, v5
	v_mul_f32_e64 v5, v8, -v2
	v_mul_f32_e32 v14, v1, v8
	v_mul_f32_e64 v8, v7, -v2
	v_mul_f32_e32 v16, v1, v7
	v_ashrrev_i32_e32 v10, 31, v9
	v_fmac_f32_e32 v5, v1, v0
	v_fmac_f32_e32 v14, v2, v0
	;; [unrolled: 1-line block ×4, first 2 shown]
	v_lshlrev_b64 v[9:10], 3, v[9:10]
	v_add_co_u32 v17, vcc_lo, s2, v9
	v_add_co_ci_u32_e64 v18, null, s3, v10, vcc_lo
	global_load_dwordx4 v[9:12], v[17:18], off
	s_waitcnt vmcnt(0)
	v_fmac_f32_e32 v5, v3, v9
	v_fmac_f32_e32 v14, v4, v9
	;; [unrolled: 1-line block ×4, first 2 shown]
	v_fma_f32 v13, -v4, v10, v5
	v_fmac_f32_e32 v14, v3, v10
	v_fma_f32 v15, -v4, v12, v8
	v_fmac_f32_e32 v16, v3, v12
	global_store_dwordx4 v[17:18], v[13:16], off
.LBB224_25:
	s_endpgm
	.section	.rodata,"a",@progbits
	.p2align	6, 0x0
	.amdhsa_kernel _ZN9rocsparseL19gebsrmvn_2xn_kernelILj128ELj16ELj16E21rocsparse_complex_numIfEEEvi20rocsparse_direction_NS_24const_host_device_scalarIT2_EEPKiS8_PKS5_SA_S6_PS5_21rocsparse_index_base_b
		.amdhsa_group_segment_fixed_size 0
		.amdhsa_private_segment_fixed_size 0
		.amdhsa_kernarg_size 72
		.amdhsa_user_sgpr_count 6
		.amdhsa_user_sgpr_private_segment_buffer 1
		.amdhsa_user_sgpr_dispatch_ptr 0
		.amdhsa_user_sgpr_queue_ptr 0
		.amdhsa_user_sgpr_kernarg_segment_ptr 1
		.amdhsa_user_sgpr_dispatch_id 0
		.amdhsa_user_sgpr_flat_scratch_init 0
		.amdhsa_user_sgpr_private_segment_size 0
		.amdhsa_wavefront_size32 1
		.amdhsa_uses_dynamic_stack 0
		.amdhsa_system_sgpr_private_segment_wavefront_offset 0
		.amdhsa_system_sgpr_workgroup_id_x 1
		.amdhsa_system_sgpr_workgroup_id_y 0
		.amdhsa_system_sgpr_workgroup_id_z 0
		.amdhsa_system_sgpr_workgroup_info 0
		.amdhsa_system_vgpr_workitem_id 0
		.amdhsa_next_free_vgpr 47
		.amdhsa_next_free_sgpr 17
		.amdhsa_reserve_vcc 1
		.amdhsa_reserve_flat_scratch 0
		.amdhsa_float_round_mode_32 0
		.amdhsa_float_round_mode_16_64 0
		.amdhsa_float_denorm_mode_32 3
		.amdhsa_float_denorm_mode_16_64 3
		.amdhsa_dx10_clamp 1
		.amdhsa_ieee_mode 1
		.amdhsa_fp16_overflow 0
		.amdhsa_workgroup_processor_mode 1
		.amdhsa_memory_ordered 1
		.amdhsa_forward_progress 1
		.amdhsa_shared_vgpr_count 0
		.amdhsa_exception_fp_ieee_invalid_op 0
		.amdhsa_exception_fp_denorm_src 0
		.amdhsa_exception_fp_ieee_div_zero 0
		.amdhsa_exception_fp_ieee_overflow 0
		.amdhsa_exception_fp_ieee_underflow 0
		.amdhsa_exception_fp_ieee_inexact 0
		.amdhsa_exception_int_div_zero 0
	.end_amdhsa_kernel
	.section	.text._ZN9rocsparseL19gebsrmvn_2xn_kernelILj128ELj16ELj16E21rocsparse_complex_numIfEEEvi20rocsparse_direction_NS_24const_host_device_scalarIT2_EEPKiS8_PKS5_SA_S6_PS5_21rocsparse_index_base_b,"axG",@progbits,_ZN9rocsparseL19gebsrmvn_2xn_kernelILj128ELj16ELj16E21rocsparse_complex_numIfEEEvi20rocsparse_direction_NS_24const_host_device_scalarIT2_EEPKiS8_PKS5_SA_S6_PS5_21rocsparse_index_base_b,comdat
.Lfunc_end224:
	.size	_ZN9rocsparseL19gebsrmvn_2xn_kernelILj128ELj16ELj16E21rocsparse_complex_numIfEEEvi20rocsparse_direction_NS_24const_host_device_scalarIT2_EEPKiS8_PKS5_SA_S6_PS5_21rocsparse_index_base_b, .Lfunc_end224-_ZN9rocsparseL19gebsrmvn_2xn_kernelILj128ELj16ELj16E21rocsparse_complex_numIfEEEvi20rocsparse_direction_NS_24const_host_device_scalarIT2_EEPKiS8_PKS5_SA_S6_PS5_21rocsparse_index_base_b
                                        ; -- End function
	.set _ZN9rocsparseL19gebsrmvn_2xn_kernelILj128ELj16ELj16E21rocsparse_complex_numIfEEEvi20rocsparse_direction_NS_24const_host_device_scalarIT2_EEPKiS8_PKS5_SA_S6_PS5_21rocsparse_index_base_b.num_vgpr, 47
	.set _ZN9rocsparseL19gebsrmvn_2xn_kernelILj128ELj16ELj16E21rocsparse_complex_numIfEEEvi20rocsparse_direction_NS_24const_host_device_scalarIT2_EEPKiS8_PKS5_SA_S6_PS5_21rocsparse_index_base_b.num_agpr, 0
	.set _ZN9rocsparseL19gebsrmvn_2xn_kernelILj128ELj16ELj16E21rocsparse_complex_numIfEEEvi20rocsparse_direction_NS_24const_host_device_scalarIT2_EEPKiS8_PKS5_SA_S6_PS5_21rocsparse_index_base_b.numbered_sgpr, 17
	.set _ZN9rocsparseL19gebsrmvn_2xn_kernelILj128ELj16ELj16E21rocsparse_complex_numIfEEEvi20rocsparse_direction_NS_24const_host_device_scalarIT2_EEPKiS8_PKS5_SA_S6_PS5_21rocsparse_index_base_b.num_named_barrier, 0
	.set _ZN9rocsparseL19gebsrmvn_2xn_kernelILj128ELj16ELj16E21rocsparse_complex_numIfEEEvi20rocsparse_direction_NS_24const_host_device_scalarIT2_EEPKiS8_PKS5_SA_S6_PS5_21rocsparse_index_base_b.private_seg_size, 0
	.set _ZN9rocsparseL19gebsrmvn_2xn_kernelILj128ELj16ELj16E21rocsparse_complex_numIfEEEvi20rocsparse_direction_NS_24const_host_device_scalarIT2_EEPKiS8_PKS5_SA_S6_PS5_21rocsparse_index_base_b.uses_vcc, 1
	.set _ZN9rocsparseL19gebsrmvn_2xn_kernelILj128ELj16ELj16E21rocsparse_complex_numIfEEEvi20rocsparse_direction_NS_24const_host_device_scalarIT2_EEPKiS8_PKS5_SA_S6_PS5_21rocsparse_index_base_b.uses_flat_scratch, 0
	.set _ZN9rocsparseL19gebsrmvn_2xn_kernelILj128ELj16ELj16E21rocsparse_complex_numIfEEEvi20rocsparse_direction_NS_24const_host_device_scalarIT2_EEPKiS8_PKS5_SA_S6_PS5_21rocsparse_index_base_b.has_dyn_sized_stack, 0
	.set _ZN9rocsparseL19gebsrmvn_2xn_kernelILj128ELj16ELj16E21rocsparse_complex_numIfEEEvi20rocsparse_direction_NS_24const_host_device_scalarIT2_EEPKiS8_PKS5_SA_S6_PS5_21rocsparse_index_base_b.has_recursion, 0
	.set _ZN9rocsparseL19gebsrmvn_2xn_kernelILj128ELj16ELj16E21rocsparse_complex_numIfEEEvi20rocsparse_direction_NS_24const_host_device_scalarIT2_EEPKiS8_PKS5_SA_S6_PS5_21rocsparse_index_base_b.has_indirect_call, 0
	.section	.AMDGPU.csdata,"",@progbits
; Kernel info:
; codeLenInByte = 1936
; TotalNumSgprs: 19
; NumVgprs: 47
; ScratchSize: 0
; MemoryBound: 0
; FloatMode: 240
; IeeeMode: 1
; LDSByteSize: 0 bytes/workgroup (compile time only)
; SGPRBlocks: 0
; VGPRBlocks: 5
; NumSGPRsForWavesPerEU: 19
; NumVGPRsForWavesPerEU: 47
; Occupancy: 16
; WaveLimiterHint : 1
; COMPUTE_PGM_RSRC2:SCRATCH_EN: 0
; COMPUTE_PGM_RSRC2:USER_SGPR: 6
; COMPUTE_PGM_RSRC2:TRAP_HANDLER: 0
; COMPUTE_PGM_RSRC2:TGID_X_EN: 1
; COMPUTE_PGM_RSRC2:TGID_Y_EN: 0
; COMPUTE_PGM_RSRC2:TGID_Z_EN: 0
; COMPUTE_PGM_RSRC2:TIDIG_COMP_CNT: 0
	.section	.text._ZN9rocsparseL19gebsrmvn_2xn_kernelILj128ELj16ELj32E21rocsparse_complex_numIfEEEvi20rocsparse_direction_NS_24const_host_device_scalarIT2_EEPKiS8_PKS5_SA_S6_PS5_21rocsparse_index_base_b,"axG",@progbits,_ZN9rocsparseL19gebsrmvn_2xn_kernelILj128ELj16ELj32E21rocsparse_complex_numIfEEEvi20rocsparse_direction_NS_24const_host_device_scalarIT2_EEPKiS8_PKS5_SA_S6_PS5_21rocsparse_index_base_b,comdat
	.globl	_ZN9rocsparseL19gebsrmvn_2xn_kernelILj128ELj16ELj32E21rocsparse_complex_numIfEEEvi20rocsparse_direction_NS_24const_host_device_scalarIT2_EEPKiS8_PKS5_SA_S6_PS5_21rocsparse_index_base_b ; -- Begin function _ZN9rocsparseL19gebsrmvn_2xn_kernelILj128ELj16ELj32E21rocsparse_complex_numIfEEEvi20rocsparse_direction_NS_24const_host_device_scalarIT2_EEPKiS8_PKS5_SA_S6_PS5_21rocsparse_index_base_b
	.p2align	8
	.type	_ZN9rocsparseL19gebsrmvn_2xn_kernelILj128ELj16ELj32E21rocsparse_complex_numIfEEEvi20rocsparse_direction_NS_24const_host_device_scalarIT2_EEPKiS8_PKS5_SA_S6_PS5_21rocsparse_index_base_b,@function
_ZN9rocsparseL19gebsrmvn_2xn_kernelILj128ELj16ELj32E21rocsparse_complex_numIfEEEvi20rocsparse_direction_NS_24const_host_device_scalarIT2_EEPKiS8_PKS5_SA_S6_PS5_21rocsparse_index_base_b: ; @_ZN9rocsparseL19gebsrmvn_2xn_kernelILj128ELj16ELj32E21rocsparse_complex_numIfEEEvi20rocsparse_direction_NS_24const_host_device_scalarIT2_EEPKiS8_PKS5_SA_S6_PS5_21rocsparse_index_base_b
; %bb.0:
	s_clause 0x2
	s_load_dwordx2 s[2:3], s[4:5], 0x40
	s_load_dwordx2 s[0:1], s[4:5], 0x8
	;; [unrolled: 1-line block ×3, first 2 shown]
	s_add_u32 s7, s4, 8
	s_addc_u32 s10, s5, 0
	s_add_u32 s11, s4, 48
	s_addc_u32 s12, s5, 0
	s_waitcnt lgkmcnt(0)
	s_bitcmp1_b32 s3, 0
	s_cselect_b32 s0, s7, s0
	s_cselect_b32 s1, s10, s1
	v_mov_b32_e32 v1, s0
	v_mov_b32_e32 v2, s1
	s_cselect_b32 s0, s11, s8
	s_cselect_b32 s1, s12, s9
	v_mov_b32_e32 v3, s0
	v_mov_b32_e32 v4, s1
	flat_load_dwordx2 v[1:2], v[1:2]
	flat_load_dwordx2 v[3:4], v[3:4]
	s_waitcnt vmcnt(1) lgkmcnt(1)
	v_cmp_eq_f32_e32 vcc_lo, 0, v1
	v_cmp_eq_f32_e64 s0, 0, v2
	s_and_b32 s3, vcc_lo, s0
	s_mov_b32 s0, -1
	s_and_saveexec_b32 s1, s3
	s_cbranch_execz .LBB225_2
; %bb.1:
	s_waitcnt vmcnt(0) lgkmcnt(0)
	v_cmp_neq_f32_e32 vcc_lo, 1.0, v3
	v_cmp_neq_f32_e64 s0, 0, v4
	s_or_b32 s0, vcc_lo, s0
	s_orn2_b32 s0, s0, exec_lo
.LBB225_2:
	s_or_b32 exec_lo, exec_lo, s1
	s_and_saveexec_b32 s1, s0
	s_cbranch_execz .LBB225_25
; %bb.3:
	s_load_dwordx2 s[0:1], s[4:5], 0x0
	v_lshrrev_b32_e32 v5, 5, v0
	v_lshl_or_b32 v5, s6, 2, v5
	s_waitcnt lgkmcnt(0)
	v_cmp_gt_i32_e32 vcc_lo, s0, v5
	s_and_b32 exec_lo, exec_lo, vcc_lo
	s_cbranch_execz .LBB225_25
; %bb.4:
	s_load_dwordx8 s[8:15], s[4:5], 0x10
	v_ashrrev_i32_e32 v6, 31, v5
	v_and_b32_e32 v0, 31, v0
	s_cmp_lg_u32 s1, 0
	v_lshlrev_b64 v[6:7], 2, v[5:6]
	s_waitcnt lgkmcnt(0)
	v_add_co_u32 v6, vcc_lo, s8, v6
	v_add_co_ci_u32_e64 v7, null, s9, v7, vcc_lo
	global_load_dwordx2 v[6:7], v[6:7], off
	s_waitcnt vmcnt(0)
	v_subrev_nc_u32_e32 v6, s2, v6
	v_subrev_nc_u32_e32 v18, s2, v7
	v_add_nc_u32_e32 v6, v6, v0
	v_cmp_lt_i32_e64 s0, v6, v18
	s_cbranch_scc0 .LBB225_12
; %bb.5:
	v_mov_b32_e32 v16, 0
	v_mov_b32_e32 v19, 0
	;; [unrolled: 1-line block ×4, first 2 shown]
	s_and_saveexec_b32 s3, s0
	s_cbranch_execz .LBB225_11
; %bb.6:
	v_lshlrev_b32_e32 v7, 5, v6
	v_mov_b32_e32 v10, 0
	v_mov_b32_e32 v11, v6
	;; [unrolled: 1-line block ×4, first 2 shown]
	v_or_b32_e32 v21, 6, v7
	v_mov_b32_e32 v20, 0
	v_mov_b32_e32 v17, 0
	s_add_u32 s8, s12, 8
	s_addc_u32 s16, s13, 0
	s_mov_b32 s9, 0
.LBB225_7:                              ; =>This Loop Header: Depth=1
                                        ;     Child Loop BB225_8 Depth 2
	v_ashrrev_i32_e32 v12, 31, v11
	v_mov_b32_e32 v14, v21
	s_mov_b64 s[6:7], 0
	v_lshlrev_b64 v[8:9], 2, v[11:12]
	v_add_co_u32 v8, vcc_lo, s10, v8
	v_add_co_ci_u32_e64 v9, null, s11, v9, vcc_lo
	global_load_dword v8, v[8:9], off
	s_waitcnt vmcnt(0)
	v_subrev_nc_u32_e32 v9, s2, v8
	v_mov_b32_e32 v8, v10
	v_lshlrev_b32_e32 v9, 4, v9
	v_lshlrev_b64 v[12:13], 3, v[7:8]
	v_lshlrev_b64 v[8:9], 3, v[9:10]
	v_add_co_u32 v12, vcc_lo, s8, v12
	v_add_co_ci_u32_e64 v13, null, s16, v13, vcc_lo
	v_add_co_u32 v8, vcc_lo, s14, v8
	v_add_co_ci_u32_e64 v22, null, s15, v9, vcc_lo
.LBB225_8:                              ;   Parent Loop BB225_7 Depth=1
                                        ; =>  This Inner Loop Header: Depth=2
	v_add_nc_u32_e32 v9, -4, v14
	v_add_co_u32 v31, vcc_lo, v8, s6
	v_add_co_ci_u32_e64 v32, null, s7, v22, vcc_lo
	v_lshlrev_b64 v[35:36], 3, v[9:10]
	global_load_dwordx4 v[23:26], v[12:13], off offset:-8
	s_clause 0x1
	global_load_dwordx4 v[27:30], v[31:32], off offset:16
	global_load_dwordx4 v[31:34], v[31:32], off
	v_add_nc_u32_e32 v9, -2, v14
	v_mov_b32_e32 v15, v10
	v_add_co_u32 v35, vcc_lo, s12, v35
	v_add_co_ci_u32_e64 v36, null, s13, v36, vcc_lo
	v_lshlrev_b64 v[39:40], 3, v[9:10]
	v_lshlrev_b64 v[42:43], 3, v[14:15]
	v_add_nc_u32_e32 v14, 8, v14
	global_load_dwordx4 v[35:38], v[35:36], off
	s_add_u32 s6, s6, 32
	s_addc_u32 s7, s7, 0
	v_add_co_u32 v39, s1, s12, v39
	v_add_co_ci_u32_e64 v40, null, s13, v40, s1
	v_add_co_u32 v44, vcc_lo, s12, v42
	v_add_co_ci_u32_e64 v45, null, s13, v43, vcc_lo
	global_load_dwordx4 v[39:42], v[39:40], off
	v_add_co_u32 v12, vcc_lo, v12, 64
	global_load_dwordx4 v[43:46], v[44:45], off
	v_add_co_ci_u32_e64 v13, null, 0, v13, vcc_lo
	s_cmpk_eq_i32 s6, 0x80
	s_waitcnt vmcnt(3)
	v_fmac_f32_e32 v19, v23, v31
	v_fmac_f32_e32 v16, v24, v31
	v_fmac_f32_e32 v20, v25, v31
	v_fmac_f32_e32 v17, v26, v31
	v_fma_f32 v9, -v24, v32, v19
	v_fmac_f32_e32 v16, v23, v32
	v_fma_f32 v15, -v26, v32, v20
	v_fmac_f32_e32 v17, v25, v32
	s_waitcnt vmcnt(2)
	v_fmac_f32_e32 v9, v35, v33
	v_fmac_f32_e32 v16, v36, v33
	v_fmac_f32_e32 v15, v37, v33
	v_fmac_f32_e32 v17, v38, v33
	v_fma_f32 v9, -v36, v34, v9
	v_fmac_f32_e32 v16, v35, v34
	v_fma_f32 v15, -v38, v34, v15
	v_fmac_f32_e32 v17, v37, v34
	s_waitcnt vmcnt(1)
	v_fmac_f32_e32 v9, v39, v27
	v_fmac_f32_e32 v16, v40, v27
	v_fmac_f32_e32 v15, v41, v27
	v_fmac_f32_e32 v17, v42, v27
	v_fma_f32 v9, -v40, v28, v9
	v_fmac_f32_e32 v16, v39, v28
	v_fma_f32 v15, -v42, v28, v15
	v_fmac_f32_e32 v17, v41, v28
	s_waitcnt vmcnt(0)
	v_fmac_f32_e32 v9, v43, v29
	v_fmac_f32_e32 v16, v44, v29
	v_fmac_f32_e32 v15, v45, v29
	v_fmac_f32_e32 v17, v46, v29
	v_fma_f32 v19, -v44, v30, v9
	v_fmac_f32_e32 v16, v43, v30
	v_fma_f32 v20, -v46, v30, v15
	v_fmac_f32_e32 v17, v45, v30
	s_cbranch_scc0 .LBB225_8
; %bb.9:                                ;   in Loop: Header=BB225_7 Depth=1
	v_add_nc_u32_e32 v11, 32, v11
	v_add_nc_u32_e32 v21, 0x400, v21
	;; [unrolled: 1-line block ×3, first 2 shown]
	v_cmp_ge_i32_e32 vcc_lo, v11, v18
	s_or_b32 s9, vcc_lo, s9
	s_andn2_b32 exec_lo, exec_lo, s9
	s_cbranch_execnz .LBB225_7
; %bb.10:
	s_or_b32 exec_lo, exec_lo, s9
.LBB225_11:
	s_or_b32 exec_lo, exec_lo, s3
	s_cbranch_execz .LBB225_13
	s_branch .LBB225_20
.LBB225_12:
                                        ; implicit-def: $vgpr16
                                        ; implicit-def: $vgpr19
                                        ; implicit-def: $vgpr20
                                        ; implicit-def: $vgpr17
.LBB225_13:
	v_mov_b32_e32 v16, 0
	v_mov_b32_e32 v19, 0
	;; [unrolled: 1-line block ×4, first 2 shown]
	s_and_saveexec_b32 s3, s0
	s_cbranch_execz .LBB225_19
; %bb.14:
	v_mov_b32_e32 v9, 0
	v_lshlrev_b32_e32 v8, 5, v6
	s_mov_b32 s6, 0
	v_mov_b32_e32 v16, v9
	v_mov_b32_e32 v19, v9
	;; [unrolled: 1-line block ×4, first 2 shown]
.LBB225_15:                             ; =>This Loop Header: Depth=1
                                        ;     Child Loop BB225_16 Depth 2
	v_ashrrev_i32_e32 v7, 31, v6
	v_lshlrev_b64 v[12:13], 3, v[8:9]
	s_mov_b64 s[0:1], 0
	v_lshlrev_b64 v[10:11], 2, v[6:7]
	v_add_co_u32 v10, vcc_lo, s10, v10
	v_add_co_ci_u32_e64 v11, null, s11, v11, vcc_lo
	global_load_dword v7, v[10:11], off
	v_mov_b32_e32 v11, v9
	s_waitcnt vmcnt(0)
	v_subrev_nc_u32_e32 v7, s2, v7
	v_lshlrev_b32_e32 v10, 4, v7
	v_add_co_u32 v7, vcc_lo, s12, v12
	v_lshlrev_b64 v[14:15], 3, v[10:11]
	v_add_co_ci_u32_e64 v10, null, s13, v13, vcc_lo
	v_add_co_u32 v11, vcc_lo, s14, v14
	v_add_co_ci_u32_e64 v12, null, s15, v15, vcc_lo
.LBB225_16:                             ;   Parent Loop BB225_15 Depth=1
                                        ; =>  This Inner Loop Header: Depth=2
	v_add_co_u32 v13, vcc_lo, v7, s0
	v_add_co_ci_u32_e64 v14, null, s1, v10, vcc_lo
	v_add_co_u32 v37, vcc_lo, v11, s0
	v_add_co_ci_u32_e64 v38, null, s1, v12, vcc_lo
	global_load_dwordx4 v[21:24], v[13:14], off
	global_load_dwordx4 v[25:28], v[37:38], off
	s_clause 0x1
	global_load_dwordx4 v[29:32], v[13:14], off offset:128
	global_load_dwordx4 v[33:36], v[13:14], off offset:16
	;; [unrolled: 1-line block ×4, first 2 shown]
	s_add_u32 s0, s0, 32
	s_addc_u32 s1, s1, 0
	s_cmpk_eq_i32 s0, 0x80
	s_waitcnt vmcnt(4)
	v_fmac_f32_e32 v19, v21, v25
	v_fmac_f32_e32 v16, v22, v25
	s_waitcnt vmcnt(3)
	v_fmac_f32_e32 v20, v29, v25
	v_fmac_f32_e32 v17, v30, v25
	v_fma_f32 v13, -v22, v26, v19
	v_fmac_f32_e32 v16, v21, v26
	v_fma_f32 v14, -v30, v26, v20
	v_fmac_f32_e32 v17, v29, v26
	v_fmac_f32_e32 v13, v23, v27
	;; [unrolled: 1-line block ×5, first 2 shown]
	v_fma_f32 v13, -v24, v28, v13
	v_fmac_f32_e32 v16, v23, v28
	v_fma_f32 v14, -v32, v28, v14
	v_fmac_f32_e32 v17, v31, v28
	s_waitcnt vmcnt(1)
	v_fmac_f32_e32 v13, v33, v37
	v_fmac_f32_e32 v16, v34, v37
	s_waitcnt vmcnt(0)
	v_fmac_f32_e32 v14, v41, v37
	v_fmac_f32_e32 v17, v42, v37
	v_fma_f32 v13, -v34, v38, v13
	v_fmac_f32_e32 v16, v33, v38
	v_fma_f32 v14, -v42, v38, v14
	v_fmac_f32_e32 v17, v41, v38
	v_fmac_f32_e32 v13, v35, v39
	;; [unrolled: 1-line block ×5, first 2 shown]
	v_fma_f32 v19, -v36, v40, v13
	v_fmac_f32_e32 v16, v35, v40
	v_fma_f32 v20, -v44, v40, v14
	v_fmac_f32_e32 v17, v43, v40
	s_cbranch_scc0 .LBB225_16
; %bb.17:                               ;   in Loop: Header=BB225_15 Depth=1
	v_add_nc_u32_e32 v6, 32, v6
	v_add_nc_u32_e32 v8, 0x400, v8
	v_cmp_ge_i32_e32 vcc_lo, v6, v18
	s_or_b32 s6, vcc_lo, s6
	s_andn2_b32 exec_lo, exec_lo, s6
	s_cbranch_execnz .LBB225_15
; %bb.18:
	s_or_b32 exec_lo, exec_lo, s6
.LBB225_19:
	s_or_b32 exec_lo, exec_lo, s3
.LBB225_20:
	v_mbcnt_lo_u32_b32 v6, -1, 0
	v_xor_b32_e32 v7, 16, v6
	v_xor_b32_e32 v11, 8, v6
	;; [unrolled: 1-line block ×3, first 2 shown]
	v_cmp_gt_i32_e32 vcc_lo, 32, v7
	v_cndmask_b32_e32 v7, v6, v7, vcc_lo
	v_cmp_gt_i32_e32 vcc_lo, 32, v11
	v_lshlrev_b32_e32 v7, 2, v7
	v_cndmask_b32_e32 v11, v6, v11, vcc_lo
	v_cmp_gt_i32_e32 vcc_lo, 32, v15
	ds_bpermute_b32 v8, v7, v19
	ds_bpermute_b32 v9, v7, v16
	;; [unrolled: 1-line block ×4, first 2 shown]
	v_lshlrev_b32_e32 v11, 2, v11
	v_cndmask_b32_e32 v15, v6, v15, vcc_lo
	v_lshlrev_b32_e32 v15, 2, v15
	s_waitcnt lgkmcnt(3)
	v_add_f32_e32 v8, v19, v8
	s_waitcnt lgkmcnt(2)
	v_add_f32_e32 v9, v16, v9
	s_waitcnt lgkmcnt(1)
	v_add_f32_e32 v10, v20, v10
	s_waitcnt lgkmcnt(0)
	v_add_f32_e32 v7, v17, v7
	ds_bpermute_b32 v12, v11, v8
	ds_bpermute_b32 v13, v11, v9
	;; [unrolled: 1-line block ×4, first 2 shown]
	s_waitcnt lgkmcnt(3)
	v_add_f32_e32 v8, v8, v12
	s_waitcnt lgkmcnt(2)
	v_add_f32_e32 v9, v9, v13
	;; [unrolled: 2-line block ×4, first 2 shown]
	ds_bpermute_b32 v11, v15, v8
	ds_bpermute_b32 v12, v15, v9
	;; [unrolled: 1-line block ×4, first 2 shown]
	v_xor_b32_e32 v15, 2, v6
	v_cmp_gt_i32_e32 vcc_lo, 32, v15
	v_cndmask_b32_e32 v15, v6, v15, vcc_lo
	v_lshlrev_b32_e32 v15, 2, v15
	s_waitcnt lgkmcnt(3)
	v_add_f32_e32 v8, v8, v11
	s_waitcnt lgkmcnt(2)
	v_add_f32_e32 v9, v9, v12
	;; [unrolled: 2-line block ×4, first 2 shown]
	ds_bpermute_b32 v11, v15, v8
	ds_bpermute_b32 v12, v15, v9
	;; [unrolled: 1-line block ×4, first 2 shown]
	v_xor_b32_e32 v15, 1, v6
	v_cmp_gt_i32_e32 vcc_lo, 32, v15
	v_cndmask_b32_e32 v6, v6, v15, vcc_lo
	v_cmp_eq_u32_e32 vcc_lo, 31, v0
	v_lshlrev_b32_e32 v15, 2, v6
	s_waitcnt lgkmcnt(3)
	v_add_f32_e32 v8, v8, v11
	s_waitcnt lgkmcnt(2)
	v_add_f32_e32 v9, v9, v12
	;; [unrolled: 2-line block ×4, first 2 shown]
	ds_bpermute_b32 v12, v15, v8
	ds_bpermute_b32 v13, v15, v9
	;; [unrolled: 1-line block ×4, first 2 shown]
	s_and_b32 exec_lo, exec_lo, vcc_lo
	s_cbranch_execz .LBB225_25
; %bb.21:
	s_load_dwordx2 s[2:3], s[4:5], 0x38
	v_cmp_eq_f32_e32 vcc_lo, 0, v3
	v_cmp_eq_f32_e64 s0, 0, v4
	s_waitcnt lgkmcnt(0)
	v_add_f32_e32 v0, v8, v12
	v_add_f32_e32 v8, v9, v13
	;; [unrolled: 1-line block ×4, first 2 shown]
	s_and_b32 s0, vcc_lo, s0
	s_and_saveexec_b32 s1, s0
	s_xor_b32 s0, exec_lo, s1
	s_cbranch_execz .LBB225_23
; %bb.22:
	v_lshlrev_b32_e32 v3, 1, v5
	v_mul_f32_e64 v9, v8, -v2
	v_mul_f32_e32 v10, v1, v8
	v_mul_f32_e64 v11, v7, -v2
	v_mul_f32_e32 v12, v1, v7
	v_ashrrev_i32_e32 v4, 31, v3
	v_fmac_f32_e32 v9, v1, v0
	v_fmac_f32_e32 v10, v2, v0
	;; [unrolled: 1-line block ×4, first 2 shown]
	v_lshlrev_b64 v[3:4], 3, v[3:4]
                                        ; implicit-def: $vgpr5
                                        ; implicit-def: $vgpr8
                                        ; implicit-def: $vgpr7
                                        ; implicit-def: $vgpr6
	v_add_co_u32 v0, vcc_lo, s2, v3
	v_add_co_ci_u32_e64 v1, null, s3, v4, vcc_lo
                                        ; implicit-def: $vgpr3_vgpr4
	global_store_dwordx4 v[0:1], v[9:12], off
                                        ; implicit-def: $vgpr1_vgpr2
                                        ; implicit-def: $vgpr0
.LBB225_23:
	s_andn2_saveexec_b32 s0, s0
	s_cbranch_execz .LBB225_25
; %bb.24:
	v_lshlrev_b32_e32 v9, 1, v5
	v_mul_f32_e64 v5, v8, -v2
	v_mul_f32_e32 v14, v1, v8
	v_mul_f32_e64 v8, v7, -v2
	v_mul_f32_e32 v16, v1, v7
	v_ashrrev_i32_e32 v10, 31, v9
	v_fmac_f32_e32 v5, v1, v0
	v_fmac_f32_e32 v14, v2, v0
	;; [unrolled: 1-line block ×4, first 2 shown]
	v_lshlrev_b64 v[9:10], 3, v[9:10]
	v_add_co_u32 v17, vcc_lo, s2, v9
	v_add_co_ci_u32_e64 v18, null, s3, v10, vcc_lo
	global_load_dwordx4 v[9:12], v[17:18], off
	s_waitcnt vmcnt(0)
	v_fmac_f32_e32 v5, v3, v9
	v_fmac_f32_e32 v14, v4, v9
	;; [unrolled: 1-line block ×4, first 2 shown]
	v_fma_f32 v13, -v4, v10, v5
	v_fmac_f32_e32 v14, v3, v10
	v_fma_f32 v15, -v4, v12, v8
	v_fmac_f32_e32 v16, v3, v12
	global_store_dwordx4 v[17:18], v[13:16], off
.LBB225_25:
	s_endpgm
	.section	.rodata,"a",@progbits
	.p2align	6, 0x0
	.amdhsa_kernel _ZN9rocsparseL19gebsrmvn_2xn_kernelILj128ELj16ELj32E21rocsparse_complex_numIfEEEvi20rocsparse_direction_NS_24const_host_device_scalarIT2_EEPKiS8_PKS5_SA_S6_PS5_21rocsparse_index_base_b
		.amdhsa_group_segment_fixed_size 0
		.amdhsa_private_segment_fixed_size 0
		.amdhsa_kernarg_size 72
		.amdhsa_user_sgpr_count 6
		.amdhsa_user_sgpr_private_segment_buffer 1
		.amdhsa_user_sgpr_dispatch_ptr 0
		.amdhsa_user_sgpr_queue_ptr 0
		.amdhsa_user_sgpr_kernarg_segment_ptr 1
		.amdhsa_user_sgpr_dispatch_id 0
		.amdhsa_user_sgpr_flat_scratch_init 0
		.amdhsa_user_sgpr_private_segment_size 0
		.amdhsa_wavefront_size32 1
		.amdhsa_uses_dynamic_stack 0
		.amdhsa_system_sgpr_private_segment_wavefront_offset 0
		.amdhsa_system_sgpr_workgroup_id_x 1
		.amdhsa_system_sgpr_workgroup_id_y 0
		.amdhsa_system_sgpr_workgroup_id_z 0
		.amdhsa_system_sgpr_workgroup_info 0
		.amdhsa_system_vgpr_workitem_id 0
		.amdhsa_next_free_vgpr 47
		.amdhsa_next_free_sgpr 17
		.amdhsa_reserve_vcc 1
		.amdhsa_reserve_flat_scratch 0
		.amdhsa_float_round_mode_32 0
		.amdhsa_float_round_mode_16_64 0
		.amdhsa_float_denorm_mode_32 3
		.amdhsa_float_denorm_mode_16_64 3
		.amdhsa_dx10_clamp 1
		.amdhsa_ieee_mode 1
		.amdhsa_fp16_overflow 0
		.amdhsa_workgroup_processor_mode 1
		.amdhsa_memory_ordered 1
		.amdhsa_forward_progress 1
		.amdhsa_shared_vgpr_count 0
		.amdhsa_exception_fp_ieee_invalid_op 0
		.amdhsa_exception_fp_denorm_src 0
		.amdhsa_exception_fp_ieee_div_zero 0
		.amdhsa_exception_fp_ieee_overflow 0
		.amdhsa_exception_fp_ieee_underflow 0
		.amdhsa_exception_fp_ieee_inexact 0
		.amdhsa_exception_int_div_zero 0
	.end_amdhsa_kernel
	.section	.text._ZN9rocsparseL19gebsrmvn_2xn_kernelILj128ELj16ELj32E21rocsparse_complex_numIfEEEvi20rocsparse_direction_NS_24const_host_device_scalarIT2_EEPKiS8_PKS5_SA_S6_PS5_21rocsparse_index_base_b,"axG",@progbits,_ZN9rocsparseL19gebsrmvn_2xn_kernelILj128ELj16ELj32E21rocsparse_complex_numIfEEEvi20rocsparse_direction_NS_24const_host_device_scalarIT2_EEPKiS8_PKS5_SA_S6_PS5_21rocsparse_index_base_b,comdat
.Lfunc_end225:
	.size	_ZN9rocsparseL19gebsrmvn_2xn_kernelILj128ELj16ELj32E21rocsparse_complex_numIfEEEvi20rocsparse_direction_NS_24const_host_device_scalarIT2_EEPKiS8_PKS5_SA_S6_PS5_21rocsparse_index_base_b, .Lfunc_end225-_ZN9rocsparseL19gebsrmvn_2xn_kernelILj128ELj16ELj32E21rocsparse_complex_numIfEEEvi20rocsparse_direction_NS_24const_host_device_scalarIT2_EEPKiS8_PKS5_SA_S6_PS5_21rocsparse_index_base_b
                                        ; -- End function
	.set _ZN9rocsparseL19gebsrmvn_2xn_kernelILj128ELj16ELj32E21rocsparse_complex_numIfEEEvi20rocsparse_direction_NS_24const_host_device_scalarIT2_EEPKiS8_PKS5_SA_S6_PS5_21rocsparse_index_base_b.num_vgpr, 47
	.set _ZN9rocsparseL19gebsrmvn_2xn_kernelILj128ELj16ELj32E21rocsparse_complex_numIfEEEvi20rocsparse_direction_NS_24const_host_device_scalarIT2_EEPKiS8_PKS5_SA_S6_PS5_21rocsparse_index_base_b.num_agpr, 0
	.set _ZN9rocsparseL19gebsrmvn_2xn_kernelILj128ELj16ELj32E21rocsparse_complex_numIfEEEvi20rocsparse_direction_NS_24const_host_device_scalarIT2_EEPKiS8_PKS5_SA_S6_PS5_21rocsparse_index_base_b.numbered_sgpr, 17
	.set _ZN9rocsparseL19gebsrmvn_2xn_kernelILj128ELj16ELj32E21rocsparse_complex_numIfEEEvi20rocsparse_direction_NS_24const_host_device_scalarIT2_EEPKiS8_PKS5_SA_S6_PS5_21rocsparse_index_base_b.num_named_barrier, 0
	.set _ZN9rocsparseL19gebsrmvn_2xn_kernelILj128ELj16ELj32E21rocsparse_complex_numIfEEEvi20rocsparse_direction_NS_24const_host_device_scalarIT2_EEPKiS8_PKS5_SA_S6_PS5_21rocsparse_index_base_b.private_seg_size, 0
	.set _ZN9rocsparseL19gebsrmvn_2xn_kernelILj128ELj16ELj32E21rocsparse_complex_numIfEEEvi20rocsparse_direction_NS_24const_host_device_scalarIT2_EEPKiS8_PKS5_SA_S6_PS5_21rocsparse_index_base_b.uses_vcc, 1
	.set _ZN9rocsparseL19gebsrmvn_2xn_kernelILj128ELj16ELj32E21rocsparse_complex_numIfEEEvi20rocsparse_direction_NS_24const_host_device_scalarIT2_EEPKiS8_PKS5_SA_S6_PS5_21rocsparse_index_base_b.uses_flat_scratch, 0
	.set _ZN9rocsparseL19gebsrmvn_2xn_kernelILj128ELj16ELj32E21rocsparse_complex_numIfEEEvi20rocsparse_direction_NS_24const_host_device_scalarIT2_EEPKiS8_PKS5_SA_S6_PS5_21rocsparse_index_base_b.has_dyn_sized_stack, 0
	.set _ZN9rocsparseL19gebsrmvn_2xn_kernelILj128ELj16ELj32E21rocsparse_complex_numIfEEEvi20rocsparse_direction_NS_24const_host_device_scalarIT2_EEPKiS8_PKS5_SA_S6_PS5_21rocsparse_index_base_b.has_recursion, 0
	.set _ZN9rocsparseL19gebsrmvn_2xn_kernelILj128ELj16ELj32E21rocsparse_complex_numIfEEEvi20rocsparse_direction_NS_24const_host_device_scalarIT2_EEPKiS8_PKS5_SA_S6_PS5_21rocsparse_index_base_b.has_indirect_call, 0
	.section	.AMDGPU.csdata,"",@progbits
; Kernel info:
; codeLenInByte = 2016
; TotalNumSgprs: 19
; NumVgprs: 47
; ScratchSize: 0
; MemoryBound: 0
; FloatMode: 240
; IeeeMode: 1
; LDSByteSize: 0 bytes/workgroup (compile time only)
; SGPRBlocks: 0
; VGPRBlocks: 5
; NumSGPRsForWavesPerEU: 19
; NumVGPRsForWavesPerEU: 47
; Occupancy: 16
; WaveLimiterHint : 1
; COMPUTE_PGM_RSRC2:SCRATCH_EN: 0
; COMPUTE_PGM_RSRC2:USER_SGPR: 6
; COMPUTE_PGM_RSRC2:TRAP_HANDLER: 0
; COMPUTE_PGM_RSRC2:TGID_X_EN: 1
; COMPUTE_PGM_RSRC2:TGID_Y_EN: 0
; COMPUTE_PGM_RSRC2:TGID_Z_EN: 0
; COMPUTE_PGM_RSRC2:TIDIG_COMP_CNT: 0
	.section	.text._ZN9rocsparseL19gebsrmvn_2xn_kernelILj128ELj16ELj64E21rocsparse_complex_numIfEEEvi20rocsparse_direction_NS_24const_host_device_scalarIT2_EEPKiS8_PKS5_SA_S6_PS5_21rocsparse_index_base_b,"axG",@progbits,_ZN9rocsparseL19gebsrmvn_2xn_kernelILj128ELj16ELj64E21rocsparse_complex_numIfEEEvi20rocsparse_direction_NS_24const_host_device_scalarIT2_EEPKiS8_PKS5_SA_S6_PS5_21rocsparse_index_base_b,comdat
	.globl	_ZN9rocsparseL19gebsrmvn_2xn_kernelILj128ELj16ELj64E21rocsparse_complex_numIfEEEvi20rocsparse_direction_NS_24const_host_device_scalarIT2_EEPKiS8_PKS5_SA_S6_PS5_21rocsparse_index_base_b ; -- Begin function _ZN9rocsparseL19gebsrmvn_2xn_kernelILj128ELj16ELj64E21rocsparse_complex_numIfEEEvi20rocsparse_direction_NS_24const_host_device_scalarIT2_EEPKiS8_PKS5_SA_S6_PS5_21rocsparse_index_base_b
	.p2align	8
	.type	_ZN9rocsparseL19gebsrmvn_2xn_kernelILj128ELj16ELj64E21rocsparse_complex_numIfEEEvi20rocsparse_direction_NS_24const_host_device_scalarIT2_EEPKiS8_PKS5_SA_S6_PS5_21rocsparse_index_base_b,@function
_ZN9rocsparseL19gebsrmvn_2xn_kernelILj128ELj16ELj64E21rocsparse_complex_numIfEEEvi20rocsparse_direction_NS_24const_host_device_scalarIT2_EEPKiS8_PKS5_SA_S6_PS5_21rocsparse_index_base_b: ; @_ZN9rocsparseL19gebsrmvn_2xn_kernelILj128ELj16ELj64E21rocsparse_complex_numIfEEEvi20rocsparse_direction_NS_24const_host_device_scalarIT2_EEPKiS8_PKS5_SA_S6_PS5_21rocsparse_index_base_b
; %bb.0:
	s_clause 0x2
	s_load_dwordx2 s[2:3], s[4:5], 0x40
	s_load_dwordx2 s[0:1], s[4:5], 0x8
	;; [unrolled: 1-line block ×3, first 2 shown]
	s_add_u32 s7, s4, 8
	s_addc_u32 s10, s5, 0
	s_add_u32 s11, s4, 48
	s_addc_u32 s12, s5, 0
	s_waitcnt lgkmcnt(0)
	s_bitcmp1_b32 s3, 0
	s_cselect_b32 s0, s7, s0
	s_cselect_b32 s1, s10, s1
	v_mov_b32_e32 v1, s0
	v_mov_b32_e32 v2, s1
	s_cselect_b32 s0, s11, s8
	s_cselect_b32 s1, s12, s9
	v_mov_b32_e32 v3, s0
	v_mov_b32_e32 v4, s1
	flat_load_dwordx2 v[1:2], v[1:2]
	flat_load_dwordx2 v[3:4], v[3:4]
	s_waitcnt vmcnt(1) lgkmcnt(1)
	v_cmp_eq_f32_e32 vcc_lo, 0, v1
	v_cmp_eq_f32_e64 s0, 0, v2
	s_and_b32 s3, vcc_lo, s0
	s_mov_b32 s0, -1
	s_and_saveexec_b32 s1, s3
	s_cbranch_execz .LBB226_2
; %bb.1:
	s_waitcnt vmcnt(0) lgkmcnt(0)
	v_cmp_neq_f32_e32 vcc_lo, 1.0, v3
	v_cmp_neq_f32_e64 s0, 0, v4
	s_or_b32 s0, vcc_lo, s0
	s_orn2_b32 s0, s0, exec_lo
.LBB226_2:
	s_or_b32 exec_lo, exec_lo, s1
	s_and_saveexec_b32 s1, s0
	s_cbranch_execz .LBB226_25
; %bb.3:
	s_load_dwordx2 s[0:1], s[4:5], 0x0
	v_lshrrev_b32_e32 v5, 6, v0
	v_lshl_or_b32 v5, s6, 1, v5
	s_waitcnt lgkmcnt(0)
	v_cmp_gt_i32_e32 vcc_lo, s0, v5
	s_and_b32 exec_lo, exec_lo, vcc_lo
	s_cbranch_execz .LBB226_25
; %bb.4:
	s_load_dwordx8 s[8:15], s[4:5], 0x10
	v_ashrrev_i32_e32 v6, 31, v5
	v_and_b32_e32 v0, 63, v0
	s_cmp_lg_u32 s1, 0
	v_lshlrev_b64 v[6:7], 2, v[5:6]
	s_waitcnt lgkmcnt(0)
	v_add_co_u32 v6, vcc_lo, s8, v6
	v_add_co_ci_u32_e64 v7, null, s9, v7, vcc_lo
	global_load_dwordx2 v[6:7], v[6:7], off
	s_waitcnt vmcnt(0)
	v_subrev_nc_u32_e32 v6, s2, v6
	v_subrev_nc_u32_e32 v18, s2, v7
	v_add_nc_u32_e32 v6, v6, v0
	v_cmp_lt_i32_e64 s0, v6, v18
	s_cbranch_scc0 .LBB226_12
; %bb.5:
	v_mov_b32_e32 v16, 0
	v_mov_b32_e32 v19, 0
	;; [unrolled: 1-line block ×4, first 2 shown]
	s_and_saveexec_b32 s3, s0
	s_cbranch_execz .LBB226_11
; %bb.6:
	v_lshlrev_b32_e32 v7, 5, v6
	v_mov_b32_e32 v10, 0
	v_mov_b32_e32 v11, v6
	;; [unrolled: 1-line block ×4, first 2 shown]
	v_or_b32_e32 v21, 6, v7
	v_mov_b32_e32 v20, 0
	v_mov_b32_e32 v17, 0
	s_add_u32 s8, s12, 8
	s_addc_u32 s16, s13, 0
	s_mov_b32 s9, 0
.LBB226_7:                              ; =>This Loop Header: Depth=1
                                        ;     Child Loop BB226_8 Depth 2
	v_ashrrev_i32_e32 v12, 31, v11
	v_mov_b32_e32 v14, v21
	s_mov_b64 s[6:7], 0
	v_lshlrev_b64 v[8:9], 2, v[11:12]
	v_add_co_u32 v8, vcc_lo, s10, v8
	v_add_co_ci_u32_e64 v9, null, s11, v9, vcc_lo
	global_load_dword v8, v[8:9], off
	s_waitcnt vmcnt(0)
	v_subrev_nc_u32_e32 v9, s2, v8
	v_mov_b32_e32 v8, v10
	v_lshlrev_b32_e32 v9, 4, v9
	v_lshlrev_b64 v[12:13], 3, v[7:8]
	v_lshlrev_b64 v[8:9], 3, v[9:10]
	v_add_co_u32 v12, vcc_lo, s8, v12
	v_add_co_ci_u32_e64 v13, null, s16, v13, vcc_lo
	v_add_co_u32 v8, vcc_lo, s14, v8
	v_add_co_ci_u32_e64 v22, null, s15, v9, vcc_lo
.LBB226_8:                              ;   Parent Loop BB226_7 Depth=1
                                        ; =>  This Inner Loop Header: Depth=2
	v_add_nc_u32_e32 v9, -4, v14
	v_add_co_u32 v31, vcc_lo, v8, s6
	v_add_co_ci_u32_e64 v32, null, s7, v22, vcc_lo
	v_lshlrev_b64 v[35:36], 3, v[9:10]
	global_load_dwordx4 v[23:26], v[12:13], off offset:-8
	s_clause 0x1
	global_load_dwordx4 v[27:30], v[31:32], off offset:16
	global_load_dwordx4 v[31:34], v[31:32], off
	v_add_nc_u32_e32 v9, -2, v14
	v_mov_b32_e32 v15, v10
	v_add_co_u32 v35, vcc_lo, s12, v35
	v_add_co_ci_u32_e64 v36, null, s13, v36, vcc_lo
	v_lshlrev_b64 v[39:40], 3, v[9:10]
	v_lshlrev_b64 v[42:43], 3, v[14:15]
	v_add_nc_u32_e32 v14, 8, v14
	global_load_dwordx4 v[35:38], v[35:36], off
	s_add_u32 s6, s6, 32
	s_addc_u32 s7, s7, 0
	v_add_co_u32 v39, s1, s12, v39
	v_add_co_ci_u32_e64 v40, null, s13, v40, s1
	v_add_co_u32 v44, vcc_lo, s12, v42
	v_add_co_ci_u32_e64 v45, null, s13, v43, vcc_lo
	global_load_dwordx4 v[39:42], v[39:40], off
	v_add_co_u32 v12, vcc_lo, v12, 64
	global_load_dwordx4 v[43:46], v[44:45], off
	v_add_co_ci_u32_e64 v13, null, 0, v13, vcc_lo
	s_cmpk_eq_i32 s6, 0x80
	s_waitcnt vmcnt(3)
	v_fmac_f32_e32 v19, v23, v31
	v_fmac_f32_e32 v16, v24, v31
	v_fmac_f32_e32 v20, v25, v31
	v_fmac_f32_e32 v17, v26, v31
	v_fma_f32 v9, -v24, v32, v19
	v_fmac_f32_e32 v16, v23, v32
	v_fma_f32 v15, -v26, v32, v20
	v_fmac_f32_e32 v17, v25, v32
	s_waitcnt vmcnt(2)
	v_fmac_f32_e32 v9, v35, v33
	v_fmac_f32_e32 v16, v36, v33
	v_fmac_f32_e32 v15, v37, v33
	v_fmac_f32_e32 v17, v38, v33
	v_fma_f32 v9, -v36, v34, v9
	v_fmac_f32_e32 v16, v35, v34
	v_fma_f32 v15, -v38, v34, v15
	v_fmac_f32_e32 v17, v37, v34
	;; [unrolled: 9-line block ×4, first 2 shown]
	s_cbranch_scc0 .LBB226_8
; %bb.9:                                ;   in Loop: Header=BB226_7 Depth=1
	v_add_nc_u32_e32 v11, 64, v11
	v_add_nc_u32_e32 v21, 0x800, v21
	;; [unrolled: 1-line block ×3, first 2 shown]
	v_cmp_ge_i32_e32 vcc_lo, v11, v18
	s_or_b32 s9, vcc_lo, s9
	s_andn2_b32 exec_lo, exec_lo, s9
	s_cbranch_execnz .LBB226_7
; %bb.10:
	s_or_b32 exec_lo, exec_lo, s9
.LBB226_11:
	s_or_b32 exec_lo, exec_lo, s3
	s_cbranch_execz .LBB226_13
	s_branch .LBB226_20
.LBB226_12:
                                        ; implicit-def: $vgpr16
                                        ; implicit-def: $vgpr19
                                        ; implicit-def: $vgpr20
                                        ; implicit-def: $vgpr17
.LBB226_13:
	v_mov_b32_e32 v16, 0
	v_mov_b32_e32 v19, 0
	;; [unrolled: 1-line block ×4, first 2 shown]
	s_and_saveexec_b32 s3, s0
	s_cbranch_execz .LBB226_19
; %bb.14:
	v_mov_b32_e32 v9, 0
	v_lshlrev_b32_e32 v8, 5, v6
	s_mov_b32 s6, 0
	v_mov_b32_e32 v16, v9
	v_mov_b32_e32 v19, v9
	;; [unrolled: 1-line block ×4, first 2 shown]
.LBB226_15:                             ; =>This Loop Header: Depth=1
                                        ;     Child Loop BB226_16 Depth 2
	v_ashrrev_i32_e32 v7, 31, v6
	v_lshlrev_b64 v[12:13], 3, v[8:9]
	s_mov_b64 s[0:1], 0
	v_lshlrev_b64 v[10:11], 2, v[6:7]
	v_add_co_u32 v10, vcc_lo, s10, v10
	v_add_co_ci_u32_e64 v11, null, s11, v11, vcc_lo
	global_load_dword v7, v[10:11], off
	v_mov_b32_e32 v11, v9
	s_waitcnt vmcnt(0)
	v_subrev_nc_u32_e32 v7, s2, v7
	v_lshlrev_b32_e32 v10, 4, v7
	v_add_co_u32 v7, vcc_lo, s12, v12
	v_lshlrev_b64 v[14:15], 3, v[10:11]
	v_add_co_ci_u32_e64 v10, null, s13, v13, vcc_lo
	v_add_co_u32 v11, vcc_lo, s14, v14
	v_add_co_ci_u32_e64 v12, null, s15, v15, vcc_lo
.LBB226_16:                             ;   Parent Loop BB226_15 Depth=1
                                        ; =>  This Inner Loop Header: Depth=2
	v_add_co_u32 v13, vcc_lo, v7, s0
	v_add_co_ci_u32_e64 v14, null, s1, v10, vcc_lo
	v_add_co_u32 v37, vcc_lo, v11, s0
	v_add_co_ci_u32_e64 v38, null, s1, v12, vcc_lo
	global_load_dwordx4 v[21:24], v[13:14], off
	global_load_dwordx4 v[25:28], v[37:38], off
	s_clause 0x1
	global_load_dwordx4 v[29:32], v[13:14], off offset:128
	global_load_dwordx4 v[33:36], v[13:14], off offset:16
	;; [unrolled: 1-line block ×4, first 2 shown]
	s_add_u32 s0, s0, 32
	s_addc_u32 s1, s1, 0
	s_cmpk_eq_i32 s0, 0x80
	s_waitcnt vmcnt(4)
	v_fmac_f32_e32 v19, v21, v25
	v_fmac_f32_e32 v16, v22, v25
	s_waitcnt vmcnt(3)
	v_fmac_f32_e32 v20, v29, v25
	v_fmac_f32_e32 v17, v30, v25
	v_fma_f32 v13, -v22, v26, v19
	v_fmac_f32_e32 v16, v21, v26
	v_fma_f32 v14, -v30, v26, v20
	v_fmac_f32_e32 v17, v29, v26
	v_fmac_f32_e32 v13, v23, v27
	;; [unrolled: 1-line block ×5, first 2 shown]
	v_fma_f32 v13, -v24, v28, v13
	v_fmac_f32_e32 v16, v23, v28
	v_fma_f32 v14, -v32, v28, v14
	v_fmac_f32_e32 v17, v31, v28
	s_waitcnt vmcnt(1)
	v_fmac_f32_e32 v13, v33, v37
	v_fmac_f32_e32 v16, v34, v37
	s_waitcnt vmcnt(0)
	v_fmac_f32_e32 v14, v41, v37
	v_fmac_f32_e32 v17, v42, v37
	v_fma_f32 v13, -v34, v38, v13
	v_fmac_f32_e32 v16, v33, v38
	v_fma_f32 v14, -v42, v38, v14
	v_fmac_f32_e32 v17, v41, v38
	v_fmac_f32_e32 v13, v35, v39
	;; [unrolled: 1-line block ×5, first 2 shown]
	v_fma_f32 v19, -v36, v40, v13
	v_fmac_f32_e32 v16, v35, v40
	v_fma_f32 v20, -v44, v40, v14
	v_fmac_f32_e32 v17, v43, v40
	s_cbranch_scc0 .LBB226_16
; %bb.17:                               ;   in Loop: Header=BB226_15 Depth=1
	v_add_nc_u32_e32 v6, 64, v6
	v_add_nc_u32_e32 v8, 0x800, v8
	v_cmp_ge_i32_e32 vcc_lo, v6, v18
	s_or_b32 s6, vcc_lo, s6
	s_andn2_b32 exec_lo, exec_lo, s6
	s_cbranch_execnz .LBB226_15
; %bb.18:
	s_or_b32 exec_lo, exec_lo, s6
.LBB226_19:
	s_or_b32 exec_lo, exec_lo, s3
.LBB226_20:
	v_mbcnt_lo_u32_b32 v6, -1, 0
	v_or_b32_e32 v7, 32, v6
	v_xor_b32_e32 v11, 16, v6
	v_xor_b32_e32 v15, 8, v6
	v_cmp_gt_i32_e32 vcc_lo, 32, v7
	v_cndmask_b32_e32 v7, v6, v7, vcc_lo
	v_cmp_gt_i32_e32 vcc_lo, 32, v11
	v_lshlrev_b32_e32 v7, 2, v7
	v_cndmask_b32_e32 v11, v6, v11, vcc_lo
	v_cmp_gt_i32_e32 vcc_lo, 32, v15
	ds_bpermute_b32 v8, v7, v19
	ds_bpermute_b32 v9, v7, v16
	;; [unrolled: 1-line block ×4, first 2 shown]
	v_lshlrev_b32_e32 v11, 2, v11
	v_cndmask_b32_e32 v15, v6, v15, vcc_lo
	v_lshlrev_b32_e32 v15, 2, v15
	s_waitcnt lgkmcnt(3)
	v_add_f32_e32 v8, v19, v8
	s_waitcnt lgkmcnt(2)
	v_add_f32_e32 v9, v16, v9
	;; [unrolled: 2-line block ×4, first 2 shown]
	ds_bpermute_b32 v12, v11, v8
	ds_bpermute_b32 v13, v11, v9
	;; [unrolled: 1-line block ×4, first 2 shown]
	s_waitcnt lgkmcnt(3)
	v_add_f32_e32 v8, v8, v12
	s_waitcnt lgkmcnt(2)
	v_add_f32_e32 v9, v9, v13
	;; [unrolled: 2-line block ×4, first 2 shown]
	ds_bpermute_b32 v11, v15, v8
	ds_bpermute_b32 v12, v15, v9
	;; [unrolled: 1-line block ×4, first 2 shown]
	v_xor_b32_e32 v15, 4, v6
	v_cmp_gt_i32_e32 vcc_lo, 32, v15
	v_cndmask_b32_e32 v15, v6, v15, vcc_lo
	v_lshlrev_b32_e32 v15, 2, v15
	s_waitcnt lgkmcnt(3)
	v_add_f32_e32 v8, v8, v11
	s_waitcnt lgkmcnt(2)
	v_add_f32_e32 v9, v9, v12
	;; [unrolled: 2-line block ×4, first 2 shown]
	ds_bpermute_b32 v11, v15, v8
	ds_bpermute_b32 v12, v15, v9
	;; [unrolled: 1-line block ×4, first 2 shown]
	v_xor_b32_e32 v15, 2, v6
	v_cmp_gt_i32_e32 vcc_lo, 32, v15
	v_cndmask_b32_e32 v15, v6, v15, vcc_lo
	v_lshlrev_b32_e32 v15, 2, v15
	s_waitcnt lgkmcnt(3)
	v_add_f32_e32 v8, v8, v11
	s_waitcnt lgkmcnt(2)
	v_add_f32_e32 v9, v9, v12
	;; [unrolled: 2-line block ×4, first 2 shown]
	ds_bpermute_b32 v11, v15, v8
	ds_bpermute_b32 v12, v15, v9
	;; [unrolled: 1-line block ×4, first 2 shown]
	v_xor_b32_e32 v15, 1, v6
	v_cmp_gt_i32_e32 vcc_lo, 32, v15
	v_cndmask_b32_e32 v6, v6, v15, vcc_lo
	v_cmp_eq_u32_e32 vcc_lo, 63, v0
	v_lshlrev_b32_e32 v15, 2, v6
	s_waitcnt lgkmcnt(3)
	v_add_f32_e32 v8, v8, v11
	s_waitcnt lgkmcnt(2)
	v_add_f32_e32 v9, v9, v12
	;; [unrolled: 2-line block ×4, first 2 shown]
	ds_bpermute_b32 v12, v15, v8
	ds_bpermute_b32 v13, v15, v9
	;; [unrolled: 1-line block ×4, first 2 shown]
	s_and_b32 exec_lo, exec_lo, vcc_lo
	s_cbranch_execz .LBB226_25
; %bb.21:
	s_load_dwordx2 s[2:3], s[4:5], 0x38
	v_cmp_eq_f32_e32 vcc_lo, 0, v3
	v_cmp_eq_f32_e64 s0, 0, v4
	s_waitcnt lgkmcnt(0)
	v_add_f32_e32 v0, v8, v12
	v_add_f32_e32 v8, v9, v13
	;; [unrolled: 1-line block ×4, first 2 shown]
	s_and_b32 s0, vcc_lo, s0
	s_and_saveexec_b32 s1, s0
	s_xor_b32 s0, exec_lo, s1
	s_cbranch_execz .LBB226_23
; %bb.22:
	v_lshlrev_b32_e32 v3, 1, v5
	v_mul_f32_e64 v9, v8, -v2
	v_mul_f32_e32 v10, v1, v8
	v_mul_f32_e64 v11, v7, -v2
	v_mul_f32_e32 v12, v1, v7
	v_ashrrev_i32_e32 v4, 31, v3
	v_fmac_f32_e32 v9, v1, v0
	v_fmac_f32_e32 v10, v2, v0
	;; [unrolled: 1-line block ×4, first 2 shown]
	v_lshlrev_b64 v[3:4], 3, v[3:4]
                                        ; implicit-def: $vgpr5
                                        ; implicit-def: $vgpr8
                                        ; implicit-def: $vgpr7
                                        ; implicit-def: $vgpr6
	v_add_co_u32 v0, vcc_lo, s2, v3
	v_add_co_ci_u32_e64 v1, null, s3, v4, vcc_lo
                                        ; implicit-def: $vgpr3_vgpr4
	global_store_dwordx4 v[0:1], v[9:12], off
                                        ; implicit-def: $vgpr1_vgpr2
                                        ; implicit-def: $vgpr0
.LBB226_23:
	s_andn2_saveexec_b32 s0, s0
	s_cbranch_execz .LBB226_25
; %bb.24:
	v_lshlrev_b32_e32 v9, 1, v5
	v_mul_f32_e64 v5, v8, -v2
	v_mul_f32_e32 v14, v1, v8
	v_mul_f32_e64 v8, v7, -v2
	v_mul_f32_e32 v16, v1, v7
	v_ashrrev_i32_e32 v10, 31, v9
	v_fmac_f32_e32 v5, v1, v0
	v_fmac_f32_e32 v14, v2, v0
	;; [unrolled: 1-line block ×4, first 2 shown]
	v_lshlrev_b64 v[9:10], 3, v[9:10]
	v_add_co_u32 v17, vcc_lo, s2, v9
	v_add_co_ci_u32_e64 v18, null, s3, v10, vcc_lo
	global_load_dwordx4 v[9:12], v[17:18], off
	s_waitcnt vmcnt(0)
	v_fmac_f32_e32 v5, v3, v9
	v_fmac_f32_e32 v14, v4, v9
	;; [unrolled: 1-line block ×4, first 2 shown]
	v_fma_f32 v13, -v4, v10, v5
	v_fmac_f32_e32 v14, v3, v10
	v_fma_f32 v15, -v4, v12, v8
	v_fmac_f32_e32 v16, v3, v12
	global_store_dwordx4 v[17:18], v[13:16], off
.LBB226_25:
	s_endpgm
	.section	.rodata,"a",@progbits
	.p2align	6, 0x0
	.amdhsa_kernel _ZN9rocsparseL19gebsrmvn_2xn_kernelILj128ELj16ELj64E21rocsparse_complex_numIfEEEvi20rocsparse_direction_NS_24const_host_device_scalarIT2_EEPKiS8_PKS5_SA_S6_PS5_21rocsparse_index_base_b
		.amdhsa_group_segment_fixed_size 0
		.amdhsa_private_segment_fixed_size 0
		.amdhsa_kernarg_size 72
		.amdhsa_user_sgpr_count 6
		.amdhsa_user_sgpr_private_segment_buffer 1
		.amdhsa_user_sgpr_dispatch_ptr 0
		.amdhsa_user_sgpr_queue_ptr 0
		.amdhsa_user_sgpr_kernarg_segment_ptr 1
		.amdhsa_user_sgpr_dispatch_id 0
		.amdhsa_user_sgpr_flat_scratch_init 0
		.amdhsa_user_sgpr_private_segment_size 0
		.amdhsa_wavefront_size32 1
		.amdhsa_uses_dynamic_stack 0
		.amdhsa_system_sgpr_private_segment_wavefront_offset 0
		.amdhsa_system_sgpr_workgroup_id_x 1
		.amdhsa_system_sgpr_workgroup_id_y 0
		.amdhsa_system_sgpr_workgroup_id_z 0
		.amdhsa_system_sgpr_workgroup_info 0
		.amdhsa_system_vgpr_workitem_id 0
		.amdhsa_next_free_vgpr 47
		.amdhsa_next_free_sgpr 17
		.amdhsa_reserve_vcc 1
		.amdhsa_reserve_flat_scratch 0
		.amdhsa_float_round_mode_32 0
		.amdhsa_float_round_mode_16_64 0
		.amdhsa_float_denorm_mode_32 3
		.amdhsa_float_denorm_mode_16_64 3
		.amdhsa_dx10_clamp 1
		.amdhsa_ieee_mode 1
		.amdhsa_fp16_overflow 0
		.amdhsa_workgroup_processor_mode 1
		.amdhsa_memory_ordered 1
		.amdhsa_forward_progress 1
		.amdhsa_shared_vgpr_count 0
		.amdhsa_exception_fp_ieee_invalid_op 0
		.amdhsa_exception_fp_denorm_src 0
		.amdhsa_exception_fp_ieee_div_zero 0
		.amdhsa_exception_fp_ieee_overflow 0
		.amdhsa_exception_fp_ieee_underflow 0
		.amdhsa_exception_fp_ieee_inexact 0
		.amdhsa_exception_int_div_zero 0
	.end_amdhsa_kernel
	.section	.text._ZN9rocsparseL19gebsrmvn_2xn_kernelILj128ELj16ELj64E21rocsparse_complex_numIfEEEvi20rocsparse_direction_NS_24const_host_device_scalarIT2_EEPKiS8_PKS5_SA_S6_PS5_21rocsparse_index_base_b,"axG",@progbits,_ZN9rocsparseL19gebsrmvn_2xn_kernelILj128ELj16ELj64E21rocsparse_complex_numIfEEEvi20rocsparse_direction_NS_24const_host_device_scalarIT2_EEPKiS8_PKS5_SA_S6_PS5_21rocsparse_index_base_b,comdat
.Lfunc_end226:
	.size	_ZN9rocsparseL19gebsrmvn_2xn_kernelILj128ELj16ELj64E21rocsparse_complex_numIfEEEvi20rocsparse_direction_NS_24const_host_device_scalarIT2_EEPKiS8_PKS5_SA_S6_PS5_21rocsparse_index_base_b, .Lfunc_end226-_ZN9rocsparseL19gebsrmvn_2xn_kernelILj128ELj16ELj64E21rocsparse_complex_numIfEEEvi20rocsparse_direction_NS_24const_host_device_scalarIT2_EEPKiS8_PKS5_SA_S6_PS5_21rocsparse_index_base_b
                                        ; -- End function
	.set _ZN9rocsparseL19gebsrmvn_2xn_kernelILj128ELj16ELj64E21rocsparse_complex_numIfEEEvi20rocsparse_direction_NS_24const_host_device_scalarIT2_EEPKiS8_PKS5_SA_S6_PS5_21rocsparse_index_base_b.num_vgpr, 47
	.set _ZN9rocsparseL19gebsrmvn_2xn_kernelILj128ELj16ELj64E21rocsparse_complex_numIfEEEvi20rocsparse_direction_NS_24const_host_device_scalarIT2_EEPKiS8_PKS5_SA_S6_PS5_21rocsparse_index_base_b.num_agpr, 0
	.set _ZN9rocsparseL19gebsrmvn_2xn_kernelILj128ELj16ELj64E21rocsparse_complex_numIfEEEvi20rocsparse_direction_NS_24const_host_device_scalarIT2_EEPKiS8_PKS5_SA_S6_PS5_21rocsparse_index_base_b.numbered_sgpr, 17
	.set _ZN9rocsparseL19gebsrmvn_2xn_kernelILj128ELj16ELj64E21rocsparse_complex_numIfEEEvi20rocsparse_direction_NS_24const_host_device_scalarIT2_EEPKiS8_PKS5_SA_S6_PS5_21rocsparse_index_base_b.num_named_barrier, 0
	.set _ZN9rocsparseL19gebsrmvn_2xn_kernelILj128ELj16ELj64E21rocsparse_complex_numIfEEEvi20rocsparse_direction_NS_24const_host_device_scalarIT2_EEPKiS8_PKS5_SA_S6_PS5_21rocsparse_index_base_b.private_seg_size, 0
	.set _ZN9rocsparseL19gebsrmvn_2xn_kernelILj128ELj16ELj64E21rocsparse_complex_numIfEEEvi20rocsparse_direction_NS_24const_host_device_scalarIT2_EEPKiS8_PKS5_SA_S6_PS5_21rocsparse_index_base_b.uses_vcc, 1
	.set _ZN9rocsparseL19gebsrmvn_2xn_kernelILj128ELj16ELj64E21rocsparse_complex_numIfEEEvi20rocsparse_direction_NS_24const_host_device_scalarIT2_EEPKiS8_PKS5_SA_S6_PS5_21rocsparse_index_base_b.uses_flat_scratch, 0
	.set _ZN9rocsparseL19gebsrmvn_2xn_kernelILj128ELj16ELj64E21rocsparse_complex_numIfEEEvi20rocsparse_direction_NS_24const_host_device_scalarIT2_EEPKiS8_PKS5_SA_S6_PS5_21rocsparse_index_base_b.has_dyn_sized_stack, 0
	.set _ZN9rocsparseL19gebsrmvn_2xn_kernelILj128ELj16ELj64E21rocsparse_complex_numIfEEEvi20rocsparse_direction_NS_24const_host_device_scalarIT2_EEPKiS8_PKS5_SA_S6_PS5_21rocsparse_index_base_b.has_recursion, 0
	.set _ZN9rocsparseL19gebsrmvn_2xn_kernelILj128ELj16ELj64E21rocsparse_complex_numIfEEEvi20rocsparse_direction_NS_24const_host_device_scalarIT2_EEPKiS8_PKS5_SA_S6_PS5_21rocsparse_index_base_b.has_indirect_call, 0
	.section	.AMDGPU.csdata,"",@progbits
; Kernel info:
; codeLenInByte = 2096
; TotalNumSgprs: 19
; NumVgprs: 47
; ScratchSize: 0
; MemoryBound: 0
; FloatMode: 240
; IeeeMode: 1
; LDSByteSize: 0 bytes/workgroup (compile time only)
; SGPRBlocks: 0
; VGPRBlocks: 5
; NumSGPRsForWavesPerEU: 19
; NumVGPRsForWavesPerEU: 47
; Occupancy: 16
; WaveLimiterHint : 1
; COMPUTE_PGM_RSRC2:SCRATCH_EN: 0
; COMPUTE_PGM_RSRC2:USER_SGPR: 6
; COMPUTE_PGM_RSRC2:TRAP_HANDLER: 0
; COMPUTE_PGM_RSRC2:TGID_X_EN: 1
; COMPUTE_PGM_RSRC2:TGID_Y_EN: 0
; COMPUTE_PGM_RSRC2:TGID_Z_EN: 0
; COMPUTE_PGM_RSRC2:TIDIG_COMP_CNT: 0
	.section	.text._ZN9rocsparseL23gebsrmvn_general_kernelILj32ELj32E21rocsparse_complex_numIfEEEvi20rocsparse_direction_NS_24const_host_device_scalarIT1_EEPKiS8_PKS5_iiSA_S6_PS5_21rocsparse_index_base_b,"axG",@progbits,_ZN9rocsparseL23gebsrmvn_general_kernelILj32ELj32E21rocsparse_complex_numIfEEEvi20rocsparse_direction_NS_24const_host_device_scalarIT1_EEPKiS8_PKS5_iiSA_S6_PS5_21rocsparse_index_base_b,comdat
	.globl	_ZN9rocsparseL23gebsrmvn_general_kernelILj32ELj32E21rocsparse_complex_numIfEEEvi20rocsparse_direction_NS_24const_host_device_scalarIT1_EEPKiS8_PKS5_iiSA_S6_PS5_21rocsparse_index_base_b ; -- Begin function _ZN9rocsparseL23gebsrmvn_general_kernelILj32ELj32E21rocsparse_complex_numIfEEEvi20rocsparse_direction_NS_24const_host_device_scalarIT1_EEPKiS8_PKS5_iiSA_S6_PS5_21rocsparse_index_base_b
	.p2align	8
	.type	_ZN9rocsparseL23gebsrmvn_general_kernelILj32ELj32E21rocsparse_complex_numIfEEEvi20rocsparse_direction_NS_24const_host_device_scalarIT1_EEPKiS8_PKS5_iiSA_S6_PS5_21rocsparse_index_base_b,@function
_ZN9rocsparseL23gebsrmvn_general_kernelILj32ELj32E21rocsparse_complex_numIfEEEvi20rocsparse_direction_NS_24const_host_device_scalarIT1_EEPKiS8_PKS5_iiSA_S6_PS5_21rocsparse_index_base_b: ; @_ZN9rocsparseL23gebsrmvn_general_kernelILj32ELj32E21rocsparse_complex_numIfEEEvi20rocsparse_direction_NS_24const_host_device_scalarIT1_EEPKiS8_PKS5_iiSA_S6_PS5_21rocsparse_index_base_b
; %bb.0:
	s_clause 0x2
	s_load_dwordx2 s[12:13], s[4:5], 0x48
	s_load_dwordx2 s[0:1], s[4:5], 0x8
	;; [unrolled: 1-line block ×3, first 2 shown]
	s_add_u32 s7, s4, 8
	s_addc_u32 s8, s5, 0
	s_add_u32 s9, s4, 56
	s_addc_u32 s10, s5, 0
	s_waitcnt lgkmcnt(0)
	s_bitcmp1_b32 s13, 0
	s_cselect_b32 s0, s7, s0
	s_cselect_b32 s1, s8, s1
	v_mov_b32_e32 v1, s0
	v_mov_b32_e32 v2, s1
	s_cselect_b32 s0, s9, s2
	s_cselect_b32 s1, s10, s3
	v_mov_b32_e32 v3, s0
	v_mov_b32_e32 v4, s1
	flat_load_dwordx2 v[1:2], v[1:2]
	flat_load_dwordx2 v[3:4], v[3:4]
	s_waitcnt vmcnt(1) lgkmcnt(1)
	v_cmp_eq_f32_e32 vcc_lo, 0, v1
	v_cmp_eq_f32_e64 s0, 0, v2
	s_and_b32 s2, vcc_lo, s0
	s_mov_b32 s0, -1
	s_and_saveexec_b32 s1, s2
	s_cbranch_execz .LBB227_2
; %bb.1:
	s_waitcnt vmcnt(0) lgkmcnt(0)
	v_cmp_neq_f32_e32 vcc_lo, 1.0, v3
	v_cmp_neq_f32_e64 s0, 0, v4
	s_or_b32 s0, vcc_lo, s0
	s_orn2_b32 s0, s0, exec_lo
.LBB227_2:
	s_or_b32 exec_lo, exec_lo, s1
	s_and_saveexec_b32 s1, s0
	s_cbranch_execz .LBB227_22
; %bb.3:
	s_load_dwordx2 s[14:15], s[4:5], 0x28
	s_mov_b32 s13, 0
	s_waitcnt lgkmcnt(0)
	s_cmp_gt_i32 s14, 0
	s_cselect_b32 s0, -1, 0
	s_and_b32 exec_lo, exec_lo, s0
	s_cbranch_execz .LBB227_22
; %bb.4:
	s_clause 0x3
	s_load_dwordx4 s[8:11], s[4:5], 0x10
	s_load_dwordx2 s[16:17], s[4:5], 0x20
	s_load_dwordx2 s[18:19], s[4:5], 0x30
	s_load_dwordx2 s[20:21], s[4:5], 0x40
	v_mbcnt_lo_u32_b32 v6, -1, 0
	s_ashr_i32 s7, s6, 31
	s_load_dword s22, s[4:5], 0x4
	s_lshl_b64 s[4:5], s[6:7], 2
	s_waitcnt vmcnt(0)
	v_cmp_eq_f32_e32 vcc_lo, 0, v3
	v_xor_b32_e32 v7, 16, v6
	v_xor_b32_e32 v8, 8, v6
	;; [unrolled: 1-line block ×5, first 2 shown]
	v_cmp_gt_i32_e64 s3, 32, v7
	v_cmp_eq_f32_e64 s2, 0, v4
	v_mov_b32_e32 v5, 0
	v_cmp_gt_i32_e64 s0, s15, v0
	v_cmp_eq_u32_e64 s1, 31, v0
	v_cndmask_b32_e64 v7, v6, v7, s3
	s_waitcnt lgkmcnt(0)
	s_add_u32 s4, s8, s4
	s_addc_u32 s5, s9, s5
	v_cmp_gt_i32_e64 s3, 32, v8
	s_load_dwordx2 s[8:9], s[4:5], 0x0
	s_mul_i32 s6, s14, s6
	v_cndmask_b32_e64 v8, v6, v8, s3
	v_cmp_gt_i32_e64 s3, 32, v9
	v_cndmask_b32_e64 v9, v6, v9, s3
	v_cmp_gt_i32_e64 s3, 32, v10
	v_lshlrev_b32_e32 v12, 2, v9
	v_cndmask_b32_e64 v13, v6, v10, s3
	v_cmp_gt_i32_e64 s3, 32, v11
	v_lshlrev_b32_e32 v10, 2, v7
	s_waitcnt lgkmcnt(0)
	s_sub_i32 s4, s8, s12
	s_sub_i32 s5, s9, s12
	v_cndmask_b32_e64 v6, v6, v11, s3
	s_mul_i32 s3, s14, s4
	s_cmp_lt_i32 s8, s9
	s_mul_i32 s3, s15, s3
	v_lshlrev_b32_e32 v11, 2, v8
	v_lshlrev_b32_e32 v13, 2, v13
	v_lshlrev_b32_e32 v14, 2, v6
	v_mov_b32_e32 v15, s3
	s_cselect_b32 s7, -1, 0
	s_cmp_lg_u32 s22, 0
	s_mul_i32 s22, s15, s14
	s_cselect_b32 s8, -1, 0
	s_and_b32 s9, vcc_lo, s2
	s_branch .LBB227_6
.LBB227_5:                              ;   in Loop: Header=BB227_6 Depth=1
	s_or_b32 exec_lo, exec_lo, s2
	v_add_nc_u32_e32 v5, 1, v5
	v_add_nc_u32_e32 v15, s15, v15
	v_cmp_le_i32_e32 vcc_lo, s14, v5
	s_or_b32 s13, vcc_lo, s13
	s_andn2_b32 exec_lo, exec_lo, s13
	s_cbranch_execz .LBB227_22
.LBB227_6:                              ; =>This Loop Header: Depth=1
                                        ;     Child Loop BB227_10 Depth 2
                                        ;       Child Loop BB227_13 Depth 3
	v_mov_b32_e32 v8, 0
	s_waitcnt lgkmcnt(0)
	v_mov_b32_e32 v9, 0
	s_andn2_b32 vcc_lo, exec_lo, s7
	s_cbranch_vccnz .LBB227_17
; %bb.7:                                ;   in Loop: Header=BB227_6 Depth=1
	v_mov_b32_e32 v8, 0
	v_mov_b32_e32 v16, v15
	;; [unrolled: 1-line block ×3, first 2 shown]
	s_mov_b32 s2, s4
	s_branch .LBB227_10
.LBB227_8:                              ;   in Loop: Header=BB227_10 Depth=2
	s_inst_prefetch 0x2
	s_or_b32 exec_lo, exec_lo, s24
.LBB227_9:                              ;   in Loop: Header=BB227_10 Depth=2
	s_or_b32 exec_lo, exec_lo, s23
	v_add_nc_u32_e32 v16, s22, v16
	s_add_i32 s2, s2, 1
	s_cmp_ge_i32 s2, s5
	s_cbranch_scc1 .LBB227_17
.LBB227_10:                             ;   Parent Loop BB227_6 Depth=1
                                        ; =>  This Loop Header: Depth=2
                                        ;       Child Loop BB227_13 Depth 3
	s_and_saveexec_b32 s23, s0
	s_cbranch_execz .LBB227_9
; %bb.11:                               ;   in Loop: Header=BB227_10 Depth=2
	s_ashr_i32 s3, s2, 31
	v_mov_b32_e32 v17, v0
	s_lshl_b64 s[24:25], s[2:3], 2
	s_add_u32 s24, s10, s24
	s_addc_u32 s25, s11, s25
	s_load_dword s3, s[24:25], 0x0
	s_mov_b32 s24, 0
	s_waitcnt lgkmcnt(0)
	s_sub_i32 s25, s3, s12
	s_mul_i32 s3, s2, s15
	s_mul_i32 s25, s25, s15
	s_inst_prefetch 0x1
	s_branch .LBB227_13
	.p2align	6
.LBB227_12:                             ;   in Loop: Header=BB227_13 Depth=3
	v_add_nc_u32_e32 v18, s25, v17
	v_ashrrev_i32_e32 v7, 31, v6
	v_add_nc_u32_e32 v17, 32, v17
	v_ashrrev_i32_e32 v19, 31, v18
	v_lshlrev_b64 v[6:7], 3, v[6:7]
	v_lshlrev_b64 v[18:19], 3, v[18:19]
	v_add_co_u32 v6, vcc_lo, s16, v6
	v_add_co_ci_u32_e64 v7, null, s17, v7, vcc_lo
	v_add_co_u32 v18, vcc_lo, s18, v18
	v_add_co_ci_u32_e64 v19, null, s19, v19, vcc_lo
	v_cmp_le_i32_e32 vcc_lo, s15, v17
	global_load_dwordx2 v[6:7], v[6:7], off
	global_load_dwordx2 v[18:19], v[18:19], off
	s_or_b32 s24, vcc_lo, s24
	s_waitcnt vmcnt(0)
	v_fmac_f32_e32 v9, v6, v18
	v_fmac_f32_e32 v8, v7, v18
	v_fma_f32 v9, -v7, v19, v9
	v_fmac_f32_e32 v8, v6, v19
	s_andn2_b32 exec_lo, exec_lo, s24
	s_cbranch_execz .LBB227_8
.LBB227_13:                             ;   Parent Loop BB227_6 Depth=1
                                        ;     Parent Loop BB227_10 Depth=2
                                        ; =>    This Inner Loop Header: Depth=3
	s_and_b32 vcc_lo, exec_lo, s8
	s_cbranch_vccz .LBB227_15
; %bb.14:                               ;   in Loop: Header=BB227_13 Depth=3
	v_add_nc_u32_e32 v6, s3, v17
	v_mad_u64_u32 v[6:7], null, v6, s14, v[5:6]
	s_cbranch_execnz .LBB227_12
	s_branch .LBB227_16
.LBB227_15:                             ;   in Loop: Header=BB227_13 Depth=3
                                        ; implicit-def: $vgpr6
.LBB227_16:                             ;   in Loop: Header=BB227_13 Depth=3
	v_add_nc_u32_e32 v6, v16, v17
	s_branch .LBB227_12
.LBB227_17:                             ;   in Loop: Header=BB227_6 Depth=1
	ds_bpermute_b32 v6, v10, v9
	ds_bpermute_b32 v7, v10, v8
	s_waitcnt lgkmcnt(1)
	v_add_f32_e32 v6, v9, v6
	s_waitcnt lgkmcnt(0)
	v_add_f32_e32 v7, v8, v7
	ds_bpermute_b32 v8, v11, v6
	ds_bpermute_b32 v9, v11, v7
	s_waitcnt lgkmcnt(1)
	v_add_f32_e32 v6, v6, v8
	s_waitcnt lgkmcnt(0)
	v_add_f32_e32 v7, v7, v9
	ds_bpermute_b32 v8, v12, v6
	ds_bpermute_b32 v9, v12, v7
	s_waitcnt lgkmcnt(1)
	v_add_f32_e32 v6, v6, v8
	s_waitcnt lgkmcnt(0)
	v_add_f32_e32 v7, v7, v9
	ds_bpermute_b32 v8, v13, v6
	ds_bpermute_b32 v9, v13, v7
	s_waitcnt lgkmcnt(1)
	v_add_f32_e32 v6, v6, v8
	s_waitcnt lgkmcnt(0)
	v_add_f32_e32 v8, v7, v9
	ds_bpermute_b32 v7, v14, v6
	ds_bpermute_b32 v9, v14, v8
	s_and_saveexec_b32 s2, s1
	s_cbranch_execz .LBB227_5
; %bb.18:                               ;   in Loop: Header=BB227_6 Depth=1
	s_waitcnt lgkmcnt(0)
	v_add_f32_e32 v8, v8, v9
	v_add_f32_e32 v9, v6, v7
	v_mul_f32_e64 v6, v8, -v2
	v_mul_f32_e32 v7, v1, v8
	v_add_nc_u32_e32 v8, s6, v5
	v_fmac_f32_e32 v6, v1, v9
	v_fmac_f32_e32 v7, v2, v9
	v_ashrrev_i32_e32 v9, 31, v8
	s_and_saveexec_b32 s3, s9
	s_xor_b32 s3, exec_lo, s3
	s_cbranch_execz .LBB227_20
; %bb.19:                               ;   in Loop: Header=BB227_6 Depth=1
	v_lshlrev_b64 v[8:9], 3, v[8:9]
	v_add_co_u32 v8, vcc_lo, s20, v8
	v_add_co_ci_u32_e64 v9, null, s21, v9, vcc_lo
	global_store_dwordx2 v[8:9], v[6:7], off
                                        ; implicit-def: $vgpr8
                                        ; implicit-def: $vgpr6
.LBB227_20:                             ;   in Loop: Header=BB227_6 Depth=1
	s_andn2_saveexec_b32 s3, s3
	s_cbranch_execz .LBB227_5
; %bb.21:                               ;   in Loop: Header=BB227_6 Depth=1
	v_lshlrev_b64 v[8:9], 3, v[8:9]
	v_add_co_u32 v8, vcc_lo, s20, v8
	v_add_co_ci_u32_e64 v9, null, s21, v9, vcc_lo
	global_load_dwordx2 v[16:17], v[8:9], off
	s_waitcnt vmcnt(0)
	v_fmac_f32_e32 v6, v3, v16
	v_fmac_f32_e32 v7, v4, v16
	v_fma_f32 v6, -v4, v17, v6
	v_fmac_f32_e32 v7, v3, v17
	global_store_dwordx2 v[8:9], v[6:7], off
	s_branch .LBB227_5
.LBB227_22:
	s_endpgm
	.section	.rodata,"a",@progbits
	.p2align	6, 0x0
	.amdhsa_kernel _ZN9rocsparseL23gebsrmvn_general_kernelILj32ELj32E21rocsparse_complex_numIfEEEvi20rocsparse_direction_NS_24const_host_device_scalarIT1_EEPKiS8_PKS5_iiSA_S6_PS5_21rocsparse_index_base_b
		.amdhsa_group_segment_fixed_size 0
		.amdhsa_private_segment_fixed_size 0
		.amdhsa_kernarg_size 80
		.amdhsa_user_sgpr_count 6
		.amdhsa_user_sgpr_private_segment_buffer 1
		.amdhsa_user_sgpr_dispatch_ptr 0
		.amdhsa_user_sgpr_queue_ptr 0
		.amdhsa_user_sgpr_kernarg_segment_ptr 1
		.amdhsa_user_sgpr_dispatch_id 0
		.amdhsa_user_sgpr_flat_scratch_init 0
		.amdhsa_user_sgpr_private_segment_size 0
		.amdhsa_wavefront_size32 1
		.amdhsa_uses_dynamic_stack 0
		.amdhsa_system_sgpr_private_segment_wavefront_offset 0
		.amdhsa_system_sgpr_workgroup_id_x 1
		.amdhsa_system_sgpr_workgroup_id_y 0
		.amdhsa_system_sgpr_workgroup_id_z 0
		.amdhsa_system_sgpr_workgroup_info 0
		.amdhsa_system_vgpr_workitem_id 0
		.amdhsa_next_free_vgpr 20
		.amdhsa_next_free_sgpr 26
		.amdhsa_reserve_vcc 1
		.amdhsa_reserve_flat_scratch 0
		.amdhsa_float_round_mode_32 0
		.amdhsa_float_round_mode_16_64 0
		.amdhsa_float_denorm_mode_32 3
		.amdhsa_float_denorm_mode_16_64 3
		.amdhsa_dx10_clamp 1
		.amdhsa_ieee_mode 1
		.amdhsa_fp16_overflow 0
		.amdhsa_workgroup_processor_mode 1
		.amdhsa_memory_ordered 1
		.amdhsa_forward_progress 1
		.amdhsa_shared_vgpr_count 0
		.amdhsa_exception_fp_ieee_invalid_op 0
		.amdhsa_exception_fp_denorm_src 0
		.amdhsa_exception_fp_ieee_div_zero 0
		.amdhsa_exception_fp_ieee_overflow 0
		.amdhsa_exception_fp_ieee_underflow 0
		.amdhsa_exception_fp_ieee_inexact 0
		.amdhsa_exception_int_div_zero 0
	.end_amdhsa_kernel
	.section	.text._ZN9rocsparseL23gebsrmvn_general_kernelILj32ELj32E21rocsparse_complex_numIfEEEvi20rocsparse_direction_NS_24const_host_device_scalarIT1_EEPKiS8_PKS5_iiSA_S6_PS5_21rocsparse_index_base_b,"axG",@progbits,_ZN9rocsparseL23gebsrmvn_general_kernelILj32ELj32E21rocsparse_complex_numIfEEEvi20rocsparse_direction_NS_24const_host_device_scalarIT1_EEPKiS8_PKS5_iiSA_S6_PS5_21rocsparse_index_base_b,comdat
.Lfunc_end227:
	.size	_ZN9rocsparseL23gebsrmvn_general_kernelILj32ELj32E21rocsparse_complex_numIfEEEvi20rocsparse_direction_NS_24const_host_device_scalarIT1_EEPKiS8_PKS5_iiSA_S6_PS5_21rocsparse_index_base_b, .Lfunc_end227-_ZN9rocsparseL23gebsrmvn_general_kernelILj32ELj32E21rocsparse_complex_numIfEEEvi20rocsparse_direction_NS_24const_host_device_scalarIT1_EEPKiS8_PKS5_iiSA_S6_PS5_21rocsparse_index_base_b
                                        ; -- End function
	.set _ZN9rocsparseL23gebsrmvn_general_kernelILj32ELj32E21rocsparse_complex_numIfEEEvi20rocsparse_direction_NS_24const_host_device_scalarIT1_EEPKiS8_PKS5_iiSA_S6_PS5_21rocsparse_index_base_b.num_vgpr, 20
	.set _ZN9rocsparseL23gebsrmvn_general_kernelILj32ELj32E21rocsparse_complex_numIfEEEvi20rocsparse_direction_NS_24const_host_device_scalarIT1_EEPKiS8_PKS5_iiSA_S6_PS5_21rocsparse_index_base_b.num_agpr, 0
	.set _ZN9rocsparseL23gebsrmvn_general_kernelILj32ELj32E21rocsparse_complex_numIfEEEvi20rocsparse_direction_NS_24const_host_device_scalarIT1_EEPKiS8_PKS5_iiSA_S6_PS5_21rocsparse_index_base_b.numbered_sgpr, 26
	.set _ZN9rocsparseL23gebsrmvn_general_kernelILj32ELj32E21rocsparse_complex_numIfEEEvi20rocsparse_direction_NS_24const_host_device_scalarIT1_EEPKiS8_PKS5_iiSA_S6_PS5_21rocsparse_index_base_b.num_named_barrier, 0
	.set _ZN9rocsparseL23gebsrmvn_general_kernelILj32ELj32E21rocsparse_complex_numIfEEEvi20rocsparse_direction_NS_24const_host_device_scalarIT1_EEPKiS8_PKS5_iiSA_S6_PS5_21rocsparse_index_base_b.private_seg_size, 0
	.set _ZN9rocsparseL23gebsrmvn_general_kernelILj32ELj32E21rocsparse_complex_numIfEEEvi20rocsparse_direction_NS_24const_host_device_scalarIT1_EEPKiS8_PKS5_iiSA_S6_PS5_21rocsparse_index_base_b.uses_vcc, 1
	.set _ZN9rocsparseL23gebsrmvn_general_kernelILj32ELj32E21rocsparse_complex_numIfEEEvi20rocsparse_direction_NS_24const_host_device_scalarIT1_EEPKiS8_PKS5_iiSA_S6_PS5_21rocsparse_index_base_b.uses_flat_scratch, 0
	.set _ZN9rocsparseL23gebsrmvn_general_kernelILj32ELj32E21rocsparse_complex_numIfEEEvi20rocsparse_direction_NS_24const_host_device_scalarIT1_EEPKiS8_PKS5_iiSA_S6_PS5_21rocsparse_index_base_b.has_dyn_sized_stack, 0
	.set _ZN9rocsparseL23gebsrmvn_general_kernelILj32ELj32E21rocsparse_complex_numIfEEEvi20rocsparse_direction_NS_24const_host_device_scalarIT1_EEPKiS8_PKS5_iiSA_S6_PS5_21rocsparse_index_base_b.has_recursion, 0
	.set _ZN9rocsparseL23gebsrmvn_general_kernelILj32ELj32E21rocsparse_complex_numIfEEEvi20rocsparse_direction_NS_24const_host_device_scalarIT1_EEPKiS8_PKS5_iiSA_S6_PS5_21rocsparse_index_base_b.has_indirect_call, 0
	.section	.AMDGPU.csdata,"",@progbits
; Kernel info:
; codeLenInByte = 1176
; TotalNumSgprs: 28
; NumVgprs: 20
; ScratchSize: 0
; MemoryBound: 0
; FloatMode: 240
; IeeeMode: 1
; LDSByteSize: 0 bytes/workgroup (compile time only)
; SGPRBlocks: 0
; VGPRBlocks: 2
; NumSGPRsForWavesPerEU: 28
; NumVGPRsForWavesPerEU: 20
; Occupancy: 16
; WaveLimiterHint : 1
; COMPUTE_PGM_RSRC2:SCRATCH_EN: 0
; COMPUTE_PGM_RSRC2:USER_SGPR: 6
; COMPUTE_PGM_RSRC2:TRAP_HANDLER: 0
; COMPUTE_PGM_RSRC2:TGID_X_EN: 1
; COMPUTE_PGM_RSRC2:TGID_Y_EN: 0
; COMPUTE_PGM_RSRC2:TGID_Z_EN: 0
; COMPUTE_PGM_RSRC2:TIDIG_COMP_CNT: 0
	.section	.text._ZN9rocsparseL19gebsrmvn_2xn_kernelILj128ELj1ELj4E21rocsparse_complex_numIdEEEvi20rocsparse_direction_NS_24const_host_device_scalarIT2_EEPKiS8_PKS5_SA_S6_PS5_21rocsparse_index_base_b,"axG",@progbits,_ZN9rocsparseL19gebsrmvn_2xn_kernelILj128ELj1ELj4E21rocsparse_complex_numIdEEEvi20rocsparse_direction_NS_24const_host_device_scalarIT2_EEPKiS8_PKS5_SA_S6_PS5_21rocsparse_index_base_b,comdat
	.globl	_ZN9rocsparseL19gebsrmvn_2xn_kernelILj128ELj1ELj4E21rocsparse_complex_numIdEEEvi20rocsparse_direction_NS_24const_host_device_scalarIT2_EEPKiS8_PKS5_SA_S6_PS5_21rocsparse_index_base_b ; -- Begin function _ZN9rocsparseL19gebsrmvn_2xn_kernelILj128ELj1ELj4E21rocsparse_complex_numIdEEEvi20rocsparse_direction_NS_24const_host_device_scalarIT2_EEPKiS8_PKS5_SA_S6_PS5_21rocsparse_index_base_b
	.p2align	8
	.type	_ZN9rocsparseL19gebsrmvn_2xn_kernelILj128ELj1ELj4E21rocsparse_complex_numIdEEEvi20rocsparse_direction_NS_24const_host_device_scalarIT2_EEPKiS8_PKS5_SA_S6_PS5_21rocsparse_index_base_b,@function
_ZN9rocsparseL19gebsrmvn_2xn_kernelILj128ELj1ELj4E21rocsparse_complex_numIdEEEvi20rocsparse_direction_NS_24const_host_device_scalarIT2_EEPKiS8_PKS5_SA_S6_PS5_21rocsparse_index_base_b: ; @_ZN9rocsparseL19gebsrmvn_2xn_kernelILj128ELj1ELj4E21rocsparse_complex_numIdEEEvi20rocsparse_direction_NS_24const_host_device_scalarIT2_EEPKiS8_PKS5_SA_S6_PS5_21rocsparse_index_base_b
; %bb.0:
	s_clause 0x1
	s_load_dwordx2 s[2:3], s[4:5], 0x50
	s_load_dwordx2 s[0:1], s[4:5], 0x8
	s_add_u32 s7, s4, 8
	s_addc_u32 s10, s5, 0
	s_add_u32 s11, s4, 56
	s_addc_u32 s12, s5, 0
	s_load_dwordx2 s[8:9], s[4:5], 0x38
	s_waitcnt lgkmcnt(0)
	s_bitcmp1_b32 s3, 0
	s_cselect_b32 s0, s7, s0
	s_cselect_b32 s1, s10, s1
	v_mov_b32_e32 v1, s0
	v_mov_b32_e32 v2, s1
	s_cselect_b32 s0, s11, s8
	s_cselect_b32 s1, s12, s9
	v_mov_b32_e32 v5, s0
	v_mov_b32_e32 v6, s1
	flat_load_dwordx4 v[1:4], v[1:2]
	flat_load_dwordx4 v[5:8], v[5:6]
	s_waitcnt vmcnt(1) lgkmcnt(1)
	v_cmp_eq_f64_e32 vcc_lo, 0, v[1:2]
	v_cmp_eq_f64_e64 s0, 0, v[3:4]
	s_and_b32 s3, vcc_lo, s0
	s_mov_b32 s0, -1
	s_and_saveexec_b32 s1, s3
	s_cbranch_execz .LBB228_2
; %bb.1:
	s_waitcnt vmcnt(0) lgkmcnt(0)
	v_cmp_neq_f64_e32 vcc_lo, 1.0, v[5:6]
	v_cmp_neq_f64_e64 s0, 0, v[7:8]
	s_or_b32 s0, vcc_lo, s0
	s_orn2_b32 s0, s0, exec_lo
.LBB228_2:
	s_or_b32 exec_lo, exec_lo, s1
	s_and_saveexec_b32 s1, s0
	s_cbranch_execz .LBB228_21
; %bb.3:
	s_load_dwordx2 s[0:1], s[4:5], 0x0
	v_lshrrev_b32_e32 v9, 2, v0
	v_lshl_or_b32 v9, s6, 5, v9
	s_waitcnt lgkmcnt(0)
	v_cmp_gt_i32_e32 vcc_lo, s0, v9
	s_and_b32 exec_lo, exec_lo, vcc_lo
	s_cbranch_execz .LBB228_21
; %bb.4:
	s_load_dwordx8 s[8:15], s[4:5], 0x18
	v_ashrrev_i32_e32 v10, 31, v9
	v_and_b32_e32 v0, 3, v0
	s_cmp_lg_u32 s1, 0
	v_lshlrev_b64 v[10:11], 2, v[9:10]
	s_waitcnt lgkmcnt(0)
	v_add_co_u32 v10, vcc_lo, s8, v10
	v_add_co_ci_u32_e64 v11, null, s9, v11, vcc_lo
	global_load_dwordx2 v[10:11], v[10:11], off
	s_waitcnt vmcnt(0)
	v_subrev_nc_u32_e32 v10, s2, v10
	v_subrev_nc_u32_e32 v23, s2, v11
	v_add_nc_u32_e32 v18, v10, v0
	v_cmp_lt_i32_e64 s0, v18, v23
	s_cbranch_scc0 .LBB228_10
; %bb.5:
	v_mov_b32_e32 v10, 0
	v_mov_b32_e32 v16, 0
	;; [unrolled: 1-line block ×8, first 2 shown]
	s_and_saveexec_b32 s1, s0
	s_cbranch_execz .LBB228_9
; %bb.6:
	v_mov_b32_e32 v10, 0
	v_mov_b32_e32 v16, 0
	;; [unrolled: 1-line block ×4, first 2 shown]
	v_lshlrev_b32_e32 v19, 1, v18
	v_mov_b32_e32 v11, 0
	v_mov_b32_e32 v20, 0
	;; [unrolled: 1-line block ×6, first 2 shown]
	s_mov_b32 s3, 0
.LBB228_7:                              ; =>This Inner Loop Header: Depth=1
	v_ashrrev_i32_e32 v22, 31, v21
	v_mov_b32_e32 v29, v20
	v_lshlrev_b64 v[24:25], 2, v[21:22]
	v_add_nc_u32_e32 v21, 4, v21
	v_add_co_u32 v24, vcc_lo, s10, v24
	v_add_co_ci_u32_e64 v25, null, s11, v25, vcc_lo
	global_load_dword v22, v[24:25], off
	v_lshlrev_b64 v[24:25], 4, v[19:20]
	v_add_nc_u32_e32 v19, 8, v19
	v_add_co_u32 v30, vcc_lo, s12, v24
	v_add_co_ci_u32_e64 v31, null, s13, v25, vcc_lo
	global_load_dwordx4 v[24:27], v[30:31], off offset:16
	s_waitcnt vmcnt(1)
	v_subrev_nc_u32_e32 v28, s2, v22
	v_lshlrev_b64 v[28:29], 4, v[28:29]
	v_add_co_u32 v32, vcc_lo, s14, v28
	v_add_co_ci_u32_e64 v33, null, s15, v29, vcc_lo
	v_cmp_ge_i32_e32 vcc_lo, v21, v23
	global_load_dwordx4 v[28:31], v[30:31], off
	global_load_dwordx4 v[32:35], v[32:33], off
	s_or_b32 s3, vcc_lo, s3
	s_waitcnt vmcnt(0)
	v_fma_f64 v[16:17], v[28:29], v[32:33], v[16:17]
	v_fma_f64 v[10:11], v[30:31], v[32:33], v[10:11]
	;; [unrolled: 1-line block ×4, first 2 shown]
	v_fma_f64 v[16:17], -v[30:31], v[34:35], v[16:17]
	v_fma_f64 v[10:11], v[28:29], v[34:35], v[10:11]
	v_fma_f64 v[14:15], -v[26:27], v[34:35], v[14:15]
	v_fma_f64 v[12:13], v[24:25], v[34:35], v[12:13]
	s_andn2_b32 exec_lo, exec_lo, s3
	s_cbranch_execnz .LBB228_7
; %bb.8:
	s_or_b32 exec_lo, exec_lo, s3
.LBB228_9:
	s_or_b32 exec_lo, exec_lo, s1
	s_cbranch_execz .LBB228_11
	s_branch .LBB228_16
.LBB228_10:
                                        ; implicit-def: $vgpr10_vgpr11
                                        ; implicit-def: $vgpr16_vgpr17
                                        ; implicit-def: $vgpr14_vgpr15
                                        ; implicit-def: $vgpr12_vgpr13
.LBB228_11:
	v_mov_b32_e32 v10, 0
	v_mov_b32_e32 v16, 0
	;; [unrolled: 1-line block ×8, first 2 shown]
	s_and_saveexec_b32 s1, s0
	s_cbranch_execz .LBB228_15
; %bb.12:
	v_mov_b32_e32 v10, 0
	v_mov_b32_e32 v16, 0
	;; [unrolled: 1-line block ×4, first 2 shown]
	v_lshlrev_b32_e32 v20, 1, v18
	v_mov_b32_e32 v11, 0
	v_mov_b32_e32 v17, 0
	v_mov_b32_e32 v15, 0
	v_mov_b32_e32 v13, 0
	v_mov_b32_e32 v21, 0
	s_mov_b32 s0, 0
.LBB228_13:                             ; =>This Inner Loop Header: Depth=1
	v_ashrrev_i32_e32 v19, 31, v18
	v_mov_b32_e32 v29, v21
	v_lshlrev_b64 v[24:25], 2, v[18:19]
	v_add_nc_u32_e32 v18, 4, v18
	v_add_co_u32 v24, vcc_lo, s10, v24
	v_add_co_ci_u32_e64 v25, null, s11, v25, vcc_lo
	global_load_dword v19, v[24:25], off
	v_lshlrev_b64 v[24:25], 4, v[20:21]
	v_add_nc_u32_e32 v20, 8, v20
	v_add_co_u32 v30, vcc_lo, s12, v24
	v_add_co_ci_u32_e64 v31, null, s13, v25, vcc_lo
	global_load_dwordx4 v[24:27], v[30:31], off offset:16
	s_waitcnt vmcnt(1)
	v_subrev_nc_u32_e32 v28, s2, v19
	v_lshlrev_b64 v[28:29], 4, v[28:29]
	v_add_co_u32 v32, vcc_lo, s14, v28
	v_add_co_ci_u32_e64 v33, null, s15, v29, vcc_lo
	v_cmp_ge_i32_e32 vcc_lo, v18, v23
	global_load_dwordx4 v[28:31], v[30:31], off
	global_load_dwordx4 v[32:35], v[32:33], off
	s_or_b32 s0, vcc_lo, s0
	s_waitcnt vmcnt(0)
	v_fma_f64 v[16:17], v[28:29], v[32:33], v[16:17]
	v_fma_f64 v[10:11], v[30:31], v[32:33], v[10:11]
	;; [unrolled: 1-line block ×4, first 2 shown]
	v_fma_f64 v[16:17], -v[30:31], v[34:35], v[16:17]
	v_fma_f64 v[10:11], v[28:29], v[34:35], v[10:11]
	v_fma_f64 v[14:15], -v[26:27], v[34:35], v[14:15]
	v_fma_f64 v[12:13], v[24:25], v[34:35], v[12:13]
	s_andn2_b32 exec_lo, exec_lo, s0
	s_cbranch_execnz .LBB228_13
; %bb.14:
	s_or_b32 exec_lo, exec_lo, s0
.LBB228_15:
	s_or_b32 exec_lo, exec_lo, s1
.LBB228_16:
	v_mbcnt_lo_u32_b32 v28, -1, 0
	v_xor_b32_e32 v18, 2, v28
	v_cmp_gt_i32_e32 vcc_lo, 32, v18
	v_cndmask_b32_e32 v18, v28, v18, vcc_lo
	v_lshlrev_b32_e32 v20, 2, v18
	ds_bpermute_b32 v18, v20, v16
	ds_bpermute_b32 v19, v20, v17
	;; [unrolled: 1-line block ×8, first 2 shown]
	s_waitcnt lgkmcnt(6)
	v_add_f64 v[20:21], v[16:17], v[18:19]
	s_waitcnt lgkmcnt(4)
	v_add_f64 v[16:17], v[10:11], v[22:23]
	v_xor_b32_e32 v10, 1, v28
	s_waitcnt lgkmcnt(2)
	v_add_f64 v[14:15], v[14:15], v[24:25]
	s_waitcnt lgkmcnt(0)
	v_add_f64 v[18:19], v[12:13], v[26:27]
	v_cmp_gt_i32_e32 vcc_lo, 32, v10
	v_cndmask_b32_e32 v10, v28, v10, vcc_lo
	v_cmp_eq_u32_e32 vcc_lo, 3, v0
	v_lshlrev_b32_e32 v23, 2, v10
	ds_bpermute_b32 v10, v23, v20
	ds_bpermute_b32 v11, v23, v21
	;; [unrolled: 1-line block ×8, first 2 shown]
	s_and_b32 exec_lo, exec_lo, vcc_lo
	s_cbranch_execz .LBB228_21
; %bb.17:
	v_cmp_eq_f64_e32 vcc_lo, 0, v[5:6]
	v_cmp_eq_f64_e64 s0, 0, v[7:8]
	s_waitcnt lgkmcnt(6)
	v_add_f64 v[10:11], v[20:21], v[10:11]
	s_waitcnt lgkmcnt(4)
	v_add_f64 v[16:17], v[16:17], v[24:25]
	;; [unrolled: 2-line block ×4, first 2 shown]
	s_load_dwordx2 s[2:3], s[4:5], 0x48
	s_and_b32 s0, vcc_lo, s0
	s_and_saveexec_b32 s1, s0
	s_xor_b32 s0, exec_lo, s1
	s_cbranch_execz .LBB228_19
; %bb.18:
	v_mul_f64 v[5:6], v[16:17], -v[3:4]
	v_mul_f64 v[7:8], v[1:2], v[16:17]
	v_mul_f64 v[16:17], v[14:15], -v[3:4]
	v_mul_f64 v[14:15], v[1:2], v[14:15]
	v_lshlrev_b32_e32 v9, 1, v9
	v_fma_f64 v[5:6], v[1:2], v[10:11], v[5:6]
	v_fma_f64 v[7:8], v[3:4], v[10:11], v[7:8]
	;; [unrolled: 1-line block ×4, first 2 shown]
	v_ashrrev_i32_e32 v10, 31, v9
                                        ; implicit-def: $vgpr16_vgpr17
                                        ; implicit-def: $vgpr12_vgpr13
                                        ; implicit-def: $vgpr14_vgpr15
	v_lshlrev_b64 v[9:10], 4, v[9:10]
	s_waitcnt lgkmcnt(0)
	v_add_co_u32 v9, vcc_lo, s2, v9
	v_add_co_ci_u32_e64 v10, null, s3, v10, vcc_lo
	global_store_dwordx4 v[9:10], v[5:8], off
	global_store_dwordx4 v[9:10], v[0:3], off offset:16
                                        ; implicit-def: $vgpr9
                                        ; implicit-def: $vgpr10_vgpr11
                                        ; implicit-def: $vgpr7_vgpr8
                                        ; implicit-def: $vgpr3_vgpr4
.LBB228_19:
	s_andn2_saveexec_b32 s0, s0
	s_cbranch_execz .LBB228_21
; %bb.20:
	v_lshlrev_b32_e32 v18, 1, v9
	v_mul_f64 v[28:29], v[16:17], -v[3:4]
	v_mul_f64 v[16:17], v[1:2], v[16:17]
	v_mul_f64 v[30:31], v[14:15], -v[3:4]
	v_mul_f64 v[14:15], v[1:2], v[14:15]
	v_ashrrev_i32_e32 v19, 31, v18
	v_lshlrev_b64 v[18:19], 4, v[18:19]
	s_waitcnt lgkmcnt(0)
	v_add_co_u32 v26, vcc_lo, s2, v18
	v_add_co_ci_u32_e64 v27, null, s3, v19, vcc_lo
	s_clause 0x1
	global_load_dwordx4 v[18:21], v[26:27], off
	global_load_dwordx4 v[22:25], v[26:27], off offset:16
	v_fma_f64 v[28:29], v[1:2], v[10:11], v[28:29]
	v_fma_f64 v[9:10], v[3:4], v[10:11], v[16:17]
	;; [unrolled: 1-line block ×4, first 2 shown]
	s_waitcnt vmcnt(1)
	v_fma_f64 v[11:12], v[5:6], v[18:19], v[28:29]
	v_fma_f64 v[9:10], v[7:8], v[18:19], v[9:10]
	s_waitcnt vmcnt(0)
	v_fma_f64 v[13:14], v[5:6], v[22:23], v[0:1]
	v_fma_f64 v[15:16], v[7:8], v[22:23], v[2:3]
	v_fma_f64 v[0:1], -v[7:8], v[20:21], v[11:12]
	v_fma_f64 v[2:3], v[5:6], v[20:21], v[9:10]
	v_fma_f64 v[7:8], -v[7:8], v[24:25], v[13:14]
	v_fma_f64 v[9:10], v[5:6], v[24:25], v[15:16]
	global_store_dwordx4 v[26:27], v[0:3], off
	global_store_dwordx4 v[26:27], v[7:10], off offset:16
.LBB228_21:
	s_endpgm
	.section	.rodata,"a",@progbits
	.p2align	6, 0x0
	.amdhsa_kernel _ZN9rocsparseL19gebsrmvn_2xn_kernelILj128ELj1ELj4E21rocsparse_complex_numIdEEEvi20rocsparse_direction_NS_24const_host_device_scalarIT2_EEPKiS8_PKS5_SA_S6_PS5_21rocsparse_index_base_b
		.amdhsa_group_segment_fixed_size 0
		.amdhsa_private_segment_fixed_size 0
		.amdhsa_kernarg_size 88
		.amdhsa_user_sgpr_count 6
		.amdhsa_user_sgpr_private_segment_buffer 1
		.amdhsa_user_sgpr_dispatch_ptr 0
		.amdhsa_user_sgpr_queue_ptr 0
		.amdhsa_user_sgpr_kernarg_segment_ptr 1
		.amdhsa_user_sgpr_dispatch_id 0
		.amdhsa_user_sgpr_flat_scratch_init 0
		.amdhsa_user_sgpr_private_segment_size 0
		.amdhsa_wavefront_size32 1
		.amdhsa_uses_dynamic_stack 0
		.amdhsa_system_sgpr_private_segment_wavefront_offset 0
		.amdhsa_system_sgpr_workgroup_id_x 1
		.amdhsa_system_sgpr_workgroup_id_y 0
		.amdhsa_system_sgpr_workgroup_id_z 0
		.amdhsa_system_sgpr_workgroup_info 0
		.amdhsa_system_vgpr_workitem_id 0
		.amdhsa_next_free_vgpr 36
		.amdhsa_next_free_sgpr 16
		.amdhsa_reserve_vcc 1
		.amdhsa_reserve_flat_scratch 0
		.amdhsa_float_round_mode_32 0
		.amdhsa_float_round_mode_16_64 0
		.amdhsa_float_denorm_mode_32 3
		.amdhsa_float_denorm_mode_16_64 3
		.amdhsa_dx10_clamp 1
		.amdhsa_ieee_mode 1
		.amdhsa_fp16_overflow 0
		.amdhsa_workgroup_processor_mode 1
		.amdhsa_memory_ordered 1
		.amdhsa_forward_progress 1
		.amdhsa_shared_vgpr_count 0
		.amdhsa_exception_fp_ieee_invalid_op 0
		.amdhsa_exception_fp_denorm_src 0
		.amdhsa_exception_fp_ieee_div_zero 0
		.amdhsa_exception_fp_ieee_overflow 0
		.amdhsa_exception_fp_ieee_underflow 0
		.amdhsa_exception_fp_ieee_inexact 0
		.amdhsa_exception_int_div_zero 0
	.end_amdhsa_kernel
	.section	.text._ZN9rocsparseL19gebsrmvn_2xn_kernelILj128ELj1ELj4E21rocsparse_complex_numIdEEEvi20rocsparse_direction_NS_24const_host_device_scalarIT2_EEPKiS8_PKS5_SA_S6_PS5_21rocsparse_index_base_b,"axG",@progbits,_ZN9rocsparseL19gebsrmvn_2xn_kernelILj128ELj1ELj4E21rocsparse_complex_numIdEEEvi20rocsparse_direction_NS_24const_host_device_scalarIT2_EEPKiS8_PKS5_SA_S6_PS5_21rocsparse_index_base_b,comdat
.Lfunc_end228:
	.size	_ZN9rocsparseL19gebsrmvn_2xn_kernelILj128ELj1ELj4E21rocsparse_complex_numIdEEEvi20rocsparse_direction_NS_24const_host_device_scalarIT2_EEPKiS8_PKS5_SA_S6_PS5_21rocsparse_index_base_b, .Lfunc_end228-_ZN9rocsparseL19gebsrmvn_2xn_kernelILj128ELj1ELj4E21rocsparse_complex_numIdEEEvi20rocsparse_direction_NS_24const_host_device_scalarIT2_EEPKiS8_PKS5_SA_S6_PS5_21rocsparse_index_base_b
                                        ; -- End function
	.set _ZN9rocsparseL19gebsrmvn_2xn_kernelILj128ELj1ELj4E21rocsparse_complex_numIdEEEvi20rocsparse_direction_NS_24const_host_device_scalarIT2_EEPKiS8_PKS5_SA_S6_PS5_21rocsparse_index_base_b.num_vgpr, 36
	.set _ZN9rocsparseL19gebsrmvn_2xn_kernelILj128ELj1ELj4E21rocsparse_complex_numIdEEEvi20rocsparse_direction_NS_24const_host_device_scalarIT2_EEPKiS8_PKS5_SA_S6_PS5_21rocsparse_index_base_b.num_agpr, 0
	.set _ZN9rocsparseL19gebsrmvn_2xn_kernelILj128ELj1ELj4E21rocsparse_complex_numIdEEEvi20rocsparse_direction_NS_24const_host_device_scalarIT2_EEPKiS8_PKS5_SA_S6_PS5_21rocsparse_index_base_b.numbered_sgpr, 16
	.set _ZN9rocsparseL19gebsrmvn_2xn_kernelILj128ELj1ELj4E21rocsparse_complex_numIdEEEvi20rocsparse_direction_NS_24const_host_device_scalarIT2_EEPKiS8_PKS5_SA_S6_PS5_21rocsparse_index_base_b.num_named_barrier, 0
	.set _ZN9rocsparseL19gebsrmvn_2xn_kernelILj128ELj1ELj4E21rocsparse_complex_numIdEEEvi20rocsparse_direction_NS_24const_host_device_scalarIT2_EEPKiS8_PKS5_SA_S6_PS5_21rocsparse_index_base_b.private_seg_size, 0
	.set _ZN9rocsparseL19gebsrmvn_2xn_kernelILj128ELj1ELj4E21rocsparse_complex_numIdEEEvi20rocsparse_direction_NS_24const_host_device_scalarIT2_EEPKiS8_PKS5_SA_S6_PS5_21rocsparse_index_base_b.uses_vcc, 1
	.set _ZN9rocsparseL19gebsrmvn_2xn_kernelILj128ELj1ELj4E21rocsparse_complex_numIdEEEvi20rocsparse_direction_NS_24const_host_device_scalarIT2_EEPKiS8_PKS5_SA_S6_PS5_21rocsparse_index_base_b.uses_flat_scratch, 0
	.set _ZN9rocsparseL19gebsrmvn_2xn_kernelILj128ELj1ELj4E21rocsparse_complex_numIdEEEvi20rocsparse_direction_NS_24const_host_device_scalarIT2_EEPKiS8_PKS5_SA_S6_PS5_21rocsparse_index_base_b.has_dyn_sized_stack, 0
	.set _ZN9rocsparseL19gebsrmvn_2xn_kernelILj128ELj1ELj4E21rocsparse_complex_numIdEEEvi20rocsparse_direction_NS_24const_host_device_scalarIT2_EEPKiS8_PKS5_SA_S6_PS5_21rocsparse_index_base_b.has_recursion, 0
	.set _ZN9rocsparseL19gebsrmvn_2xn_kernelILj128ELj1ELj4E21rocsparse_complex_numIdEEEvi20rocsparse_direction_NS_24const_host_device_scalarIT2_EEPKiS8_PKS5_SA_S6_PS5_21rocsparse_index_base_b.has_indirect_call, 0
	.section	.AMDGPU.csdata,"",@progbits
; Kernel info:
; codeLenInByte = 1556
; TotalNumSgprs: 18
; NumVgprs: 36
; ScratchSize: 0
; MemoryBound: 0
; FloatMode: 240
; IeeeMode: 1
; LDSByteSize: 0 bytes/workgroup (compile time only)
; SGPRBlocks: 0
; VGPRBlocks: 4
; NumSGPRsForWavesPerEU: 18
; NumVGPRsForWavesPerEU: 36
; Occupancy: 16
; WaveLimiterHint : 1
; COMPUTE_PGM_RSRC2:SCRATCH_EN: 0
; COMPUTE_PGM_RSRC2:USER_SGPR: 6
; COMPUTE_PGM_RSRC2:TRAP_HANDLER: 0
; COMPUTE_PGM_RSRC2:TGID_X_EN: 1
; COMPUTE_PGM_RSRC2:TGID_Y_EN: 0
; COMPUTE_PGM_RSRC2:TGID_Z_EN: 0
; COMPUTE_PGM_RSRC2:TIDIG_COMP_CNT: 0
	.section	.text._ZN9rocsparseL19gebsrmvn_2xn_kernelILj128ELj1ELj8E21rocsparse_complex_numIdEEEvi20rocsparse_direction_NS_24const_host_device_scalarIT2_EEPKiS8_PKS5_SA_S6_PS5_21rocsparse_index_base_b,"axG",@progbits,_ZN9rocsparseL19gebsrmvn_2xn_kernelILj128ELj1ELj8E21rocsparse_complex_numIdEEEvi20rocsparse_direction_NS_24const_host_device_scalarIT2_EEPKiS8_PKS5_SA_S6_PS5_21rocsparse_index_base_b,comdat
	.globl	_ZN9rocsparseL19gebsrmvn_2xn_kernelILj128ELj1ELj8E21rocsparse_complex_numIdEEEvi20rocsparse_direction_NS_24const_host_device_scalarIT2_EEPKiS8_PKS5_SA_S6_PS5_21rocsparse_index_base_b ; -- Begin function _ZN9rocsparseL19gebsrmvn_2xn_kernelILj128ELj1ELj8E21rocsparse_complex_numIdEEEvi20rocsparse_direction_NS_24const_host_device_scalarIT2_EEPKiS8_PKS5_SA_S6_PS5_21rocsparse_index_base_b
	.p2align	8
	.type	_ZN9rocsparseL19gebsrmvn_2xn_kernelILj128ELj1ELj8E21rocsparse_complex_numIdEEEvi20rocsparse_direction_NS_24const_host_device_scalarIT2_EEPKiS8_PKS5_SA_S6_PS5_21rocsparse_index_base_b,@function
_ZN9rocsparseL19gebsrmvn_2xn_kernelILj128ELj1ELj8E21rocsparse_complex_numIdEEEvi20rocsparse_direction_NS_24const_host_device_scalarIT2_EEPKiS8_PKS5_SA_S6_PS5_21rocsparse_index_base_b: ; @_ZN9rocsparseL19gebsrmvn_2xn_kernelILj128ELj1ELj8E21rocsparse_complex_numIdEEEvi20rocsparse_direction_NS_24const_host_device_scalarIT2_EEPKiS8_PKS5_SA_S6_PS5_21rocsparse_index_base_b
; %bb.0:
	s_clause 0x1
	s_load_dwordx2 s[2:3], s[4:5], 0x50
	s_load_dwordx2 s[0:1], s[4:5], 0x8
	s_add_u32 s7, s4, 8
	s_addc_u32 s10, s5, 0
	s_add_u32 s11, s4, 56
	s_addc_u32 s12, s5, 0
	s_load_dwordx2 s[8:9], s[4:5], 0x38
	s_waitcnt lgkmcnt(0)
	s_bitcmp1_b32 s3, 0
	s_cselect_b32 s0, s7, s0
	s_cselect_b32 s1, s10, s1
	v_mov_b32_e32 v1, s0
	v_mov_b32_e32 v2, s1
	s_cselect_b32 s0, s11, s8
	s_cselect_b32 s1, s12, s9
	v_mov_b32_e32 v5, s0
	v_mov_b32_e32 v6, s1
	flat_load_dwordx4 v[1:4], v[1:2]
	flat_load_dwordx4 v[5:8], v[5:6]
	s_waitcnt vmcnt(1) lgkmcnt(1)
	v_cmp_eq_f64_e32 vcc_lo, 0, v[1:2]
	v_cmp_eq_f64_e64 s0, 0, v[3:4]
	s_and_b32 s3, vcc_lo, s0
	s_mov_b32 s0, -1
	s_and_saveexec_b32 s1, s3
	s_cbranch_execz .LBB229_2
; %bb.1:
	s_waitcnt vmcnt(0) lgkmcnt(0)
	v_cmp_neq_f64_e32 vcc_lo, 1.0, v[5:6]
	v_cmp_neq_f64_e64 s0, 0, v[7:8]
	s_or_b32 s0, vcc_lo, s0
	s_orn2_b32 s0, s0, exec_lo
.LBB229_2:
	s_or_b32 exec_lo, exec_lo, s1
	s_and_saveexec_b32 s1, s0
	s_cbranch_execz .LBB229_21
; %bb.3:
	s_load_dwordx2 s[0:1], s[4:5], 0x0
	v_lshrrev_b32_e32 v9, 3, v0
	v_lshl_or_b32 v9, s6, 4, v9
	s_waitcnt lgkmcnt(0)
	v_cmp_gt_i32_e32 vcc_lo, s0, v9
	s_and_b32 exec_lo, exec_lo, vcc_lo
	s_cbranch_execz .LBB229_21
; %bb.4:
	s_load_dwordx8 s[8:15], s[4:5], 0x18
	v_ashrrev_i32_e32 v10, 31, v9
	v_and_b32_e32 v0, 7, v0
	s_cmp_lg_u32 s1, 0
	v_lshlrev_b64 v[10:11], 2, v[9:10]
	s_waitcnt lgkmcnt(0)
	v_add_co_u32 v10, vcc_lo, s8, v10
	v_add_co_ci_u32_e64 v11, null, s9, v11, vcc_lo
	global_load_dwordx2 v[10:11], v[10:11], off
	s_waitcnt vmcnt(0)
	v_subrev_nc_u32_e32 v10, s2, v10
	v_subrev_nc_u32_e32 v23, s2, v11
	v_add_nc_u32_e32 v18, v10, v0
	v_cmp_lt_i32_e64 s0, v18, v23
	s_cbranch_scc0 .LBB229_10
; %bb.5:
	v_mov_b32_e32 v10, 0
	v_mov_b32_e32 v16, 0
	;; [unrolled: 1-line block ×8, first 2 shown]
	s_and_saveexec_b32 s1, s0
	s_cbranch_execz .LBB229_9
; %bb.6:
	v_mov_b32_e32 v10, 0
	v_mov_b32_e32 v16, 0
	;; [unrolled: 1-line block ×4, first 2 shown]
	v_lshlrev_b32_e32 v19, 1, v18
	v_mov_b32_e32 v11, 0
	v_mov_b32_e32 v20, 0
	;; [unrolled: 1-line block ×6, first 2 shown]
	s_mov_b32 s3, 0
.LBB229_7:                              ; =>This Inner Loop Header: Depth=1
	v_ashrrev_i32_e32 v22, 31, v21
	v_mov_b32_e32 v29, v20
	v_lshlrev_b64 v[24:25], 2, v[21:22]
	v_add_nc_u32_e32 v21, 8, v21
	v_add_co_u32 v24, vcc_lo, s10, v24
	v_add_co_ci_u32_e64 v25, null, s11, v25, vcc_lo
	global_load_dword v22, v[24:25], off
	v_lshlrev_b64 v[24:25], 4, v[19:20]
	v_add_nc_u32_e32 v19, 16, v19
	v_add_co_u32 v30, vcc_lo, s12, v24
	v_add_co_ci_u32_e64 v31, null, s13, v25, vcc_lo
	global_load_dwordx4 v[24:27], v[30:31], off offset:16
	s_waitcnt vmcnt(1)
	v_subrev_nc_u32_e32 v28, s2, v22
	v_lshlrev_b64 v[28:29], 4, v[28:29]
	v_add_co_u32 v32, vcc_lo, s14, v28
	v_add_co_ci_u32_e64 v33, null, s15, v29, vcc_lo
	v_cmp_ge_i32_e32 vcc_lo, v21, v23
	global_load_dwordx4 v[28:31], v[30:31], off
	global_load_dwordx4 v[32:35], v[32:33], off
	s_or_b32 s3, vcc_lo, s3
	s_waitcnt vmcnt(0)
	v_fma_f64 v[16:17], v[28:29], v[32:33], v[16:17]
	v_fma_f64 v[10:11], v[30:31], v[32:33], v[10:11]
	;; [unrolled: 1-line block ×4, first 2 shown]
	v_fma_f64 v[16:17], -v[30:31], v[34:35], v[16:17]
	v_fma_f64 v[10:11], v[28:29], v[34:35], v[10:11]
	v_fma_f64 v[14:15], -v[26:27], v[34:35], v[14:15]
	v_fma_f64 v[12:13], v[24:25], v[34:35], v[12:13]
	s_andn2_b32 exec_lo, exec_lo, s3
	s_cbranch_execnz .LBB229_7
; %bb.8:
	s_or_b32 exec_lo, exec_lo, s3
.LBB229_9:
	s_or_b32 exec_lo, exec_lo, s1
	s_cbranch_execz .LBB229_11
	s_branch .LBB229_16
.LBB229_10:
                                        ; implicit-def: $vgpr10_vgpr11
                                        ; implicit-def: $vgpr16_vgpr17
                                        ; implicit-def: $vgpr14_vgpr15
                                        ; implicit-def: $vgpr12_vgpr13
.LBB229_11:
	v_mov_b32_e32 v10, 0
	v_mov_b32_e32 v16, 0
	;; [unrolled: 1-line block ×8, first 2 shown]
	s_and_saveexec_b32 s1, s0
	s_cbranch_execz .LBB229_15
; %bb.12:
	v_mov_b32_e32 v10, 0
	v_mov_b32_e32 v16, 0
	;; [unrolled: 1-line block ×4, first 2 shown]
	v_lshlrev_b32_e32 v20, 1, v18
	v_mov_b32_e32 v11, 0
	v_mov_b32_e32 v17, 0
	;; [unrolled: 1-line block ×5, first 2 shown]
	s_mov_b32 s0, 0
.LBB229_13:                             ; =>This Inner Loop Header: Depth=1
	v_ashrrev_i32_e32 v19, 31, v18
	v_mov_b32_e32 v29, v21
	v_lshlrev_b64 v[24:25], 2, v[18:19]
	v_add_nc_u32_e32 v18, 8, v18
	v_add_co_u32 v24, vcc_lo, s10, v24
	v_add_co_ci_u32_e64 v25, null, s11, v25, vcc_lo
	global_load_dword v19, v[24:25], off
	v_lshlrev_b64 v[24:25], 4, v[20:21]
	v_add_nc_u32_e32 v20, 16, v20
	v_add_co_u32 v30, vcc_lo, s12, v24
	v_add_co_ci_u32_e64 v31, null, s13, v25, vcc_lo
	global_load_dwordx4 v[24:27], v[30:31], off offset:16
	s_waitcnt vmcnt(1)
	v_subrev_nc_u32_e32 v28, s2, v19
	v_lshlrev_b64 v[28:29], 4, v[28:29]
	v_add_co_u32 v32, vcc_lo, s14, v28
	v_add_co_ci_u32_e64 v33, null, s15, v29, vcc_lo
	v_cmp_ge_i32_e32 vcc_lo, v18, v23
	global_load_dwordx4 v[28:31], v[30:31], off
	global_load_dwordx4 v[32:35], v[32:33], off
	s_or_b32 s0, vcc_lo, s0
	s_waitcnt vmcnt(0)
	v_fma_f64 v[16:17], v[28:29], v[32:33], v[16:17]
	v_fma_f64 v[10:11], v[30:31], v[32:33], v[10:11]
	;; [unrolled: 1-line block ×4, first 2 shown]
	v_fma_f64 v[16:17], -v[30:31], v[34:35], v[16:17]
	v_fma_f64 v[10:11], v[28:29], v[34:35], v[10:11]
	v_fma_f64 v[14:15], -v[26:27], v[34:35], v[14:15]
	v_fma_f64 v[12:13], v[24:25], v[34:35], v[12:13]
	s_andn2_b32 exec_lo, exec_lo, s0
	s_cbranch_execnz .LBB229_13
; %bb.14:
	s_or_b32 exec_lo, exec_lo, s0
.LBB229_15:
	s_or_b32 exec_lo, exec_lo, s1
.LBB229_16:
	v_mbcnt_lo_u32_b32 v26, -1, 0
	v_xor_b32_e32 v18, 4, v26
	v_cmp_gt_i32_e32 vcc_lo, 32, v18
	v_cndmask_b32_e32 v18, v26, v18, vcc_lo
	v_lshlrev_b32_e32 v25, 2, v18
	ds_bpermute_b32 v18, v25, v16
	ds_bpermute_b32 v19, v25, v17
	;; [unrolled: 1-line block ×8, first 2 shown]
	s_waitcnt lgkmcnt(6)
	v_add_f64 v[16:17], v[16:17], v[18:19]
	s_waitcnt lgkmcnt(4)
	v_add_f64 v[18:19], v[10:11], v[20:21]
	v_xor_b32_e32 v10, 2, v26
	s_waitcnt lgkmcnt(2)
	v_add_f64 v[14:15], v[14:15], v[22:23]
	s_waitcnt lgkmcnt(0)
	v_add_f64 v[20:21], v[12:13], v[24:25]
	v_cmp_gt_i32_e32 vcc_lo, 32, v10
	v_cndmask_b32_e32 v10, v26, v10, vcc_lo
	v_lshlrev_b32_e32 v25, 2, v10
	ds_bpermute_b32 v10, v25, v16
	ds_bpermute_b32 v11, v25, v17
	;; [unrolled: 1-line block ×8, first 2 shown]
	s_waitcnt lgkmcnt(6)
	v_add_f64 v[10:11], v[16:17], v[10:11]
	s_waitcnt lgkmcnt(4)
	v_add_f64 v[16:17], v[18:19], v[12:13]
	v_xor_b32_e32 v18, 1, v26
	s_waitcnt lgkmcnt(2)
	v_add_f64 v[12:13], v[14:15], v[22:23]
	s_waitcnt lgkmcnt(0)
	v_add_f64 v[14:15], v[20:21], v[24:25]
	v_cmp_gt_i32_e32 vcc_lo, 32, v18
	v_cndmask_b32_e32 v18, v26, v18, vcc_lo
	v_cmp_eq_u32_e32 vcc_lo, 7, v0
	v_lshlrev_b32_e32 v21, 2, v18
	ds_bpermute_b32 v24, v21, v10
	ds_bpermute_b32 v25, v21, v11
	;; [unrolled: 1-line block ×8, first 2 shown]
	s_and_b32 exec_lo, exec_lo, vcc_lo
	s_cbranch_execz .LBB229_21
; %bb.17:
	v_cmp_eq_f64_e32 vcc_lo, 0, v[5:6]
	v_cmp_eq_f64_e64 s0, 0, v[7:8]
	s_waitcnt lgkmcnt(6)
	v_add_f64 v[10:11], v[10:11], v[24:25]
	s_waitcnt lgkmcnt(4)
	v_add_f64 v[16:17], v[16:17], v[22:23]
	s_waitcnt lgkmcnt(2)
	v_add_f64 v[12:13], v[12:13], v[18:19]
	s_waitcnt lgkmcnt(0)
	v_add_f64 v[14:15], v[14:15], v[20:21]
	s_load_dwordx2 s[2:3], s[4:5], 0x48
	s_and_b32 s0, vcc_lo, s0
	s_and_saveexec_b32 s1, s0
	s_xor_b32 s0, exec_lo, s1
	s_cbranch_execz .LBB229_19
; %bb.18:
	v_mul_f64 v[5:6], v[16:17], -v[3:4]
	v_mul_f64 v[7:8], v[1:2], v[16:17]
	v_mul_f64 v[16:17], v[14:15], -v[3:4]
	v_mul_f64 v[14:15], v[1:2], v[14:15]
	v_lshlrev_b32_e32 v9, 1, v9
	v_fma_f64 v[5:6], v[1:2], v[10:11], v[5:6]
	v_fma_f64 v[7:8], v[3:4], v[10:11], v[7:8]
	;; [unrolled: 1-line block ×4, first 2 shown]
	v_ashrrev_i32_e32 v10, 31, v9
                                        ; implicit-def: $vgpr16_vgpr17
                                        ; implicit-def: $vgpr12_vgpr13
                                        ; implicit-def: $vgpr14_vgpr15
	v_lshlrev_b64 v[9:10], 4, v[9:10]
	s_waitcnt lgkmcnt(0)
	v_add_co_u32 v9, vcc_lo, s2, v9
	v_add_co_ci_u32_e64 v10, null, s3, v10, vcc_lo
	global_store_dwordx4 v[9:10], v[5:8], off
	global_store_dwordx4 v[9:10], v[0:3], off offset:16
                                        ; implicit-def: $vgpr9
                                        ; implicit-def: $vgpr10_vgpr11
                                        ; implicit-def: $vgpr7_vgpr8
                                        ; implicit-def: $vgpr3_vgpr4
.LBB229_19:
	s_andn2_saveexec_b32 s0, s0
	s_cbranch_execz .LBB229_21
; %bb.20:
	v_lshlrev_b32_e32 v18, 1, v9
	v_mul_f64 v[28:29], v[16:17], -v[3:4]
	v_mul_f64 v[16:17], v[1:2], v[16:17]
	v_mul_f64 v[30:31], v[14:15], -v[3:4]
	v_mul_f64 v[14:15], v[1:2], v[14:15]
	v_ashrrev_i32_e32 v19, 31, v18
	v_lshlrev_b64 v[18:19], 4, v[18:19]
	s_waitcnt lgkmcnt(0)
	v_add_co_u32 v26, vcc_lo, s2, v18
	v_add_co_ci_u32_e64 v27, null, s3, v19, vcc_lo
	s_clause 0x1
	global_load_dwordx4 v[18:21], v[26:27], off
	global_load_dwordx4 v[22:25], v[26:27], off offset:16
	v_fma_f64 v[28:29], v[1:2], v[10:11], v[28:29]
	v_fma_f64 v[9:10], v[3:4], v[10:11], v[16:17]
	;; [unrolled: 1-line block ×4, first 2 shown]
	s_waitcnt vmcnt(1)
	v_fma_f64 v[11:12], v[5:6], v[18:19], v[28:29]
	v_fma_f64 v[9:10], v[7:8], v[18:19], v[9:10]
	s_waitcnt vmcnt(0)
	v_fma_f64 v[13:14], v[5:6], v[22:23], v[0:1]
	v_fma_f64 v[15:16], v[7:8], v[22:23], v[2:3]
	v_fma_f64 v[0:1], -v[7:8], v[20:21], v[11:12]
	v_fma_f64 v[2:3], v[5:6], v[20:21], v[9:10]
	v_fma_f64 v[7:8], -v[7:8], v[24:25], v[13:14]
	v_fma_f64 v[9:10], v[5:6], v[24:25], v[15:16]
	global_store_dwordx4 v[26:27], v[0:3], off
	global_store_dwordx4 v[26:27], v[7:10], off offset:16
.LBB229_21:
	s_endpgm
	.section	.rodata,"a",@progbits
	.p2align	6, 0x0
	.amdhsa_kernel _ZN9rocsparseL19gebsrmvn_2xn_kernelILj128ELj1ELj8E21rocsparse_complex_numIdEEEvi20rocsparse_direction_NS_24const_host_device_scalarIT2_EEPKiS8_PKS5_SA_S6_PS5_21rocsparse_index_base_b
		.amdhsa_group_segment_fixed_size 0
		.amdhsa_private_segment_fixed_size 0
		.amdhsa_kernarg_size 88
		.amdhsa_user_sgpr_count 6
		.amdhsa_user_sgpr_private_segment_buffer 1
		.amdhsa_user_sgpr_dispatch_ptr 0
		.amdhsa_user_sgpr_queue_ptr 0
		.amdhsa_user_sgpr_kernarg_segment_ptr 1
		.amdhsa_user_sgpr_dispatch_id 0
		.amdhsa_user_sgpr_flat_scratch_init 0
		.amdhsa_user_sgpr_private_segment_size 0
		.amdhsa_wavefront_size32 1
		.amdhsa_uses_dynamic_stack 0
		.amdhsa_system_sgpr_private_segment_wavefront_offset 0
		.amdhsa_system_sgpr_workgroup_id_x 1
		.amdhsa_system_sgpr_workgroup_id_y 0
		.amdhsa_system_sgpr_workgroup_id_z 0
		.amdhsa_system_sgpr_workgroup_info 0
		.amdhsa_system_vgpr_workitem_id 0
		.amdhsa_next_free_vgpr 36
		.amdhsa_next_free_sgpr 16
		.amdhsa_reserve_vcc 1
		.amdhsa_reserve_flat_scratch 0
		.amdhsa_float_round_mode_32 0
		.amdhsa_float_round_mode_16_64 0
		.amdhsa_float_denorm_mode_32 3
		.amdhsa_float_denorm_mode_16_64 3
		.amdhsa_dx10_clamp 1
		.amdhsa_ieee_mode 1
		.amdhsa_fp16_overflow 0
		.amdhsa_workgroup_processor_mode 1
		.amdhsa_memory_ordered 1
		.amdhsa_forward_progress 1
		.amdhsa_shared_vgpr_count 0
		.amdhsa_exception_fp_ieee_invalid_op 0
		.amdhsa_exception_fp_denorm_src 0
		.amdhsa_exception_fp_ieee_div_zero 0
		.amdhsa_exception_fp_ieee_overflow 0
		.amdhsa_exception_fp_ieee_underflow 0
		.amdhsa_exception_fp_ieee_inexact 0
		.amdhsa_exception_int_div_zero 0
	.end_amdhsa_kernel
	.section	.text._ZN9rocsparseL19gebsrmvn_2xn_kernelILj128ELj1ELj8E21rocsparse_complex_numIdEEEvi20rocsparse_direction_NS_24const_host_device_scalarIT2_EEPKiS8_PKS5_SA_S6_PS5_21rocsparse_index_base_b,"axG",@progbits,_ZN9rocsparseL19gebsrmvn_2xn_kernelILj128ELj1ELj8E21rocsparse_complex_numIdEEEvi20rocsparse_direction_NS_24const_host_device_scalarIT2_EEPKiS8_PKS5_SA_S6_PS5_21rocsparse_index_base_b,comdat
.Lfunc_end229:
	.size	_ZN9rocsparseL19gebsrmvn_2xn_kernelILj128ELj1ELj8E21rocsparse_complex_numIdEEEvi20rocsparse_direction_NS_24const_host_device_scalarIT2_EEPKiS8_PKS5_SA_S6_PS5_21rocsparse_index_base_b, .Lfunc_end229-_ZN9rocsparseL19gebsrmvn_2xn_kernelILj128ELj1ELj8E21rocsparse_complex_numIdEEEvi20rocsparse_direction_NS_24const_host_device_scalarIT2_EEPKiS8_PKS5_SA_S6_PS5_21rocsparse_index_base_b
                                        ; -- End function
	.set _ZN9rocsparseL19gebsrmvn_2xn_kernelILj128ELj1ELj8E21rocsparse_complex_numIdEEEvi20rocsparse_direction_NS_24const_host_device_scalarIT2_EEPKiS8_PKS5_SA_S6_PS5_21rocsparse_index_base_b.num_vgpr, 36
	.set _ZN9rocsparseL19gebsrmvn_2xn_kernelILj128ELj1ELj8E21rocsparse_complex_numIdEEEvi20rocsparse_direction_NS_24const_host_device_scalarIT2_EEPKiS8_PKS5_SA_S6_PS5_21rocsparse_index_base_b.num_agpr, 0
	.set _ZN9rocsparseL19gebsrmvn_2xn_kernelILj128ELj1ELj8E21rocsparse_complex_numIdEEEvi20rocsparse_direction_NS_24const_host_device_scalarIT2_EEPKiS8_PKS5_SA_S6_PS5_21rocsparse_index_base_b.numbered_sgpr, 16
	.set _ZN9rocsparseL19gebsrmvn_2xn_kernelILj128ELj1ELj8E21rocsparse_complex_numIdEEEvi20rocsparse_direction_NS_24const_host_device_scalarIT2_EEPKiS8_PKS5_SA_S6_PS5_21rocsparse_index_base_b.num_named_barrier, 0
	.set _ZN9rocsparseL19gebsrmvn_2xn_kernelILj128ELj1ELj8E21rocsparse_complex_numIdEEEvi20rocsparse_direction_NS_24const_host_device_scalarIT2_EEPKiS8_PKS5_SA_S6_PS5_21rocsparse_index_base_b.private_seg_size, 0
	.set _ZN9rocsparseL19gebsrmvn_2xn_kernelILj128ELj1ELj8E21rocsparse_complex_numIdEEEvi20rocsparse_direction_NS_24const_host_device_scalarIT2_EEPKiS8_PKS5_SA_S6_PS5_21rocsparse_index_base_b.uses_vcc, 1
	.set _ZN9rocsparseL19gebsrmvn_2xn_kernelILj128ELj1ELj8E21rocsparse_complex_numIdEEEvi20rocsparse_direction_NS_24const_host_device_scalarIT2_EEPKiS8_PKS5_SA_S6_PS5_21rocsparse_index_base_b.uses_flat_scratch, 0
	.set _ZN9rocsparseL19gebsrmvn_2xn_kernelILj128ELj1ELj8E21rocsparse_complex_numIdEEEvi20rocsparse_direction_NS_24const_host_device_scalarIT2_EEPKiS8_PKS5_SA_S6_PS5_21rocsparse_index_base_b.has_dyn_sized_stack, 0
	.set _ZN9rocsparseL19gebsrmvn_2xn_kernelILj128ELj1ELj8E21rocsparse_complex_numIdEEEvi20rocsparse_direction_NS_24const_host_device_scalarIT2_EEPKiS8_PKS5_SA_S6_PS5_21rocsparse_index_base_b.has_recursion, 0
	.set _ZN9rocsparseL19gebsrmvn_2xn_kernelILj128ELj1ELj8E21rocsparse_complex_numIdEEEvi20rocsparse_direction_NS_24const_host_device_scalarIT2_EEPKiS8_PKS5_SA_S6_PS5_21rocsparse_index_base_b.has_indirect_call, 0
	.section	.AMDGPU.csdata,"",@progbits
; Kernel info:
; codeLenInByte = 1684
; TotalNumSgprs: 18
; NumVgprs: 36
; ScratchSize: 0
; MemoryBound: 0
; FloatMode: 240
; IeeeMode: 1
; LDSByteSize: 0 bytes/workgroup (compile time only)
; SGPRBlocks: 0
; VGPRBlocks: 4
; NumSGPRsForWavesPerEU: 18
; NumVGPRsForWavesPerEU: 36
; Occupancy: 16
; WaveLimiterHint : 1
; COMPUTE_PGM_RSRC2:SCRATCH_EN: 0
; COMPUTE_PGM_RSRC2:USER_SGPR: 6
; COMPUTE_PGM_RSRC2:TRAP_HANDLER: 0
; COMPUTE_PGM_RSRC2:TGID_X_EN: 1
; COMPUTE_PGM_RSRC2:TGID_Y_EN: 0
; COMPUTE_PGM_RSRC2:TGID_Z_EN: 0
; COMPUTE_PGM_RSRC2:TIDIG_COMP_CNT: 0
	.section	.text._ZN9rocsparseL19gebsrmvn_2xn_kernelILj128ELj1ELj16E21rocsparse_complex_numIdEEEvi20rocsparse_direction_NS_24const_host_device_scalarIT2_EEPKiS8_PKS5_SA_S6_PS5_21rocsparse_index_base_b,"axG",@progbits,_ZN9rocsparseL19gebsrmvn_2xn_kernelILj128ELj1ELj16E21rocsparse_complex_numIdEEEvi20rocsparse_direction_NS_24const_host_device_scalarIT2_EEPKiS8_PKS5_SA_S6_PS5_21rocsparse_index_base_b,comdat
	.globl	_ZN9rocsparseL19gebsrmvn_2xn_kernelILj128ELj1ELj16E21rocsparse_complex_numIdEEEvi20rocsparse_direction_NS_24const_host_device_scalarIT2_EEPKiS8_PKS5_SA_S6_PS5_21rocsparse_index_base_b ; -- Begin function _ZN9rocsparseL19gebsrmvn_2xn_kernelILj128ELj1ELj16E21rocsparse_complex_numIdEEEvi20rocsparse_direction_NS_24const_host_device_scalarIT2_EEPKiS8_PKS5_SA_S6_PS5_21rocsparse_index_base_b
	.p2align	8
	.type	_ZN9rocsparseL19gebsrmvn_2xn_kernelILj128ELj1ELj16E21rocsparse_complex_numIdEEEvi20rocsparse_direction_NS_24const_host_device_scalarIT2_EEPKiS8_PKS5_SA_S6_PS5_21rocsparse_index_base_b,@function
_ZN9rocsparseL19gebsrmvn_2xn_kernelILj128ELj1ELj16E21rocsparse_complex_numIdEEEvi20rocsparse_direction_NS_24const_host_device_scalarIT2_EEPKiS8_PKS5_SA_S6_PS5_21rocsparse_index_base_b: ; @_ZN9rocsparseL19gebsrmvn_2xn_kernelILj128ELj1ELj16E21rocsparse_complex_numIdEEEvi20rocsparse_direction_NS_24const_host_device_scalarIT2_EEPKiS8_PKS5_SA_S6_PS5_21rocsparse_index_base_b
; %bb.0:
	s_clause 0x1
	s_load_dwordx2 s[2:3], s[4:5], 0x50
	s_load_dwordx2 s[0:1], s[4:5], 0x8
	s_add_u32 s7, s4, 8
	s_addc_u32 s10, s5, 0
	s_add_u32 s11, s4, 56
	s_addc_u32 s12, s5, 0
	s_load_dwordx2 s[8:9], s[4:5], 0x38
	s_waitcnt lgkmcnt(0)
	s_bitcmp1_b32 s3, 0
	s_cselect_b32 s0, s7, s0
	s_cselect_b32 s1, s10, s1
	v_mov_b32_e32 v1, s0
	v_mov_b32_e32 v2, s1
	s_cselect_b32 s0, s11, s8
	s_cselect_b32 s1, s12, s9
	v_mov_b32_e32 v5, s0
	v_mov_b32_e32 v6, s1
	flat_load_dwordx4 v[1:4], v[1:2]
	flat_load_dwordx4 v[5:8], v[5:6]
	s_waitcnt vmcnt(1) lgkmcnt(1)
	v_cmp_eq_f64_e32 vcc_lo, 0, v[1:2]
	v_cmp_eq_f64_e64 s0, 0, v[3:4]
	s_and_b32 s3, vcc_lo, s0
	s_mov_b32 s0, -1
	s_and_saveexec_b32 s1, s3
	s_cbranch_execz .LBB230_2
; %bb.1:
	s_waitcnt vmcnt(0) lgkmcnt(0)
	v_cmp_neq_f64_e32 vcc_lo, 1.0, v[5:6]
	v_cmp_neq_f64_e64 s0, 0, v[7:8]
	s_or_b32 s0, vcc_lo, s0
	s_orn2_b32 s0, s0, exec_lo
.LBB230_2:
	s_or_b32 exec_lo, exec_lo, s1
	s_and_saveexec_b32 s1, s0
	s_cbranch_execz .LBB230_21
; %bb.3:
	s_load_dwordx2 s[0:1], s[4:5], 0x0
	v_lshrrev_b32_e32 v9, 4, v0
	v_lshl_or_b32 v9, s6, 3, v9
	s_waitcnt lgkmcnt(0)
	v_cmp_gt_i32_e32 vcc_lo, s0, v9
	s_and_b32 exec_lo, exec_lo, vcc_lo
	s_cbranch_execz .LBB230_21
; %bb.4:
	s_load_dwordx8 s[8:15], s[4:5], 0x18
	v_ashrrev_i32_e32 v10, 31, v9
	v_and_b32_e32 v0, 15, v0
	s_cmp_lg_u32 s1, 0
	v_lshlrev_b64 v[10:11], 2, v[9:10]
	s_waitcnt lgkmcnt(0)
	v_add_co_u32 v10, vcc_lo, s8, v10
	v_add_co_ci_u32_e64 v11, null, s9, v11, vcc_lo
	global_load_dwordx2 v[10:11], v[10:11], off
	s_waitcnt vmcnt(0)
	v_subrev_nc_u32_e32 v10, s2, v10
	v_subrev_nc_u32_e32 v23, s2, v11
	v_add_nc_u32_e32 v18, v10, v0
	v_cmp_lt_i32_e64 s0, v18, v23
	s_cbranch_scc0 .LBB230_10
; %bb.5:
	v_mov_b32_e32 v10, 0
	v_mov_b32_e32 v16, 0
	;; [unrolled: 1-line block ×8, first 2 shown]
	s_and_saveexec_b32 s1, s0
	s_cbranch_execz .LBB230_9
; %bb.6:
	v_mov_b32_e32 v10, 0
	v_mov_b32_e32 v16, 0
	;; [unrolled: 1-line block ×4, first 2 shown]
	v_lshlrev_b32_e32 v19, 1, v18
	v_mov_b32_e32 v11, 0
	v_mov_b32_e32 v20, 0
	;; [unrolled: 1-line block ×6, first 2 shown]
	s_mov_b32 s3, 0
.LBB230_7:                              ; =>This Inner Loop Header: Depth=1
	v_ashrrev_i32_e32 v22, 31, v21
	v_mov_b32_e32 v29, v20
	v_lshlrev_b64 v[24:25], 2, v[21:22]
	v_add_nc_u32_e32 v21, 16, v21
	v_add_co_u32 v24, vcc_lo, s10, v24
	v_add_co_ci_u32_e64 v25, null, s11, v25, vcc_lo
	global_load_dword v22, v[24:25], off
	v_lshlrev_b64 v[24:25], 4, v[19:20]
	v_add_nc_u32_e32 v19, 32, v19
	v_add_co_u32 v30, vcc_lo, s12, v24
	v_add_co_ci_u32_e64 v31, null, s13, v25, vcc_lo
	global_load_dwordx4 v[24:27], v[30:31], off offset:16
	s_waitcnt vmcnt(1)
	v_subrev_nc_u32_e32 v28, s2, v22
	v_lshlrev_b64 v[28:29], 4, v[28:29]
	v_add_co_u32 v32, vcc_lo, s14, v28
	v_add_co_ci_u32_e64 v33, null, s15, v29, vcc_lo
	v_cmp_ge_i32_e32 vcc_lo, v21, v23
	global_load_dwordx4 v[28:31], v[30:31], off
	global_load_dwordx4 v[32:35], v[32:33], off
	s_or_b32 s3, vcc_lo, s3
	s_waitcnt vmcnt(0)
	v_fma_f64 v[16:17], v[28:29], v[32:33], v[16:17]
	v_fma_f64 v[10:11], v[30:31], v[32:33], v[10:11]
	;; [unrolled: 1-line block ×4, first 2 shown]
	v_fma_f64 v[16:17], -v[30:31], v[34:35], v[16:17]
	v_fma_f64 v[10:11], v[28:29], v[34:35], v[10:11]
	v_fma_f64 v[14:15], -v[26:27], v[34:35], v[14:15]
	v_fma_f64 v[12:13], v[24:25], v[34:35], v[12:13]
	s_andn2_b32 exec_lo, exec_lo, s3
	s_cbranch_execnz .LBB230_7
; %bb.8:
	s_or_b32 exec_lo, exec_lo, s3
.LBB230_9:
	s_or_b32 exec_lo, exec_lo, s1
	s_cbranch_execz .LBB230_11
	s_branch .LBB230_16
.LBB230_10:
                                        ; implicit-def: $vgpr10_vgpr11
                                        ; implicit-def: $vgpr16_vgpr17
                                        ; implicit-def: $vgpr14_vgpr15
                                        ; implicit-def: $vgpr12_vgpr13
.LBB230_11:
	v_mov_b32_e32 v10, 0
	v_mov_b32_e32 v16, 0
	;; [unrolled: 1-line block ×8, first 2 shown]
	s_and_saveexec_b32 s1, s0
	s_cbranch_execz .LBB230_15
; %bb.12:
	v_mov_b32_e32 v10, 0
	v_mov_b32_e32 v16, 0
	;; [unrolled: 1-line block ×4, first 2 shown]
	v_lshlrev_b32_e32 v20, 1, v18
	v_mov_b32_e32 v11, 0
	v_mov_b32_e32 v17, 0
	;; [unrolled: 1-line block ×5, first 2 shown]
	s_mov_b32 s0, 0
.LBB230_13:                             ; =>This Inner Loop Header: Depth=1
	v_ashrrev_i32_e32 v19, 31, v18
	v_mov_b32_e32 v29, v21
	v_lshlrev_b64 v[24:25], 2, v[18:19]
	v_add_nc_u32_e32 v18, 16, v18
	v_add_co_u32 v24, vcc_lo, s10, v24
	v_add_co_ci_u32_e64 v25, null, s11, v25, vcc_lo
	global_load_dword v19, v[24:25], off
	v_lshlrev_b64 v[24:25], 4, v[20:21]
	v_add_nc_u32_e32 v20, 32, v20
	v_add_co_u32 v30, vcc_lo, s12, v24
	v_add_co_ci_u32_e64 v31, null, s13, v25, vcc_lo
	global_load_dwordx4 v[24:27], v[30:31], off offset:16
	s_waitcnt vmcnt(1)
	v_subrev_nc_u32_e32 v28, s2, v19
	v_lshlrev_b64 v[28:29], 4, v[28:29]
	v_add_co_u32 v32, vcc_lo, s14, v28
	v_add_co_ci_u32_e64 v33, null, s15, v29, vcc_lo
	v_cmp_ge_i32_e32 vcc_lo, v18, v23
	global_load_dwordx4 v[28:31], v[30:31], off
	global_load_dwordx4 v[32:35], v[32:33], off
	s_or_b32 s0, vcc_lo, s0
	s_waitcnt vmcnt(0)
	v_fma_f64 v[16:17], v[28:29], v[32:33], v[16:17]
	v_fma_f64 v[10:11], v[30:31], v[32:33], v[10:11]
	;; [unrolled: 1-line block ×4, first 2 shown]
	v_fma_f64 v[16:17], -v[30:31], v[34:35], v[16:17]
	v_fma_f64 v[10:11], v[28:29], v[34:35], v[10:11]
	v_fma_f64 v[14:15], -v[26:27], v[34:35], v[14:15]
	v_fma_f64 v[12:13], v[24:25], v[34:35], v[12:13]
	s_andn2_b32 exec_lo, exec_lo, s0
	s_cbranch_execnz .LBB230_13
; %bb.14:
	s_or_b32 exec_lo, exec_lo, s0
.LBB230_15:
	s_or_b32 exec_lo, exec_lo, s1
.LBB230_16:
	v_mbcnt_lo_u32_b32 v26, -1, 0
	v_xor_b32_e32 v18, 8, v26
	v_cmp_gt_i32_e32 vcc_lo, 32, v18
	v_cndmask_b32_e32 v18, v26, v18, vcc_lo
	v_lshlrev_b32_e32 v25, 2, v18
	ds_bpermute_b32 v18, v25, v16
	ds_bpermute_b32 v19, v25, v17
	;; [unrolled: 1-line block ×8, first 2 shown]
	s_waitcnt lgkmcnt(6)
	v_add_f64 v[16:17], v[16:17], v[18:19]
	v_xor_b32_e32 v18, 4, v26
	s_waitcnt lgkmcnt(4)
	v_add_f64 v[10:11], v[10:11], v[20:21]
	s_waitcnt lgkmcnt(2)
	v_add_f64 v[14:15], v[14:15], v[22:23]
	;; [unrolled: 2-line block ×3, first 2 shown]
	v_cmp_gt_i32_e32 vcc_lo, 32, v18
	v_cndmask_b32_e32 v18, v26, v18, vcc_lo
	v_lshlrev_b32_e32 v25, 2, v18
	ds_bpermute_b32 v18, v25, v16
	ds_bpermute_b32 v19, v25, v17
	;; [unrolled: 1-line block ×8, first 2 shown]
	s_waitcnt lgkmcnt(6)
	v_add_f64 v[16:17], v[16:17], v[18:19]
	s_waitcnt lgkmcnt(4)
	v_add_f64 v[18:19], v[10:11], v[20:21]
	v_xor_b32_e32 v10, 2, v26
	s_waitcnt lgkmcnt(2)
	v_add_f64 v[14:15], v[14:15], v[22:23]
	s_waitcnt lgkmcnt(0)
	v_add_f64 v[20:21], v[12:13], v[24:25]
	v_cmp_gt_i32_e32 vcc_lo, 32, v10
	v_cndmask_b32_e32 v10, v26, v10, vcc_lo
	v_lshlrev_b32_e32 v25, 2, v10
	ds_bpermute_b32 v10, v25, v16
	ds_bpermute_b32 v11, v25, v17
	;; [unrolled: 1-line block ×8, first 2 shown]
	s_waitcnt lgkmcnt(6)
	v_add_f64 v[10:11], v[16:17], v[10:11]
	s_waitcnt lgkmcnt(4)
	v_add_f64 v[16:17], v[18:19], v[12:13]
	v_xor_b32_e32 v18, 1, v26
	s_waitcnt lgkmcnt(2)
	v_add_f64 v[12:13], v[14:15], v[22:23]
	s_waitcnt lgkmcnt(0)
	v_add_f64 v[14:15], v[20:21], v[24:25]
	v_cmp_gt_i32_e32 vcc_lo, 32, v18
	v_cndmask_b32_e32 v18, v26, v18, vcc_lo
	v_cmp_eq_u32_e32 vcc_lo, 15, v0
	v_lshlrev_b32_e32 v21, 2, v18
	ds_bpermute_b32 v24, v21, v10
	ds_bpermute_b32 v25, v21, v11
	;; [unrolled: 1-line block ×8, first 2 shown]
	s_and_b32 exec_lo, exec_lo, vcc_lo
	s_cbranch_execz .LBB230_21
; %bb.17:
	v_cmp_eq_f64_e32 vcc_lo, 0, v[5:6]
	v_cmp_eq_f64_e64 s0, 0, v[7:8]
	s_waitcnt lgkmcnt(6)
	v_add_f64 v[10:11], v[10:11], v[24:25]
	s_waitcnt lgkmcnt(4)
	v_add_f64 v[16:17], v[16:17], v[22:23]
	;; [unrolled: 2-line block ×4, first 2 shown]
	s_load_dwordx2 s[2:3], s[4:5], 0x48
	s_and_b32 s0, vcc_lo, s0
	s_and_saveexec_b32 s1, s0
	s_xor_b32 s0, exec_lo, s1
	s_cbranch_execz .LBB230_19
; %bb.18:
	v_mul_f64 v[5:6], v[16:17], -v[3:4]
	v_mul_f64 v[7:8], v[1:2], v[16:17]
	v_mul_f64 v[16:17], v[14:15], -v[3:4]
	v_mul_f64 v[14:15], v[1:2], v[14:15]
	v_lshlrev_b32_e32 v9, 1, v9
	v_fma_f64 v[5:6], v[1:2], v[10:11], v[5:6]
	v_fma_f64 v[7:8], v[3:4], v[10:11], v[7:8]
	;; [unrolled: 1-line block ×4, first 2 shown]
	v_ashrrev_i32_e32 v10, 31, v9
                                        ; implicit-def: $vgpr16_vgpr17
                                        ; implicit-def: $vgpr12_vgpr13
                                        ; implicit-def: $vgpr14_vgpr15
	v_lshlrev_b64 v[9:10], 4, v[9:10]
	s_waitcnt lgkmcnt(0)
	v_add_co_u32 v9, vcc_lo, s2, v9
	v_add_co_ci_u32_e64 v10, null, s3, v10, vcc_lo
	global_store_dwordx4 v[9:10], v[5:8], off
	global_store_dwordx4 v[9:10], v[0:3], off offset:16
                                        ; implicit-def: $vgpr9
                                        ; implicit-def: $vgpr10_vgpr11
                                        ; implicit-def: $vgpr7_vgpr8
                                        ; implicit-def: $vgpr3_vgpr4
.LBB230_19:
	s_andn2_saveexec_b32 s0, s0
	s_cbranch_execz .LBB230_21
; %bb.20:
	v_lshlrev_b32_e32 v18, 1, v9
	v_mul_f64 v[28:29], v[16:17], -v[3:4]
	v_mul_f64 v[16:17], v[1:2], v[16:17]
	v_mul_f64 v[30:31], v[14:15], -v[3:4]
	v_mul_f64 v[14:15], v[1:2], v[14:15]
	v_ashrrev_i32_e32 v19, 31, v18
	v_lshlrev_b64 v[18:19], 4, v[18:19]
	s_waitcnt lgkmcnt(0)
	v_add_co_u32 v26, vcc_lo, s2, v18
	v_add_co_ci_u32_e64 v27, null, s3, v19, vcc_lo
	s_clause 0x1
	global_load_dwordx4 v[18:21], v[26:27], off
	global_load_dwordx4 v[22:25], v[26:27], off offset:16
	v_fma_f64 v[28:29], v[1:2], v[10:11], v[28:29]
	v_fma_f64 v[9:10], v[3:4], v[10:11], v[16:17]
	;; [unrolled: 1-line block ×4, first 2 shown]
	s_waitcnt vmcnt(1)
	v_fma_f64 v[11:12], v[5:6], v[18:19], v[28:29]
	v_fma_f64 v[9:10], v[7:8], v[18:19], v[9:10]
	s_waitcnt vmcnt(0)
	v_fma_f64 v[13:14], v[5:6], v[22:23], v[0:1]
	v_fma_f64 v[15:16], v[7:8], v[22:23], v[2:3]
	v_fma_f64 v[0:1], -v[7:8], v[20:21], v[11:12]
	v_fma_f64 v[2:3], v[5:6], v[20:21], v[9:10]
	v_fma_f64 v[7:8], -v[7:8], v[24:25], v[13:14]
	v_fma_f64 v[9:10], v[5:6], v[24:25], v[15:16]
	global_store_dwordx4 v[26:27], v[0:3], off
	global_store_dwordx4 v[26:27], v[7:10], off offset:16
.LBB230_21:
	s_endpgm
	.section	.rodata,"a",@progbits
	.p2align	6, 0x0
	.amdhsa_kernel _ZN9rocsparseL19gebsrmvn_2xn_kernelILj128ELj1ELj16E21rocsparse_complex_numIdEEEvi20rocsparse_direction_NS_24const_host_device_scalarIT2_EEPKiS8_PKS5_SA_S6_PS5_21rocsparse_index_base_b
		.amdhsa_group_segment_fixed_size 0
		.amdhsa_private_segment_fixed_size 0
		.amdhsa_kernarg_size 88
		.amdhsa_user_sgpr_count 6
		.amdhsa_user_sgpr_private_segment_buffer 1
		.amdhsa_user_sgpr_dispatch_ptr 0
		.amdhsa_user_sgpr_queue_ptr 0
		.amdhsa_user_sgpr_kernarg_segment_ptr 1
		.amdhsa_user_sgpr_dispatch_id 0
		.amdhsa_user_sgpr_flat_scratch_init 0
		.amdhsa_user_sgpr_private_segment_size 0
		.amdhsa_wavefront_size32 1
		.amdhsa_uses_dynamic_stack 0
		.amdhsa_system_sgpr_private_segment_wavefront_offset 0
		.amdhsa_system_sgpr_workgroup_id_x 1
		.amdhsa_system_sgpr_workgroup_id_y 0
		.amdhsa_system_sgpr_workgroup_id_z 0
		.amdhsa_system_sgpr_workgroup_info 0
		.amdhsa_system_vgpr_workitem_id 0
		.amdhsa_next_free_vgpr 36
		.amdhsa_next_free_sgpr 16
		.amdhsa_reserve_vcc 1
		.amdhsa_reserve_flat_scratch 0
		.amdhsa_float_round_mode_32 0
		.amdhsa_float_round_mode_16_64 0
		.amdhsa_float_denorm_mode_32 3
		.amdhsa_float_denorm_mode_16_64 3
		.amdhsa_dx10_clamp 1
		.amdhsa_ieee_mode 1
		.amdhsa_fp16_overflow 0
		.amdhsa_workgroup_processor_mode 1
		.amdhsa_memory_ordered 1
		.amdhsa_forward_progress 1
		.amdhsa_shared_vgpr_count 0
		.amdhsa_exception_fp_ieee_invalid_op 0
		.amdhsa_exception_fp_denorm_src 0
		.amdhsa_exception_fp_ieee_div_zero 0
		.amdhsa_exception_fp_ieee_overflow 0
		.amdhsa_exception_fp_ieee_underflow 0
		.amdhsa_exception_fp_ieee_inexact 0
		.amdhsa_exception_int_div_zero 0
	.end_amdhsa_kernel
	.section	.text._ZN9rocsparseL19gebsrmvn_2xn_kernelILj128ELj1ELj16E21rocsparse_complex_numIdEEEvi20rocsparse_direction_NS_24const_host_device_scalarIT2_EEPKiS8_PKS5_SA_S6_PS5_21rocsparse_index_base_b,"axG",@progbits,_ZN9rocsparseL19gebsrmvn_2xn_kernelILj128ELj1ELj16E21rocsparse_complex_numIdEEEvi20rocsparse_direction_NS_24const_host_device_scalarIT2_EEPKiS8_PKS5_SA_S6_PS5_21rocsparse_index_base_b,comdat
.Lfunc_end230:
	.size	_ZN9rocsparseL19gebsrmvn_2xn_kernelILj128ELj1ELj16E21rocsparse_complex_numIdEEEvi20rocsparse_direction_NS_24const_host_device_scalarIT2_EEPKiS8_PKS5_SA_S6_PS5_21rocsparse_index_base_b, .Lfunc_end230-_ZN9rocsparseL19gebsrmvn_2xn_kernelILj128ELj1ELj16E21rocsparse_complex_numIdEEEvi20rocsparse_direction_NS_24const_host_device_scalarIT2_EEPKiS8_PKS5_SA_S6_PS5_21rocsparse_index_base_b
                                        ; -- End function
	.set _ZN9rocsparseL19gebsrmvn_2xn_kernelILj128ELj1ELj16E21rocsparse_complex_numIdEEEvi20rocsparse_direction_NS_24const_host_device_scalarIT2_EEPKiS8_PKS5_SA_S6_PS5_21rocsparse_index_base_b.num_vgpr, 36
	.set _ZN9rocsparseL19gebsrmvn_2xn_kernelILj128ELj1ELj16E21rocsparse_complex_numIdEEEvi20rocsparse_direction_NS_24const_host_device_scalarIT2_EEPKiS8_PKS5_SA_S6_PS5_21rocsparse_index_base_b.num_agpr, 0
	.set _ZN9rocsparseL19gebsrmvn_2xn_kernelILj128ELj1ELj16E21rocsparse_complex_numIdEEEvi20rocsparse_direction_NS_24const_host_device_scalarIT2_EEPKiS8_PKS5_SA_S6_PS5_21rocsparse_index_base_b.numbered_sgpr, 16
	.set _ZN9rocsparseL19gebsrmvn_2xn_kernelILj128ELj1ELj16E21rocsparse_complex_numIdEEEvi20rocsparse_direction_NS_24const_host_device_scalarIT2_EEPKiS8_PKS5_SA_S6_PS5_21rocsparse_index_base_b.num_named_barrier, 0
	.set _ZN9rocsparseL19gebsrmvn_2xn_kernelILj128ELj1ELj16E21rocsparse_complex_numIdEEEvi20rocsparse_direction_NS_24const_host_device_scalarIT2_EEPKiS8_PKS5_SA_S6_PS5_21rocsparse_index_base_b.private_seg_size, 0
	.set _ZN9rocsparseL19gebsrmvn_2xn_kernelILj128ELj1ELj16E21rocsparse_complex_numIdEEEvi20rocsparse_direction_NS_24const_host_device_scalarIT2_EEPKiS8_PKS5_SA_S6_PS5_21rocsparse_index_base_b.uses_vcc, 1
	.set _ZN9rocsparseL19gebsrmvn_2xn_kernelILj128ELj1ELj16E21rocsparse_complex_numIdEEEvi20rocsparse_direction_NS_24const_host_device_scalarIT2_EEPKiS8_PKS5_SA_S6_PS5_21rocsparse_index_base_b.uses_flat_scratch, 0
	.set _ZN9rocsparseL19gebsrmvn_2xn_kernelILj128ELj1ELj16E21rocsparse_complex_numIdEEEvi20rocsparse_direction_NS_24const_host_device_scalarIT2_EEPKiS8_PKS5_SA_S6_PS5_21rocsparse_index_base_b.has_dyn_sized_stack, 0
	.set _ZN9rocsparseL19gebsrmvn_2xn_kernelILj128ELj1ELj16E21rocsparse_complex_numIdEEEvi20rocsparse_direction_NS_24const_host_device_scalarIT2_EEPKiS8_PKS5_SA_S6_PS5_21rocsparse_index_base_b.has_recursion, 0
	.set _ZN9rocsparseL19gebsrmvn_2xn_kernelILj128ELj1ELj16E21rocsparse_complex_numIdEEEvi20rocsparse_direction_NS_24const_host_device_scalarIT2_EEPKiS8_PKS5_SA_S6_PS5_21rocsparse_index_base_b.has_indirect_call, 0
	.section	.AMDGPU.csdata,"",@progbits
; Kernel info:
; codeLenInByte = 1812
; TotalNumSgprs: 18
; NumVgprs: 36
; ScratchSize: 0
; MemoryBound: 0
; FloatMode: 240
; IeeeMode: 1
; LDSByteSize: 0 bytes/workgroup (compile time only)
; SGPRBlocks: 0
; VGPRBlocks: 4
; NumSGPRsForWavesPerEU: 18
; NumVGPRsForWavesPerEU: 36
; Occupancy: 16
; WaveLimiterHint : 1
; COMPUTE_PGM_RSRC2:SCRATCH_EN: 0
; COMPUTE_PGM_RSRC2:USER_SGPR: 6
; COMPUTE_PGM_RSRC2:TRAP_HANDLER: 0
; COMPUTE_PGM_RSRC2:TGID_X_EN: 1
; COMPUTE_PGM_RSRC2:TGID_Y_EN: 0
; COMPUTE_PGM_RSRC2:TGID_Z_EN: 0
; COMPUTE_PGM_RSRC2:TIDIG_COMP_CNT: 0
	.section	.text._ZN9rocsparseL19gebsrmvn_2xn_kernelILj128ELj1ELj32E21rocsparse_complex_numIdEEEvi20rocsparse_direction_NS_24const_host_device_scalarIT2_EEPKiS8_PKS5_SA_S6_PS5_21rocsparse_index_base_b,"axG",@progbits,_ZN9rocsparseL19gebsrmvn_2xn_kernelILj128ELj1ELj32E21rocsparse_complex_numIdEEEvi20rocsparse_direction_NS_24const_host_device_scalarIT2_EEPKiS8_PKS5_SA_S6_PS5_21rocsparse_index_base_b,comdat
	.globl	_ZN9rocsparseL19gebsrmvn_2xn_kernelILj128ELj1ELj32E21rocsparse_complex_numIdEEEvi20rocsparse_direction_NS_24const_host_device_scalarIT2_EEPKiS8_PKS5_SA_S6_PS5_21rocsparse_index_base_b ; -- Begin function _ZN9rocsparseL19gebsrmvn_2xn_kernelILj128ELj1ELj32E21rocsparse_complex_numIdEEEvi20rocsparse_direction_NS_24const_host_device_scalarIT2_EEPKiS8_PKS5_SA_S6_PS5_21rocsparse_index_base_b
	.p2align	8
	.type	_ZN9rocsparseL19gebsrmvn_2xn_kernelILj128ELj1ELj32E21rocsparse_complex_numIdEEEvi20rocsparse_direction_NS_24const_host_device_scalarIT2_EEPKiS8_PKS5_SA_S6_PS5_21rocsparse_index_base_b,@function
_ZN9rocsparseL19gebsrmvn_2xn_kernelILj128ELj1ELj32E21rocsparse_complex_numIdEEEvi20rocsparse_direction_NS_24const_host_device_scalarIT2_EEPKiS8_PKS5_SA_S6_PS5_21rocsparse_index_base_b: ; @_ZN9rocsparseL19gebsrmvn_2xn_kernelILj128ELj1ELj32E21rocsparse_complex_numIdEEEvi20rocsparse_direction_NS_24const_host_device_scalarIT2_EEPKiS8_PKS5_SA_S6_PS5_21rocsparse_index_base_b
; %bb.0:
	s_clause 0x1
	s_load_dwordx2 s[2:3], s[4:5], 0x50
	s_load_dwordx2 s[0:1], s[4:5], 0x8
	s_add_u32 s7, s4, 8
	s_addc_u32 s10, s5, 0
	s_add_u32 s11, s4, 56
	s_addc_u32 s12, s5, 0
	s_load_dwordx2 s[8:9], s[4:5], 0x38
	s_waitcnt lgkmcnt(0)
	s_bitcmp1_b32 s3, 0
	s_cselect_b32 s0, s7, s0
	s_cselect_b32 s1, s10, s1
	v_mov_b32_e32 v1, s0
	v_mov_b32_e32 v2, s1
	s_cselect_b32 s0, s11, s8
	s_cselect_b32 s1, s12, s9
	v_mov_b32_e32 v5, s0
	v_mov_b32_e32 v6, s1
	flat_load_dwordx4 v[1:4], v[1:2]
	flat_load_dwordx4 v[5:8], v[5:6]
	s_waitcnt vmcnt(1) lgkmcnt(1)
	v_cmp_eq_f64_e32 vcc_lo, 0, v[1:2]
	v_cmp_eq_f64_e64 s0, 0, v[3:4]
	s_and_b32 s3, vcc_lo, s0
	s_mov_b32 s0, -1
	s_and_saveexec_b32 s1, s3
	s_cbranch_execz .LBB231_2
; %bb.1:
	s_waitcnt vmcnt(0) lgkmcnt(0)
	v_cmp_neq_f64_e32 vcc_lo, 1.0, v[5:6]
	v_cmp_neq_f64_e64 s0, 0, v[7:8]
	s_or_b32 s0, vcc_lo, s0
	s_orn2_b32 s0, s0, exec_lo
.LBB231_2:
	s_or_b32 exec_lo, exec_lo, s1
	s_and_saveexec_b32 s1, s0
	s_cbranch_execz .LBB231_21
; %bb.3:
	s_load_dwordx2 s[0:1], s[4:5], 0x0
	v_lshrrev_b32_e32 v9, 5, v0
	v_lshl_or_b32 v9, s6, 2, v9
	s_waitcnt lgkmcnt(0)
	v_cmp_gt_i32_e32 vcc_lo, s0, v9
	s_and_b32 exec_lo, exec_lo, vcc_lo
	s_cbranch_execz .LBB231_21
; %bb.4:
	s_load_dwordx8 s[8:15], s[4:5], 0x18
	v_ashrrev_i32_e32 v10, 31, v9
	v_and_b32_e32 v0, 31, v0
	s_cmp_lg_u32 s1, 0
	v_lshlrev_b64 v[10:11], 2, v[9:10]
	s_waitcnt lgkmcnt(0)
	v_add_co_u32 v10, vcc_lo, s8, v10
	v_add_co_ci_u32_e64 v11, null, s9, v11, vcc_lo
	global_load_dwordx2 v[10:11], v[10:11], off
	s_waitcnt vmcnt(0)
	v_subrev_nc_u32_e32 v10, s2, v10
	v_subrev_nc_u32_e32 v23, s2, v11
	v_add_nc_u32_e32 v18, v10, v0
	v_cmp_lt_i32_e64 s0, v18, v23
	s_cbranch_scc0 .LBB231_10
; %bb.5:
	v_mov_b32_e32 v10, 0
	v_mov_b32_e32 v16, 0
	;; [unrolled: 1-line block ×8, first 2 shown]
	s_and_saveexec_b32 s1, s0
	s_cbranch_execz .LBB231_9
; %bb.6:
	v_mov_b32_e32 v10, 0
	v_mov_b32_e32 v16, 0
	;; [unrolled: 1-line block ×4, first 2 shown]
	v_lshlrev_b32_e32 v19, 1, v18
	v_mov_b32_e32 v11, 0
	v_mov_b32_e32 v20, 0
	;; [unrolled: 1-line block ×6, first 2 shown]
	s_mov_b32 s3, 0
.LBB231_7:                              ; =>This Inner Loop Header: Depth=1
	v_ashrrev_i32_e32 v22, 31, v21
	v_mov_b32_e32 v29, v20
	v_lshlrev_b64 v[24:25], 2, v[21:22]
	v_add_nc_u32_e32 v21, 32, v21
	v_add_co_u32 v24, vcc_lo, s10, v24
	v_add_co_ci_u32_e64 v25, null, s11, v25, vcc_lo
	global_load_dword v22, v[24:25], off
	v_lshlrev_b64 v[24:25], 4, v[19:20]
	v_add_nc_u32_e32 v19, 64, v19
	v_add_co_u32 v30, vcc_lo, s12, v24
	v_add_co_ci_u32_e64 v31, null, s13, v25, vcc_lo
	global_load_dwordx4 v[24:27], v[30:31], off offset:16
	s_waitcnt vmcnt(1)
	v_subrev_nc_u32_e32 v28, s2, v22
	v_lshlrev_b64 v[28:29], 4, v[28:29]
	v_add_co_u32 v32, vcc_lo, s14, v28
	v_add_co_ci_u32_e64 v33, null, s15, v29, vcc_lo
	v_cmp_ge_i32_e32 vcc_lo, v21, v23
	global_load_dwordx4 v[28:31], v[30:31], off
	global_load_dwordx4 v[32:35], v[32:33], off
	s_or_b32 s3, vcc_lo, s3
	s_waitcnt vmcnt(0)
	v_fma_f64 v[16:17], v[28:29], v[32:33], v[16:17]
	v_fma_f64 v[10:11], v[30:31], v[32:33], v[10:11]
	;; [unrolled: 1-line block ×4, first 2 shown]
	v_fma_f64 v[16:17], -v[30:31], v[34:35], v[16:17]
	v_fma_f64 v[10:11], v[28:29], v[34:35], v[10:11]
	v_fma_f64 v[14:15], -v[26:27], v[34:35], v[14:15]
	v_fma_f64 v[12:13], v[24:25], v[34:35], v[12:13]
	s_andn2_b32 exec_lo, exec_lo, s3
	s_cbranch_execnz .LBB231_7
; %bb.8:
	s_or_b32 exec_lo, exec_lo, s3
.LBB231_9:
	s_or_b32 exec_lo, exec_lo, s1
	s_cbranch_execz .LBB231_11
	s_branch .LBB231_16
.LBB231_10:
                                        ; implicit-def: $vgpr10_vgpr11
                                        ; implicit-def: $vgpr16_vgpr17
                                        ; implicit-def: $vgpr14_vgpr15
                                        ; implicit-def: $vgpr12_vgpr13
.LBB231_11:
	v_mov_b32_e32 v10, 0
	v_mov_b32_e32 v16, 0
	;; [unrolled: 1-line block ×8, first 2 shown]
	s_and_saveexec_b32 s1, s0
	s_cbranch_execz .LBB231_15
; %bb.12:
	v_mov_b32_e32 v10, 0
	v_mov_b32_e32 v16, 0
	;; [unrolled: 1-line block ×4, first 2 shown]
	v_lshlrev_b32_e32 v20, 1, v18
	v_mov_b32_e32 v11, 0
	v_mov_b32_e32 v17, 0
	;; [unrolled: 1-line block ×5, first 2 shown]
	s_mov_b32 s0, 0
.LBB231_13:                             ; =>This Inner Loop Header: Depth=1
	v_ashrrev_i32_e32 v19, 31, v18
	v_mov_b32_e32 v29, v21
	v_lshlrev_b64 v[24:25], 2, v[18:19]
	v_add_nc_u32_e32 v18, 32, v18
	v_add_co_u32 v24, vcc_lo, s10, v24
	v_add_co_ci_u32_e64 v25, null, s11, v25, vcc_lo
	global_load_dword v19, v[24:25], off
	v_lshlrev_b64 v[24:25], 4, v[20:21]
	v_add_nc_u32_e32 v20, 64, v20
	v_add_co_u32 v30, vcc_lo, s12, v24
	v_add_co_ci_u32_e64 v31, null, s13, v25, vcc_lo
	global_load_dwordx4 v[24:27], v[30:31], off offset:16
	s_waitcnt vmcnt(1)
	v_subrev_nc_u32_e32 v28, s2, v19
	v_lshlrev_b64 v[28:29], 4, v[28:29]
	v_add_co_u32 v32, vcc_lo, s14, v28
	v_add_co_ci_u32_e64 v33, null, s15, v29, vcc_lo
	v_cmp_ge_i32_e32 vcc_lo, v18, v23
	global_load_dwordx4 v[28:31], v[30:31], off
	global_load_dwordx4 v[32:35], v[32:33], off
	s_or_b32 s0, vcc_lo, s0
	s_waitcnt vmcnt(0)
	v_fma_f64 v[16:17], v[28:29], v[32:33], v[16:17]
	v_fma_f64 v[10:11], v[30:31], v[32:33], v[10:11]
	;; [unrolled: 1-line block ×4, first 2 shown]
	v_fma_f64 v[16:17], -v[30:31], v[34:35], v[16:17]
	v_fma_f64 v[10:11], v[28:29], v[34:35], v[10:11]
	v_fma_f64 v[14:15], -v[26:27], v[34:35], v[14:15]
	v_fma_f64 v[12:13], v[24:25], v[34:35], v[12:13]
	s_andn2_b32 exec_lo, exec_lo, s0
	s_cbranch_execnz .LBB231_13
; %bb.14:
	s_or_b32 exec_lo, exec_lo, s0
.LBB231_15:
	s_or_b32 exec_lo, exec_lo, s1
.LBB231_16:
	v_mbcnt_lo_u32_b32 v26, -1, 0
	v_xor_b32_e32 v18, 16, v26
	v_cmp_gt_i32_e32 vcc_lo, 32, v18
	v_cndmask_b32_e32 v18, v26, v18, vcc_lo
	v_lshlrev_b32_e32 v25, 2, v18
	ds_bpermute_b32 v18, v25, v16
	ds_bpermute_b32 v19, v25, v17
	;; [unrolled: 1-line block ×8, first 2 shown]
	s_waitcnt lgkmcnt(6)
	v_add_f64 v[16:17], v[16:17], v[18:19]
	v_xor_b32_e32 v18, 8, v26
	s_waitcnt lgkmcnt(4)
	v_add_f64 v[10:11], v[10:11], v[20:21]
	s_waitcnt lgkmcnt(2)
	v_add_f64 v[14:15], v[14:15], v[22:23]
	;; [unrolled: 2-line block ×3, first 2 shown]
	v_cmp_gt_i32_e32 vcc_lo, 32, v18
	v_cndmask_b32_e32 v18, v26, v18, vcc_lo
	v_lshlrev_b32_e32 v25, 2, v18
	ds_bpermute_b32 v18, v25, v16
	ds_bpermute_b32 v19, v25, v17
	;; [unrolled: 1-line block ×8, first 2 shown]
	s_waitcnt lgkmcnt(6)
	v_add_f64 v[16:17], v[16:17], v[18:19]
	v_xor_b32_e32 v18, 4, v26
	s_waitcnt lgkmcnt(4)
	v_add_f64 v[10:11], v[10:11], v[20:21]
	s_waitcnt lgkmcnt(2)
	v_add_f64 v[14:15], v[14:15], v[22:23]
	;; [unrolled: 2-line block ×3, first 2 shown]
	v_cmp_gt_i32_e32 vcc_lo, 32, v18
	v_cndmask_b32_e32 v18, v26, v18, vcc_lo
	v_lshlrev_b32_e32 v25, 2, v18
	ds_bpermute_b32 v18, v25, v16
	ds_bpermute_b32 v19, v25, v17
	;; [unrolled: 1-line block ×8, first 2 shown]
	s_waitcnt lgkmcnt(6)
	v_add_f64 v[16:17], v[16:17], v[18:19]
	s_waitcnt lgkmcnt(4)
	v_add_f64 v[18:19], v[10:11], v[20:21]
	v_xor_b32_e32 v10, 2, v26
	s_waitcnt lgkmcnt(2)
	v_add_f64 v[14:15], v[14:15], v[22:23]
	s_waitcnt lgkmcnt(0)
	v_add_f64 v[20:21], v[12:13], v[24:25]
	v_cmp_gt_i32_e32 vcc_lo, 32, v10
	v_cndmask_b32_e32 v10, v26, v10, vcc_lo
	v_lshlrev_b32_e32 v25, 2, v10
	ds_bpermute_b32 v10, v25, v16
	ds_bpermute_b32 v11, v25, v17
	;; [unrolled: 1-line block ×8, first 2 shown]
	s_waitcnt lgkmcnt(6)
	v_add_f64 v[10:11], v[16:17], v[10:11]
	s_waitcnt lgkmcnt(4)
	v_add_f64 v[16:17], v[18:19], v[12:13]
	v_xor_b32_e32 v18, 1, v26
	s_waitcnt lgkmcnt(2)
	v_add_f64 v[12:13], v[14:15], v[22:23]
	s_waitcnt lgkmcnt(0)
	v_add_f64 v[14:15], v[20:21], v[24:25]
	v_cmp_gt_i32_e32 vcc_lo, 32, v18
	v_cndmask_b32_e32 v18, v26, v18, vcc_lo
	v_cmp_eq_u32_e32 vcc_lo, 31, v0
	v_lshlrev_b32_e32 v21, 2, v18
	ds_bpermute_b32 v24, v21, v10
	ds_bpermute_b32 v25, v21, v11
	;; [unrolled: 1-line block ×8, first 2 shown]
	s_and_b32 exec_lo, exec_lo, vcc_lo
	s_cbranch_execz .LBB231_21
; %bb.17:
	v_cmp_eq_f64_e32 vcc_lo, 0, v[5:6]
	v_cmp_eq_f64_e64 s0, 0, v[7:8]
	s_waitcnt lgkmcnt(6)
	v_add_f64 v[10:11], v[10:11], v[24:25]
	s_waitcnt lgkmcnt(4)
	v_add_f64 v[16:17], v[16:17], v[22:23]
	;; [unrolled: 2-line block ×4, first 2 shown]
	s_load_dwordx2 s[2:3], s[4:5], 0x48
	s_and_b32 s0, vcc_lo, s0
	s_and_saveexec_b32 s1, s0
	s_xor_b32 s0, exec_lo, s1
	s_cbranch_execz .LBB231_19
; %bb.18:
	v_mul_f64 v[5:6], v[16:17], -v[3:4]
	v_mul_f64 v[7:8], v[1:2], v[16:17]
	v_mul_f64 v[16:17], v[14:15], -v[3:4]
	v_mul_f64 v[14:15], v[1:2], v[14:15]
	v_lshlrev_b32_e32 v9, 1, v9
	v_fma_f64 v[5:6], v[1:2], v[10:11], v[5:6]
	v_fma_f64 v[7:8], v[3:4], v[10:11], v[7:8]
	;; [unrolled: 1-line block ×4, first 2 shown]
	v_ashrrev_i32_e32 v10, 31, v9
                                        ; implicit-def: $vgpr16_vgpr17
                                        ; implicit-def: $vgpr12_vgpr13
                                        ; implicit-def: $vgpr14_vgpr15
	v_lshlrev_b64 v[9:10], 4, v[9:10]
	s_waitcnt lgkmcnt(0)
	v_add_co_u32 v9, vcc_lo, s2, v9
	v_add_co_ci_u32_e64 v10, null, s3, v10, vcc_lo
	global_store_dwordx4 v[9:10], v[5:8], off
	global_store_dwordx4 v[9:10], v[0:3], off offset:16
                                        ; implicit-def: $vgpr9
                                        ; implicit-def: $vgpr10_vgpr11
                                        ; implicit-def: $vgpr7_vgpr8
                                        ; implicit-def: $vgpr3_vgpr4
.LBB231_19:
	s_andn2_saveexec_b32 s0, s0
	s_cbranch_execz .LBB231_21
; %bb.20:
	v_lshlrev_b32_e32 v18, 1, v9
	v_mul_f64 v[28:29], v[16:17], -v[3:4]
	v_mul_f64 v[16:17], v[1:2], v[16:17]
	v_mul_f64 v[30:31], v[14:15], -v[3:4]
	v_mul_f64 v[14:15], v[1:2], v[14:15]
	v_ashrrev_i32_e32 v19, 31, v18
	v_lshlrev_b64 v[18:19], 4, v[18:19]
	s_waitcnt lgkmcnt(0)
	v_add_co_u32 v26, vcc_lo, s2, v18
	v_add_co_ci_u32_e64 v27, null, s3, v19, vcc_lo
	s_clause 0x1
	global_load_dwordx4 v[18:21], v[26:27], off
	global_load_dwordx4 v[22:25], v[26:27], off offset:16
	v_fma_f64 v[28:29], v[1:2], v[10:11], v[28:29]
	v_fma_f64 v[9:10], v[3:4], v[10:11], v[16:17]
	;; [unrolled: 1-line block ×4, first 2 shown]
	s_waitcnt vmcnt(1)
	v_fma_f64 v[11:12], v[5:6], v[18:19], v[28:29]
	v_fma_f64 v[9:10], v[7:8], v[18:19], v[9:10]
	s_waitcnt vmcnt(0)
	v_fma_f64 v[13:14], v[5:6], v[22:23], v[0:1]
	v_fma_f64 v[15:16], v[7:8], v[22:23], v[2:3]
	v_fma_f64 v[0:1], -v[7:8], v[20:21], v[11:12]
	v_fma_f64 v[2:3], v[5:6], v[20:21], v[9:10]
	v_fma_f64 v[7:8], -v[7:8], v[24:25], v[13:14]
	v_fma_f64 v[9:10], v[5:6], v[24:25], v[15:16]
	global_store_dwordx4 v[26:27], v[0:3], off
	global_store_dwordx4 v[26:27], v[7:10], off offset:16
.LBB231_21:
	s_endpgm
	.section	.rodata,"a",@progbits
	.p2align	6, 0x0
	.amdhsa_kernel _ZN9rocsparseL19gebsrmvn_2xn_kernelILj128ELj1ELj32E21rocsparse_complex_numIdEEEvi20rocsparse_direction_NS_24const_host_device_scalarIT2_EEPKiS8_PKS5_SA_S6_PS5_21rocsparse_index_base_b
		.amdhsa_group_segment_fixed_size 0
		.amdhsa_private_segment_fixed_size 0
		.amdhsa_kernarg_size 88
		.amdhsa_user_sgpr_count 6
		.amdhsa_user_sgpr_private_segment_buffer 1
		.amdhsa_user_sgpr_dispatch_ptr 0
		.amdhsa_user_sgpr_queue_ptr 0
		.amdhsa_user_sgpr_kernarg_segment_ptr 1
		.amdhsa_user_sgpr_dispatch_id 0
		.amdhsa_user_sgpr_flat_scratch_init 0
		.amdhsa_user_sgpr_private_segment_size 0
		.amdhsa_wavefront_size32 1
		.amdhsa_uses_dynamic_stack 0
		.amdhsa_system_sgpr_private_segment_wavefront_offset 0
		.amdhsa_system_sgpr_workgroup_id_x 1
		.amdhsa_system_sgpr_workgroup_id_y 0
		.amdhsa_system_sgpr_workgroup_id_z 0
		.amdhsa_system_sgpr_workgroup_info 0
		.amdhsa_system_vgpr_workitem_id 0
		.amdhsa_next_free_vgpr 36
		.amdhsa_next_free_sgpr 16
		.amdhsa_reserve_vcc 1
		.amdhsa_reserve_flat_scratch 0
		.amdhsa_float_round_mode_32 0
		.amdhsa_float_round_mode_16_64 0
		.amdhsa_float_denorm_mode_32 3
		.amdhsa_float_denorm_mode_16_64 3
		.amdhsa_dx10_clamp 1
		.amdhsa_ieee_mode 1
		.amdhsa_fp16_overflow 0
		.amdhsa_workgroup_processor_mode 1
		.amdhsa_memory_ordered 1
		.amdhsa_forward_progress 1
		.amdhsa_shared_vgpr_count 0
		.amdhsa_exception_fp_ieee_invalid_op 0
		.amdhsa_exception_fp_denorm_src 0
		.amdhsa_exception_fp_ieee_div_zero 0
		.amdhsa_exception_fp_ieee_overflow 0
		.amdhsa_exception_fp_ieee_underflow 0
		.amdhsa_exception_fp_ieee_inexact 0
		.amdhsa_exception_int_div_zero 0
	.end_amdhsa_kernel
	.section	.text._ZN9rocsparseL19gebsrmvn_2xn_kernelILj128ELj1ELj32E21rocsparse_complex_numIdEEEvi20rocsparse_direction_NS_24const_host_device_scalarIT2_EEPKiS8_PKS5_SA_S6_PS5_21rocsparse_index_base_b,"axG",@progbits,_ZN9rocsparseL19gebsrmvn_2xn_kernelILj128ELj1ELj32E21rocsparse_complex_numIdEEEvi20rocsparse_direction_NS_24const_host_device_scalarIT2_EEPKiS8_PKS5_SA_S6_PS5_21rocsparse_index_base_b,comdat
.Lfunc_end231:
	.size	_ZN9rocsparseL19gebsrmvn_2xn_kernelILj128ELj1ELj32E21rocsparse_complex_numIdEEEvi20rocsparse_direction_NS_24const_host_device_scalarIT2_EEPKiS8_PKS5_SA_S6_PS5_21rocsparse_index_base_b, .Lfunc_end231-_ZN9rocsparseL19gebsrmvn_2xn_kernelILj128ELj1ELj32E21rocsparse_complex_numIdEEEvi20rocsparse_direction_NS_24const_host_device_scalarIT2_EEPKiS8_PKS5_SA_S6_PS5_21rocsparse_index_base_b
                                        ; -- End function
	.set _ZN9rocsparseL19gebsrmvn_2xn_kernelILj128ELj1ELj32E21rocsparse_complex_numIdEEEvi20rocsparse_direction_NS_24const_host_device_scalarIT2_EEPKiS8_PKS5_SA_S6_PS5_21rocsparse_index_base_b.num_vgpr, 36
	.set _ZN9rocsparseL19gebsrmvn_2xn_kernelILj128ELj1ELj32E21rocsparse_complex_numIdEEEvi20rocsparse_direction_NS_24const_host_device_scalarIT2_EEPKiS8_PKS5_SA_S6_PS5_21rocsparse_index_base_b.num_agpr, 0
	.set _ZN9rocsparseL19gebsrmvn_2xn_kernelILj128ELj1ELj32E21rocsparse_complex_numIdEEEvi20rocsparse_direction_NS_24const_host_device_scalarIT2_EEPKiS8_PKS5_SA_S6_PS5_21rocsparse_index_base_b.numbered_sgpr, 16
	.set _ZN9rocsparseL19gebsrmvn_2xn_kernelILj128ELj1ELj32E21rocsparse_complex_numIdEEEvi20rocsparse_direction_NS_24const_host_device_scalarIT2_EEPKiS8_PKS5_SA_S6_PS5_21rocsparse_index_base_b.num_named_barrier, 0
	.set _ZN9rocsparseL19gebsrmvn_2xn_kernelILj128ELj1ELj32E21rocsparse_complex_numIdEEEvi20rocsparse_direction_NS_24const_host_device_scalarIT2_EEPKiS8_PKS5_SA_S6_PS5_21rocsparse_index_base_b.private_seg_size, 0
	.set _ZN9rocsparseL19gebsrmvn_2xn_kernelILj128ELj1ELj32E21rocsparse_complex_numIdEEEvi20rocsparse_direction_NS_24const_host_device_scalarIT2_EEPKiS8_PKS5_SA_S6_PS5_21rocsparse_index_base_b.uses_vcc, 1
	.set _ZN9rocsparseL19gebsrmvn_2xn_kernelILj128ELj1ELj32E21rocsparse_complex_numIdEEEvi20rocsparse_direction_NS_24const_host_device_scalarIT2_EEPKiS8_PKS5_SA_S6_PS5_21rocsparse_index_base_b.uses_flat_scratch, 0
	.set _ZN9rocsparseL19gebsrmvn_2xn_kernelILj128ELj1ELj32E21rocsparse_complex_numIdEEEvi20rocsparse_direction_NS_24const_host_device_scalarIT2_EEPKiS8_PKS5_SA_S6_PS5_21rocsparse_index_base_b.has_dyn_sized_stack, 0
	.set _ZN9rocsparseL19gebsrmvn_2xn_kernelILj128ELj1ELj32E21rocsparse_complex_numIdEEEvi20rocsparse_direction_NS_24const_host_device_scalarIT2_EEPKiS8_PKS5_SA_S6_PS5_21rocsparse_index_base_b.has_recursion, 0
	.set _ZN9rocsparseL19gebsrmvn_2xn_kernelILj128ELj1ELj32E21rocsparse_complex_numIdEEEvi20rocsparse_direction_NS_24const_host_device_scalarIT2_EEPKiS8_PKS5_SA_S6_PS5_21rocsparse_index_base_b.has_indirect_call, 0
	.section	.AMDGPU.csdata,"",@progbits
; Kernel info:
; codeLenInByte = 1940
; TotalNumSgprs: 18
; NumVgprs: 36
; ScratchSize: 0
; MemoryBound: 0
; FloatMode: 240
; IeeeMode: 1
; LDSByteSize: 0 bytes/workgroup (compile time only)
; SGPRBlocks: 0
; VGPRBlocks: 4
; NumSGPRsForWavesPerEU: 18
; NumVGPRsForWavesPerEU: 36
; Occupancy: 16
; WaveLimiterHint : 1
; COMPUTE_PGM_RSRC2:SCRATCH_EN: 0
; COMPUTE_PGM_RSRC2:USER_SGPR: 6
; COMPUTE_PGM_RSRC2:TRAP_HANDLER: 0
; COMPUTE_PGM_RSRC2:TGID_X_EN: 1
; COMPUTE_PGM_RSRC2:TGID_Y_EN: 0
; COMPUTE_PGM_RSRC2:TGID_Z_EN: 0
; COMPUTE_PGM_RSRC2:TIDIG_COMP_CNT: 0
	.section	.text._ZN9rocsparseL19gebsrmvn_2xn_kernelILj128ELj1ELj64E21rocsparse_complex_numIdEEEvi20rocsparse_direction_NS_24const_host_device_scalarIT2_EEPKiS8_PKS5_SA_S6_PS5_21rocsparse_index_base_b,"axG",@progbits,_ZN9rocsparseL19gebsrmvn_2xn_kernelILj128ELj1ELj64E21rocsparse_complex_numIdEEEvi20rocsparse_direction_NS_24const_host_device_scalarIT2_EEPKiS8_PKS5_SA_S6_PS5_21rocsparse_index_base_b,comdat
	.globl	_ZN9rocsparseL19gebsrmvn_2xn_kernelILj128ELj1ELj64E21rocsparse_complex_numIdEEEvi20rocsparse_direction_NS_24const_host_device_scalarIT2_EEPKiS8_PKS5_SA_S6_PS5_21rocsparse_index_base_b ; -- Begin function _ZN9rocsparseL19gebsrmvn_2xn_kernelILj128ELj1ELj64E21rocsparse_complex_numIdEEEvi20rocsparse_direction_NS_24const_host_device_scalarIT2_EEPKiS8_PKS5_SA_S6_PS5_21rocsparse_index_base_b
	.p2align	8
	.type	_ZN9rocsparseL19gebsrmvn_2xn_kernelILj128ELj1ELj64E21rocsparse_complex_numIdEEEvi20rocsparse_direction_NS_24const_host_device_scalarIT2_EEPKiS8_PKS5_SA_S6_PS5_21rocsparse_index_base_b,@function
_ZN9rocsparseL19gebsrmvn_2xn_kernelILj128ELj1ELj64E21rocsparse_complex_numIdEEEvi20rocsparse_direction_NS_24const_host_device_scalarIT2_EEPKiS8_PKS5_SA_S6_PS5_21rocsparse_index_base_b: ; @_ZN9rocsparseL19gebsrmvn_2xn_kernelILj128ELj1ELj64E21rocsparse_complex_numIdEEEvi20rocsparse_direction_NS_24const_host_device_scalarIT2_EEPKiS8_PKS5_SA_S6_PS5_21rocsparse_index_base_b
; %bb.0:
	s_clause 0x1
	s_load_dwordx2 s[2:3], s[4:5], 0x50
	s_load_dwordx2 s[0:1], s[4:5], 0x8
	s_add_u32 s7, s4, 8
	s_addc_u32 s10, s5, 0
	s_add_u32 s11, s4, 56
	s_addc_u32 s12, s5, 0
	s_load_dwordx2 s[8:9], s[4:5], 0x38
	s_waitcnt lgkmcnt(0)
	s_bitcmp1_b32 s3, 0
	s_cselect_b32 s0, s7, s0
	s_cselect_b32 s1, s10, s1
	v_mov_b32_e32 v1, s0
	v_mov_b32_e32 v2, s1
	s_cselect_b32 s0, s11, s8
	s_cselect_b32 s1, s12, s9
	v_mov_b32_e32 v5, s0
	v_mov_b32_e32 v6, s1
	flat_load_dwordx4 v[1:4], v[1:2]
	flat_load_dwordx4 v[5:8], v[5:6]
	s_waitcnt vmcnt(1) lgkmcnt(1)
	v_cmp_eq_f64_e32 vcc_lo, 0, v[1:2]
	v_cmp_eq_f64_e64 s0, 0, v[3:4]
	s_and_b32 s3, vcc_lo, s0
	s_mov_b32 s0, -1
	s_and_saveexec_b32 s1, s3
	s_cbranch_execz .LBB232_2
; %bb.1:
	s_waitcnt vmcnt(0) lgkmcnt(0)
	v_cmp_neq_f64_e32 vcc_lo, 1.0, v[5:6]
	v_cmp_neq_f64_e64 s0, 0, v[7:8]
	s_or_b32 s0, vcc_lo, s0
	s_orn2_b32 s0, s0, exec_lo
.LBB232_2:
	s_or_b32 exec_lo, exec_lo, s1
	s_and_saveexec_b32 s1, s0
	s_cbranch_execz .LBB232_21
; %bb.3:
	s_load_dwordx2 s[0:1], s[4:5], 0x0
	v_lshrrev_b32_e32 v9, 6, v0
	v_lshl_or_b32 v9, s6, 1, v9
	s_waitcnt lgkmcnt(0)
	v_cmp_gt_i32_e32 vcc_lo, s0, v9
	s_and_b32 exec_lo, exec_lo, vcc_lo
	s_cbranch_execz .LBB232_21
; %bb.4:
	s_load_dwordx8 s[8:15], s[4:5], 0x18
	v_ashrrev_i32_e32 v10, 31, v9
	v_and_b32_e32 v0, 63, v0
	s_cmp_lg_u32 s1, 0
	v_lshlrev_b64 v[10:11], 2, v[9:10]
	s_waitcnt lgkmcnt(0)
	v_add_co_u32 v10, vcc_lo, s8, v10
	v_add_co_ci_u32_e64 v11, null, s9, v11, vcc_lo
	global_load_dwordx2 v[10:11], v[10:11], off
	s_waitcnt vmcnt(0)
	v_subrev_nc_u32_e32 v10, s2, v10
	v_subrev_nc_u32_e32 v23, s2, v11
	v_add_nc_u32_e32 v18, v10, v0
	v_cmp_lt_i32_e64 s0, v18, v23
	s_cbranch_scc0 .LBB232_10
; %bb.5:
	v_mov_b32_e32 v10, 0
	v_mov_b32_e32 v16, 0
	;; [unrolled: 1-line block ×8, first 2 shown]
	s_and_saveexec_b32 s1, s0
	s_cbranch_execz .LBB232_9
; %bb.6:
	v_mov_b32_e32 v10, 0
	v_mov_b32_e32 v16, 0
	;; [unrolled: 1-line block ×4, first 2 shown]
	v_lshlrev_b32_e32 v19, 1, v18
	v_mov_b32_e32 v11, 0
	v_mov_b32_e32 v20, 0
	;; [unrolled: 1-line block ×6, first 2 shown]
	s_mov_b32 s3, 0
.LBB232_7:                              ; =>This Inner Loop Header: Depth=1
	v_ashrrev_i32_e32 v22, 31, v21
	v_mov_b32_e32 v29, v20
	v_lshlrev_b64 v[24:25], 2, v[21:22]
	v_add_nc_u32_e32 v21, 64, v21
	v_add_co_u32 v24, vcc_lo, s10, v24
	v_add_co_ci_u32_e64 v25, null, s11, v25, vcc_lo
	global_load_dword v22, v[24:25], off
	v_lshlrev_b64 v[24:25], 4, v[19:20]
	v_add_nc_u32_e32 v19, 0x80, v19
	v_add_co_u32 v30, vcc_lo, s12, v24
	v_add_co_ci_u32_e64 v31, null, s13, v25, vcc_lo
	global_load_dwordx4 v[24:27], v[30:31], off offset:16
	s_waitcnt vmcnt(1)
	v_subrev_nc_u32_e32 v28, s2, v22
	v_lshlrev_b64 v[28:29], 4, v[28:29]
	v_add_co_u32 v32, vcc_lo, s14, v28
	v_add_co_ci_u32_e64 v33, null, s15, v29, vcc_lo
	v_cmp_ge_i32_e32 vcc_lo, v21, v23
	global_load_dwordx4 v[28:31], v[30:31], off
	global_load_dwordx4 v[32:35], v[32:33], off
	s_or_b32 s3, vcc_lo, s3
	s_waitcnt vmcnt(0)
	v_fma_f64 v[16:17], v[28:29], v[32:33], v[16:17]
	v_fma_f64 v[10:11], v[30:31], v[32:33], v[10:11]
	;; [unrolled: 1-line block ×4, first 2 shown]
	v_fma_f64 v[16:17], -v[30:31], v[34:35], v[16:17]
	v_fma_f64 v[10:11], v[28:29], v[34:35], v[10:11]
	v_fma_f64 v[14:15], -v[26:27], v[34:35], v[14:15]
	v_fma_f64 v[12:13], v[24:25], v[34:35], v[12:13]
	s_andn2_b32 exec_lo, exec_lo, s3
	s_cbranch_execnz .LBB232_7
; %bb.8:
	s_or_b32 exec_lo, exec_lo, s3
.LBB232_9:
	s_or_b32 exec_lo, exec_lo, s1
	s_cbranch_execz .LBB232_11
	s_branch .LBB232_16
.LBB232_10:
                                        ; implicit-def: $vgpr10_vgpr11
                                        ; implicit-def: $vgpr16_vgpr17
                                        ; implicit-def: $vgpr14_vgpr15
                                        ; implicit-def: $vgpr12_vgpr13
.LBB232_11:
	v_mov_b32_e32 v10, 0
	v_mov_b32_e32 v16, 0
	;; [unrolled: 1-line block ×8, first 2 shown]
	s_and_saveexec_b32 s1, s0
	s_cbranch_execz .LBB232_15
; %bb.12:
	v_mov_b32_e32 v10, 0
	v_mov_b32_e32 v16, 0
	;; [unrolled: 1-line block ×4, first 2 shown]
	v_lshlrev_b32_e32 v20, 1, v18
	v_mov_b32_e32 v11, 0
	v_mov_b32_e32 v17, 0
	;; [unrolled: 1-line block ×5, first 2 shown]
	s_mov_b32 s0, 0
.LBB232_13:                             ; =>This Inner Loop Header: Depth=1
	v_ashrrev_i32_e32 v19, 31, v18
	v_mov_b32_e32 v29, v21
	v_lshlrev_b64 v[24:25], 2, v[18:19]
	v_add_nc_u32_e32 v18, 64, v18
	v_add_co_u32 v24, vcc_lo, s10, v24
	v_add_co_ci_u32_e64 v25, null, s11, v25, vcc_lo
	global_load_dword v19, v[24:25], off
	v_lshlrev_b64 v[24:25], 4, v[20:21]
	v_add_nc_u32_e32 v20, 0x80, v20
	v_add_co_u32 v30, vcc_lo, s12, v24
	v_add_co_ci_u32_e64 v31, null, s13, v25, vcc_lo
	global_load_dwordx4 v[24:27], v[30:31], off offset:16
	s_waitcnt vmcnt(1)
	v_subrev_nc_u32_e32 v28, s2, v19
	v_lshlrev_b64 v[28:29], 4, v[28:29]
	v_add_co_u32 v32, vcc_lo, s14, v28
	v_add_co_ci_u32_e64 v33, null, s15, v29, vcc_lo
	v_cmp_ge_i32_e32 vcc_lo, v18, v23
	global_load_dwordx4 v[28:31], v[30:31], off
	global_load_dwordx4 v[32:35], v[32:33], off
	s_or_b32 s0, vcc_lo, s0
	s_waitcnt vmcnt(0)
	v_fma_f64 v[16:17], v[28:29], v[32:33], v[16:17]
	v_fma_f64 v[10:11], v[30:31], v[32:33], v[10:11]
	;; [unrolled: 1-line block ×4, first 2 shown]
	v_fma_f64 v[16:17], -v[30:31], v[34:35], v[16:17]
	v_fma_f64 v[10:11], v[28:29], v[34:35], v[10:11]
	v_fma_f64 v[14:15], -v[26:27], v[34:35], v[14:15]
	v_fma_f64 v[12:13], v[24:25], v[34:35], v[12:13]
	s_andn2_b32 exec_lo, exec_lo, s0
	s_cbranch_execnz .LBB232_13
; %bb.14:
	s_or_b32 exec_lo, exec_lo, s0
.LBB232_15:
	s_or_b32 exec_lo, exec_lo, s1
.LBB232_16:
	v_mbcnt_lo_u32_b32 v26, -1, 0
	v_or_b32_e32 v18, 32, v26
	v_cmp_gt_i32_e32 vcc_lo, 32, v18
	v_cndmask_b32_e32 v18, v26, v18, vcc_lo
	v_lshlrev_b32_e32 v25, 2, v18
	ds_bpermute_b32 v18, v25, v16
	ds_bpermute_b32 v19, v25, v17
	ds_bpermute_b32 v20, v25, v10
	ds_bpermute_b32 v21, v25, v11
	ds_bpermute_b32 v22, v25, v14
	ds_bpermute_b32 v23, v25, v15
	ds_bpermute_b32 v24, v25, v12
	ds_bpermute_b32 v25, v25, v13
	s_waitcnt lgkmcnt(6)
	v_add_f64 v[16:17], v[16:17], v[18:19]
	v_xor_b32_e32 v18, 16, v26
	s_waitcnt lgkmcnt(4)
	v_add_f64 v[10:11], v[10:11], v[20:21]
	s_waitcnt lgkmcnt(2)
	v_add_f64 v[14:15], v[14:15], v[22:23]
	s_waitcnt lgkmcnt(0)
	v_add_f64 v[12:13], v[12:13], v[24:25]
	v_cmp_gt_i32_e32 vcc_lo, 32, v18
	v_cndmask_b32_e32 v18, v26, v18, vcc_lo
	v_lshlrev_b32_e32 v25, 2, v18
	ds_bpermute_b32 v18, v25, v16
	ds_bpermute_b32 v19, v25, v17
	ds_bpermute_b32 v20, v25, v10
	ds_bpermute_b32 v21, v25, v11
	ds_bpermute_b32 v22, v25, v14
	ds_bpermute_b32 v23, v25, v15
	ds_bpermute_b32 v24, v25, v12
	ds_bpermute_b32 v25, v25, v13
	s_waitcnt lgkmcnt(6)
	v_add_f64 v[16:17], v[16:17], v[18:19]
	v_xor_b32_e32 v18, 8, v26
	s_waitcnt lgkmcnt(4)
	v_add_f64 v[10:11], v[10:11], v[20:21]
	s_waitcnt lgkmcnt(2)
	v_add_f64 v[14:15], v[14:15], v[22:23]
	s_waitcnt lgkmcnt(0)
	v_add_f64 v[12:13], v[12:13], v[24:25]
	;; [unrolled: 20-line block ×3, first 2 shown]
	v_cmp_gt_i32_e32 vcc_lo, 32, v18
	v_cndmask_b32_e32 v18, v26, v18, vcc_lo
	v_lshlrev_b32_e32 v25, 2, v18
	ds_bpermute_b32 v18, v25, v16
	ds_bpermute_b32 v19, v25, v17
	;; [unrolled: 1-line block ×8, first 2 shown]
	s_waitcnt lgkmcnt(6)
	v_add_f64 v[16:17], v[16:17], v[18:19]
	s_waitcnt lgkmcnt(4)
	v_add_f64 v[18:19], v[10:11], v[20:21]
	v_xor_b32_e32 v10, 2, v26
	s_waitcnt lgkmcnt(2)
	v_add_f64 v[14:15], v[14:15], v[22:23]
	s_waitcnt lgkmcnt(0)
	v_add_f64 v[20:21], v[12:13], v[24:25]
	v_cmp_gt_i32_e32 vcc_lo, 32, v10
	v_cndmask_b32_e32 v10, v26, v10, vcc_lo
	v_lshlrev_b32_e32 v25, 2, v10
	ds_bpermute_b32 v10, v25, v16
	ds_bpermute_b32 v11, v25, v17
	;; [unrolled: 1-line block ×8, first 2 shown]
	s_waitcnt lgkmcnt(6)
	v_add_f64 v[10:11], v[16:17], v[10:11]
	s_waitcnt lgkmcnt(4)
	v_add_f64 v[16:17], v[18:19], v[12:13]
	v_xor_b32_e32 v18, 1, v26
	s_waitcnt lgkmcnt(2)
	v_add_f64 v[12:13], v[14:15], v[22:23]
	s_waitcnt lgkmcnt(0)
	v_add_f64 v[14:15], v[20:21], v[24:25]
	v_cmp_gt_i32_e32 vcc_lo, 32, v18
	v_cndmask_b32_e32 v18, v26, v18, vcc_lo
	v_cmp_eq_u32_e32 vcc_lo, 63, v0
	v_lshlrev_b32_e32 v21, 2, v18
	ds_bpermute_b32 v24, v21, v10
	ds_bpermute_b32 v25, v21, v11
	;; [unrolled: 1-line block ×8, first 2 shown]
	s_and_b32 exec_lo, exec_lo, vcc_lo
	s_cbranch_execz .LBB232_21
; %bb.17:
	v_cmp_eq_f64_e32 vcc_lo, 0, v[5:6]
	v_cmp_eq_f64_e64 s0, 0, v[7:8]
	s_waitcnt lgkmcnt(6)
	v_add_f64 v[10:11], v[10:11], v[24:25]
	s_waitcnt lgkmcnt(4)
	v_add_f64 v[16:17], v[16:17], v[22:23]
	;; [unrolled: 2-line block ×4, first 2 shown]
	s_load_dwordx2 s[2:3], s[4:5], 0x48
	s_and_b32 s0, vcc_lo, s0
	s_and_saveexec_b32 s1, s0
	s_xor_b32 s0, exec_lo, s1
	s_cbranch_execz .LBB232_19
; %bb.18:
	v_mul_f64 v[5:6], v[16:17], -v[3:4]
	v_mul_f64 v[7:8], v[1:2], v[16:17]
	v_mul_f64 v[16:17], v[14:15], -v[3:4]
	v_mul_f64 v[14:15], v[1:2], v[14:15]
	v_lshlrev_b32_e32 v9, 1, v9
	v_fma_f64 v[5:6], v[1:2], v[10:11], v[5:6]
	v_fma_f64 v[7:8], v[3:4], v[10:11], v[7:8]
	;; [unrolled: 1-line block ×4, first 2 shown]
	v_ashrrev_i32_e32 v10, 31, v9
                                        ; implicit-def: $vgpr16_vgpr17
                                        ; implicit-def: $vgpr12_vgpr13
                                        ; implicit-def: $vgpr14_vgpr15
	v_lshlrev_b64 v[9:10], 4, v[9:10]
	s_waitcnt lgkmcnt(0)
	v_add_co_u32 v9, vcc_lo, s2, v9
	v_add_co_ci_u32_e64 v10, null, s3, v10, vcc_lo
	global_store_dwordx4 v[9:10], v[5:8], off
	global_store_dwordx4 v[9:10], v[0:3], off offset:16
                                        ; implicit-def: $vgpr9
                                        ; implicit-def: $vgpr10_vgpr11
                                        ; implicit-def: $vgpr7_vgpr8
                                        ; implicit-def: $vgpr3_vgpr4
.LBB232_19:
	s_andn2_saveexec_b32 s0, s0
	s_cbranch_execz .LBB232_21
; %bb.20:
	v_lshlrev_b32_e32 v18, 1, v9
	v_mul_f64 v[28:29], v[16:17], -v[3:4]
	v_mul_f64 v[16:17], v[1:2], v[16:17]
	v_mul_f64 v[30:31], v[14:15], -v[3:4]
	v_mul_f64 v[14:15], v[1:2], v[14:15]
	v_ashrrev_i32_e32 v19, 31, v18
	v_lshlrev_b64 v[18:19], 4, v[18:19]
	s_waitcnt lgkmcnt(0)
	v_add_co_u32 v26, vcc_lo, s2, v18
	v_add_co_ci_u32_e64 v27, null, s3, v19, vcc_lo
	s_clause 0x1
	global_load_dwordx4 v[18:21], v[26:27], off
	global_load_dwordx4 v[22:25], v[26:27], off offset:16
	v_fma_f64 v[28:29], v[1:2], v[10:11], v[28:29]
	v_fma_f64 v[9:10], v[3:4], v[10:11], v[16:17]
	;; [unrolled: 1-line block ×4, first 2 shown]
	s_waitcnt vmcnt(1)
	v_fma_f64 v[11:12], v[5:6], v[18:19], v[28:29]
	v_fma_f64 v[9:10], v[7:8], v[18:19], v[9:10]
	s_waitcnt vmcnt(0)
	v_fma_f64 v[13:14], v[5:6], v[22:23], v[0:1]
	v_fma_f64 v[15:16], v[7:8], v[22:23], v[2:3]
	v_fma_f64 v[0:1], -v[7:8], v[20:21], v[11:12]
	v_fma_f64 v[2:3], v[5:6], v[20:21], v[9:10]
	v_fma_f64 v[7:8], -v[7:8], v[24:25], v[13:14]
	v_fma_f64 v[9:10], v[5:6], v[24:25], v[15:16]
	global_store_dwordx4 v[26:27], v[0:3], off
	global_store_dwordx4 v[26:27], v[7:10], off offset:16
.LBB232_21:
	s_endpgm
	.section	.rodata,"a",@progbits
	.p2align	6, 0x0
	.amdhsa_kernel _ZN9rocsparseL19gebsrmvn_2xn_kernelILj128ELj1ELj64E21rocsparse_complex_numIdEEEvi20rocsparse_direction_NS_24const_host_device_scalarIT2_EEPKiS8_PKS5_SA_S6_PS5_21rocsparse_index_base_b
		.amdhsa_group_segment_fixed_size 0
		.amdhsa_private_segment_fixed_size 0
		.amdhsa_kernarg_size 88
		.amdhsa_user_sgpr_count 6
		.amdhsa_user_sgpr_private_segment_buffer 1
		.amdhsa_user_sgpr_dispatch_ptr 0
		.amdhsa_user_sgpr_queue_ptr 0
		.amdhsa_user_sgpr_kernarg_segment_ptr 1
		.amdhsa_user_sgpr_dispatch_id 0
		.amdhsa_user_sgpr_flat_scratch_init 0
		.amdhsa_user_sgpr_private_segment_size 0
		.amdhsa_wavefront_size32 1
		.amdhsa_uses_dynamic_stack 0
		.amdhsa_system_sgpr_private_segment_wavefront_offset 0
		.amdhsa_system_sgpr_workgroup_id_x 1
		.amdhsa_system_sgpr_workgroup_id_y 0
		.amdhsa_system_sgpr_workgroup_id_z 0
		.amdhsa_system_sgpr_workgroup_info 0
		.amdhsa_system_vgpr_workitem_id 0
		.amdhsa_next_free_vgpr 36
		.amdhsa_next_free_sgpr 16
		.amdhsa_reserve_vcc 1
		.amdhsa_reserve_flat_scratch 0
		.amdhsa_float_round_mode_32 0
		.amdhsa_float_round_mode_16_64 0
		.amdhsa_float_denorm_mode_32 3
		.amdhsa_float_denorm_mode_16_64 3
		.amdhsa_dx10_clamp 1
		.amdhsa_ieee_mode 1
		.amdhsa_fp16_overflow 0
		.amdhsa_workgroup_processor_mode 1
		.amdhsa_memory_ordered 1
		.amdhsa_forward_progress 1
		.amdhsa_shared_vgpr_count 0
		.amdhsa_exception_fp_ieee_invalid_op 0
		.amdhsa_exception_fp_denorm_src 0
		.amdhsa_exception_fp_ieee_div_zero 0
		.amdhsa_exception_fp_ieee_overflow 0
		.amdhsa_exception_fp_ieee_underflow 0
		.amdhsa_exception_fp_ieee_inexact 0
		.amdhsa_exception_int_div_zero 0
	.end_amdhsa_kernel
	.section	.text._ZN9rocsparseL19gebsrmvn_2xn_kernelILj128ELj1ELj64E21rocsparse_complex_numIdEEEvi20rocsparse_direction_NS_24const_host_device_scalarIT2_EEPKiS8_PKS5_SA_S6_PS5_21rocsparse_index_base_b,"axG",@progbits,_ZN9rocsparseL19gebsrmvn_2xn_kernelILj128ELj1ELj64E21rocsparse_complex_numIdEEEvi20rocsparse_direction_NS_24const_host_device_scalarIT2_EEPKiS8_PKS5_SA_S6_PS5_21rocsparse_index_base_b,comdat
.Lfunc_end232:
	.size	_ZN9rocsparseL19gebsrmvn_2xn_kernelILj128ELj1ELj64E21rocsparse_complex_numIdEEEvi20rocsparse_direction_NS_24const_host_device_scalarIT2_EEPKiS8_PKS5_SA_S6_PS5_21rocsparse_index_base_b, .Lfunc_end232-_ZN9rocsparseL19gebsrmvn_2xn_kernelILj128ELj1ELj64E21rocsparse_complex_numIdEEEvi20rocsparse_direction_NS_24const_host_device_scalarIT2_EEPKiS8_PKS5_SA_S6_PS5_21rocsparse_index_base_b
                                        ; -- End function
	.set _ZN9rocsparseL19gebsrmvn_2xn_kernelILj128ELj1ELj64E21rocsparse_complex_numIdEEEvi20rocsparse_direction_NS_24const_host_device_scalarIT2_EEPKiS8_PKS5_SA_S6_PS5_21rocsparse_index_base_b.num_vgpr, 36
	.set _ZN9rocsparseL19gebsrmvn_2xn_kernelILj128ELj1ELj64E21rocsparse_complex_numIdEEEvi20rocsparse_direction_NS_24const_host_device_scalarIT2_EEPKiS8_PKS5_SA_S6_PS5_21rocsparse_index_base_b.num_agpr, 0
	.set _ZN9rocsparseL19gebsrmvn_2xn_kernelILj128ELj1ELj64E21rocsparse_complex_numIdEEEvi20rocsparse_direction_NS_24const_host_device_scalarIT2_EEPKiS8_PKS5_SA_S6_PS5_21rocsparse_index_base_b.numbered_sgpr, 16
	.set _ZN9rocsparseL19gebsrmvn_2xn_kernelILj128ELj1ELj64E21rocsparse_complex_numIdEEEvi20rocsparse_direction_NS_24const_host_device_scalarIT2_EEPKiS8_PKS5_SA_S6_PS5_21rocsparse_index_base_b.num_named_barrier, 0
	.set _ZN9rocsparseL19gebsrmvn_2xn_kernelILj128ELj1ELj64E21rocsparse_complex_numIdEEEvi20rocsparse_direction_NS_24const_host_device_scalarIT2_EEPKiS8_PKS5_SA_S6_PS5_21rocsparse_index_base_b.private_seg_size, 0
	.set _ZN9rocsparseL19gebsrmvn_2xn_kernelILj128ELj1ELj64E21rocsparse_complex_numIdEEEvi20rocsparse_direction_NS_24const_host_device_scalarIT2_EEPKiS8_PKS5_SA_S6_PS5_21rocsparse_index_base_b.uses_vcc, 1
	.set _ZN9rocsparseL19gebsrmvn_2xn_kernelILj128ELj1ELj64E21rocsparse_complex_numIdEEEvi20rocsparse_direction_NS_24const_host_device_scalarIT2_EEPKiS8_PKS5_SA_S6_PS5_21rocsparse_index_base_b.uses_flat_scratch, 0
	.set _ZN9rocsparseL19gebsrmvn_2xn_kernelILj128ELj1ELj64E21rocsparse_complex_numIdEEEvi20rocsparse_direction_NS_24const_host_device_scalarIT2_EEPKiS8_PKS5_SA_S6_PS5_21rocsparse_index_base_b.has_dyn_sized_stack, 0
	.set _ZN9rocsparseL19gebsrmvn_2xn_kernelILj128ELj1ELj64E21rocsparse_complex_numIdEEEvi20rocsparse_direction_NS_24const_host_device_scalarIT2_EEPKiS8_PKS5_SA_S6_PS5_21rocsparse_index_base_b.has_recursion, 0
	.set _ZN9rocsparseL19gebsrmvn_2xn_kernelILj128ELj1ELj64E21rocsparse_complex_numIdEEEvi20rocsparse_direction_NS_24const_host_device_scalarIT2_EEPKiS8_PKS5_SA_S6_PS5_21rocsparse_index_base_b.has_indirect_call, 0
	.section	.AMDGPU.csdata,"",@progbits
; Kernel info:
; codeLenInByte = 2076
; TotalNumSgprs: 18
; NumVgprs: 36
; ScratchSize: 0
; MemoryBound: 0
; FloatMode: 240
; IeeeMode: 1
; LDSByteSize: 0 bytes/workgroup (compile time only)
; SGPRBlocks: 0
; VGPRBlocks: 4
; NumSGPRsForWavesPerEU: 18
; NumVGPRsForWavesPerEU: 36
; Occupancy: 16
; WaveLimiterHint : 1
; COMPUTE_PGM_RSRC2:SCRATCH_EN: 0
; COMPUTE_PGM_RSRC2:USER_SGPR: 6
; COMPUTE_PGM_RSRC2:TRAP_HANDLER: 0
; COMPUTE_PGM_RSRC2:TGID_X_EN: 1
; COMPUTE_PGM_RSRC2:TGID_Y_EN: 0
; COMPUTE_PGM_RSRC2:TGID_Z_EN: 0
; COMPUTE_PGM_RSRC2:TIDIG_COMP_CNT: 0
	.section	.text._ZN9rocsparseL19gebsrmvn_2xn_kernelILj128ELj3ELj4E21rocsparse_complex_numIdEEEvi20rocsparse_direction_NS_24const_host_device_scalarIT2_EEPKiS8_PKS5_SA_S6_PS5_21rocsparse_index_base_b,"axG",@progbits,_ZN9rocsparseL19gebsrmvn_2xn_kernelILj128ELj3ELj4E21rocsparse_complex_numIdEEEvi20rocsparse_direction_NS_24const_host_device_scalarIT2_EEPKiS8_PKS5_SA_S6_PS5_21rocsparse_index_base_b,comdat
	.globl	_ZN9rocsparseL19gebsrmvn_2xn_kernelILj128ELj3ELj4E21rocsparse_complex_numIdEEEvi20rocsparse_direction_NS_24const_host_device_scalarIT2_EEPKiS8_PKS5_SA_S6_PS5_21rocsparse_index_base_b ; -- Begin function _ZN9rocsparseL19gebsrmvn_2xn_kernelILj128ELj3ELj4E21rocsparse_complex_numIdEEEvi20rocsparse_direction_NS_24const_host_device_scalarIT2_EEPKiS8_PKS5_SA_S6_PS5_21rocsparse_index_base_b
	.p2align	8
	.type	_ZN9rocsparseL19gebsrmvn_2xn_kernelILj128ELj3ELj4E21rocsparse_complex_numIdEEEvi20rocsparse_direction_NS_24const_host_device_scalarIT2_EEPKiS8_PKS5_SA_S6_PS5_21rocsparse_index_base_b,@function
_ZN9rocsparseL19gebsrmvn_2xn_kernelILj128ELj3ELj4E21rocsparse_complex_numIdEEEvi20rocsparse_direction_NS_24const_host_device_scalarIT2_EEPKiS8_PKS5_SA_S6_PS5_21rocsparse_index_base_b: ; @_ZN9rocsparseL19gebsrmvn_2xn_kernelILj128ELj3ELj4E21rocsparse_complex_numIdEEEvi20rocsparse_direction_NS_24const_host_device_scalarIT2_EEPKiS8_PKS5_SA_S6_PS5_21rocsparse_index_base_b
; %bb.0:
	s_clause 0x1
	s_load_dwordx2 s[2:3], s[4:5], 0x50
	s_load_dwordx2 s[0:1], s[4:5], 0x8
	s_add_u32 s7, s4, 8
	s_addc_u32 s10, s5, 0
	s_add_u32 s11, s4, 56
	s_addc_u32 s12, s5, 0
	s_load_dwordx2 s[8:9], s[4:5], 0x38
	s_waitcnt lgkmcnt(0)
	s_bitcmp1_b32 s3, 0
	s_cselect_b32 s0, s7, s0
	s_cselect_b32 s1, s10, s1
	v_mov_b32_e32 v1, s0
	v_mov_b32_e32 v2, s1
	s_cselect_b32 s0, s11, s8
	s_cselect_b32 s1, s12, s9
	v_mov_b32_e32 v5, s0
	v_mov_b32_e32 v6, s1
	flat_load_dwordx4 v[1:4], v[1:2]
	flat_load_dwordx4 v[5:8], v[5:6]
	s_waitcnt vmcnt(1) lgkmcnt(1)
	v_cmp_eq_f64_e32 vcc_lo, 0, v[1:2]
	v_cmp_eq_f64_e64 s0, 0, v[3:4]
	s_and_b32 s3, vcc_lo, s0
	s_mov_b32 s0, -1
	s_and_saveexec_b32 s1, s3
	s_cbranch_execz .LBB233_2
; %bb.1:
	s_waitcnt vmcnt(0) lgkmcnt(0)
	v_cmp_neq_f64_e32 vcc_lo, 1.0, v[5:6]
	v_cmp_neq_f64_e64 s0, 0, v[7:8]
	s_or_b32 s0, vcc_lo, s0
	s_orn2_b32 s0, s0, exec_lo
.LBB233_2:
	s_or_b32 exec_lo, exec_lo, s1
	s_and_saveexec_b32 s1, s0
	s_cbranch_execz .LBB233_21
; %bb.3:
	s_load_dwordx2 s[0:1], s[4:5], 0x0
	v_lshrrev_b32_e32 v9, 2, v0
	v_lshl_or_b32 v9, s6, 5, v9
	s_waitcnt lgkmcnt(0)
	v_cmp_gt_i32_e32 vcc_lo, s0, v9
	s_and_b32 exec_lo, exec_lo, vcc_lo
	s_cbranch_execz .LBB233_21
; %bb.4:
	s_load_dwordx8 s[8:15], s[4:5], 0x18
	v_ashrrev_i32_e32 v10, 31, v9
	v_and_b32_e32 v0, 3, v0
	s_cmp_lg_u32 s1, 0
	v_lshlrev_b64 v[10:11], 2, v[9:10]
	s_waitcnt lgkmcnt(0)
	v_add_co_u32 v10, vcc_lo, s8, v10
	v_add_co_ci_u32_e64 v11, null, s9, v11, vcc_lo
	global_load_dwordx2 v[10:11], v[10:11], off
	s_waitcnt vmcnt(0)
	v_subrev_nc_u32_e32 v10, s2, v10
	v_subrev_nc_u32_e32 v24, s2, v11
	v_add_nc_u32_e32 v10, v10, v0
	v_cmp_lt_i32_e64 s0, v10, v24
	s_cbranch_scc0 .LBB233_10
; %bb.5:
	v_mov_b32_e32 v12, 0
	v_mov_b32_e32 v14, 0
	;; [unrolled: 1-line block ×8, first 2 shown]
	s_and_saveexec_b32 s1, s0
	s_cbranch_execz .LBB233_9
; %bb.6:
	v_mul_lo_u32 v20, v10, 6
	v_mov_b32_e32 v12, 0
	v_mov_b32_e32 v14, 0
	;; [unrolled: 1-line block ×10, first 2 shown]
	s_mov_b32 s3, 0
.LBB233_7:                              ; =>This Inner Loop Header: Depth=1
	v_ashrrev_i32_e32 v23, 31, v22
	v_mov_b32_e32 v54, v21
	v_add_nc_u32_e32 v37, 2, v20
	v_mov_b32_e32 v38, v21
	v_mov_b32_e32 v42, v21
	v_lshlrev_b64 v[25:26], 2, v[22:23]
	v_add_nc_u32_e32 v49, 4, v20
	v_mov_b32_e32 v50, v21
	v_lshlrev_b64 v[37:38], 4, v[37:38]
	v_add_nc_u32_e32 v22, 4, v22
	v_add_co_u32 v25, vcc_lo, s10, v25
	v_add_co_ci_u32_e64 v26, null, s11, v26, vcc_lo
	v_lshlrev_b64 v[49:50], 4, v[49:50]
	global_load_dword v11, v[25:26], off
	v_lshlrev_b64 v[25:26], 4, v[20:21]
	v_add_nc_u32_e32 v20, 24, v20
	v_add_co_u32 v29, vcc_lo, s12, v25
	v_add_co_ci_u32_e64 v30, null, s13, v26, vcc_lo
	global_load_dwordx4 v[25:28], v[29:30], off offset:16
	s_waitcnt vmcnt(1)
	v_subrev_nc_u32_e32 v11, s2, v11
	v_lshl_add_u32 v53, v11, 1, v11
	v_lshlrev_b64 v[31:32], 4, v[53:54]
	v_add_nc_u32_e32 v41, 1, v53
	v_add_nc_u32_e32 v53, 2, v53
	v_lshlrev_b64 v[41:42], 4, v[41:42]
	v_add_co_u32 v33, vcc_lo, s14, v31
	v_add_co_ci_u32_e64 v34, null, s15, v32, vcc_lo
	v_add_co_u32 v43, vcc_lo, s12, v37
	global_load_dwordx4 v[29:32], v[29:30], off
	global_load_dwordx4 v[33:36], v[33:34], off
	v_add_co_ci_u32_e64 v44, null, s13, v38, vcc_lo
	v_add_co_u32 v45, vcc_lo, s14, v41
	v_add_co_ci_u32_e64 v46, null, s15, v42, vcc_lo
	s_clause 0x1
	global_load_dwordx4 v[37:40], v[43:44], off offset:16
	global_load_dwordx4 v[41:44], v[43:44], off
	global_load_dwordx4 v[45:48], v[45:46], off
	v_lshlrev_b64 v[53:54], 4, v[53:54]
	v_add_co_u32 v55, vcc_lo, s12, v49
	v_add_co_ci_u32_e64 v56, null, s13, v50, vcc_lo
	v_add_co_u32 v57, vcc_lo, s14, v53
	v_add_co_ci_u32_e64 v58, null, s15, v54, vcc_lo
	s_clause 0x1
	global_load_dwordx4 v[49:52], v[55:56], off offset:16
	global_load_dwordx4 v[53:56], v[55:56], off
	global_load_dwordx4 v[57:60], v[57:58], off
	v_cmp_ge_i32_e32 vcc_lo, v22, v24
	s_or_b32 s3, vcc_lo, s3
	s_waitcnt vmcnt(6)
	v_fma_f64 v[14:15], v[29:30], v[33:34], v[14:15]
	v_fma_f64 v[11:12], v[31:32], v[33:34], v[12:13]
	v_fma_f64 v[16:17], v[25:26], v[33:34], v[16:17]
	v_fma_f64 v[18:19], v[27:28], v[33:34], v[18:19]
	v_fma_f64 v[13:14], -v[31:32], v[35:36], v[14:15]
	v_fma_f64 v[11:12], v[29:30], v[35:36], v[11:12]
	v_fma_f64 v[15:16], -v[27:28], v[35:36], v[16:17]
	v_fma_f64 v[17:18], v[25:26], v[35:36], v[18:19]
	s_waitcnt vmcnt(3)
	v_fma_f64 v[13:14], v[41:42], v[45:46], v[13:14]
	v_fma_f64 v[11:12], v[43:44], v[45:46], v[11:12]
	v_fma_f64 v[15:16], v[37:38], v[45:46], v[15:16]
	v_fma_f64 v[17:18], v[39:40], v[45:46], v[17:18]
	v_fma_f64 v[13:14], -v[43:44], v[47:48], v[13:14]
	v_fma_f64 v[11:12], v[41:42], v[47:48], v[11:12]
	v_fma_f64 v[15:16], -v[39:40], v[47:48], v[15:16]
	v_fma_f64 v[17:18], v[37:38], v[47:48], v[17:18]
	;; [unrolled: 9-line block ×3, first 2 shown]
	s_andn2_b32 exec_lo, exec_lo, s3
	s_cbranch_execnz .LBB233_7
; %bb.8:
	s_or_b32 exec_lo, exec_lo, s3
.LBB233_9:
	s_or_b32 exec_lo, exec_lo, s1
	s_cbranch_execz .LBB233_11
	s_branch .LBB233_16
.LBB233_10:
                                        ; implicit-def: $vgpr12_vgpr13
                                        ; implicit-def: $vgpr14_vgpr15
                                        ; implicit-def: $vgpr16_vgpr17
                                        ; implicit-def: $vgpr18_vgpr19
.LBB233_11:
	v_mov_b32_e32 v12, 0
	v_mov_b32_e32 v14, 0
	;; [unrolled: 1-line block ×8, first 2 shown]
	s_and_saveexec_b32 s1, s0
	s_cbranch_execz .LBB233_15
; %bb.12:
	v_mad_u64_u32 v[20:21], null, v10, 6, 5
	v_mov_b32_e32 v12, 0
	v_mov_b32_e32 v14, 0
	;; [unrolled: 1-line block ×9, first 2 shown]
	s_mov_b32 s0, 0
.LBB233_13:                             ; =>This Inner Loop Header: Depth=1
	v_ashrrev_i32_e32 v11, 31, v10
	v_add_nc_u32_e32 v21, -5, v20
	v_mov_b32_e32 v54, v22
	v_lshlrev_b64 v[25:26], 2, v[10:11]
	v_lshlrev_b64 v[27:28], 4, v[21:22]
	v_add_nc_u32_e32 v10, 4, v10
	v_add_co_u32 v25, vcc_lo, s10, v25
	v_add_co_ci_u32_e64 v26, null, s11, v26, vcc_lo
	v_add_co_u32 v29, vcc_lo, s12, v27
	v_add_co_ci_u32_e64 v30, null, s13, v28, vcc_lo
	global_load_dword v11, v[25:26], off
	v_add_nc_u32_e32 v25, -2, v20
	v_mov_b32_e32 v26, v22
	v_lshlrev_b64 v[25:26], 4, v[25:26]
	v_add_co_u32 v33, vcc_lo, s12, v25
	v_add_co_ci_u32_e64 v34, null, s13, v26, vcc_lo
	s_clause 0x1
	global_load_dwordx4 v[25:28], v[29:30], off offset:16
	global_load_dwordx4 v[29:32], v[29:30], off
	s_waitcnt vmcnt(2)
	v_subrev_nc_u32_e32 v11, s2, v11
	v_lshl_add_u32 v53, v11, 1, v11
	v_lshlrev_b64 v[35:36], 4, v[53:54]
	v_add_nc_u32_e32 v21, 1, v53
	v_lshlrev_b64 v[41:42], 4, v[21:22]
	v_add_co_u32 v37, vcc_lo, s14, v35
	v_add_co_ci_u32_e64 v38, null, s15, v36, vcc_lo
	global_load_dwordx4 v[33:36], v[33:34], off
	global_load_dwordx4 v[37:40], v[37:38], off
	v_add_nc_u32_e32 v21, -1, v20
	v_add_co_u32 v41, vcc_lo, s14, v41
	v_add_co_ci_u32_e64 v42, null, s15, v42, vcc_lo
	v_lshlrev_b64 v[43:44], 4, v[21:22]
	v_mov_b32_e32 v21, v22
	v_add_co_u32 v45, vcc_lo, s12, v43
	v_add_co_ci_u32_e64 v46, null, s13, v44, vcc_lo
	global_load_dwordx4 v[41:44], v[41:42], off
	global_load_dwordx4 v[45:48], v[45:46], off
	v_lshlrev_b64 v[49:50], 4, v[20:21]
	v_add_nc_u32_e32 v21, -3, v20
	v_add_nc_u32_e32 v20, 24, v20
	v_lshlrev_b64 v[54:55], 4, v[21:22]
	v_add_nc_u32_e32 v21, 2, v53
	v_add_co_u32 v49, vcc_lo, s12, v49
	v_add_co_ci_u32_e64 v50, null, s13, v50, vcc_lo
	v_lshlrev_b64 v[56:57], 4, v[21:22]
	v_add_co_u32 v53, vcc_lo, s12, v54
	v_add_co_ci_u32_e64 v54, null, s13, v55, vcc_lo
	global_load_dwordx4 v[49:52], v[49:50], off
	v_add_co_u32 v58, vcc_lo, s14, v56
	v_add_co_ci_u32_e64 v59, null, s15, v57, vcc_lo
	global_load_dwordx4 v[53:56], v[53:54], off
	global_load_dwordx4 v[57:60], v[58:59], off
	v_cmp_ge_i32_e32 vcc_lo, v10, v24
	s_or_b32 s0, vcc_lo, s0
	s_waitcnt vmcnt(5)
	v_fma_f64 v[14:15], v[29:30], v[37:38], v[14:15]
	v_fma_f64 v[11:12], v[31:32], v[37:38], v[12:13]
	;; [unrolled: 1-line block ×4, first 2 shown]
	v_fma_f64 v[13:14], -v[31:32], v[39:40], v[14:15]
	v_fma_f64 v[11:12], v[29:30], v[39:40], v[11:12]
	v_fma_f64 v[15:16], -v[35:36], v[39:40], v[16:17]
	v_fma_f64 v[17:18], v[33:34], v[39:40], v[18:19]
	s_waitcnt vmcnt(4)
	v_fma_f64 v[13:14], v[25:26], v[41:42], v[13:14]
	v_fma_f64 v[11:12], v[27:28], v[41:42], v[11:12]
	s_waitcnt vmcnt(3)
	v_fma_f64 v[15:16], v[45:46], v[41:42], v[15:16]
	v_fma_f64 v[17:18], v[47:48], v[41:42], v[17:18]
	v_fma_f64 v[13:14], -v[27:28], v[43:44], v[13:14]
	v_fma_f64 v[11:12], v[25:26], v[43:44], v[11:12]
	v_fma_f64 v[15:16], -v[47:48], v[43:44], v[15:16]
	v_fma_f64 v[17:18], v[45:46], v[43:44], v[17:18]
	s_waitcnt vmcnt(0)
	v_fma_f64 v[13:14], v[53:54], v[57:58], v[13:14]
	v_fma_f64 v[11:12], v[55:56], v[57:58], v[11:12]
	;; [unrolled: 1-line block ×4, first 2 shown]
	v_fma_f64 v[14:15], -v[55:56], v[59:60], v[13:14]
	v_fma_f64 v[12:13], v[53:54], v[59:60], v[11:12]
	v_fma_f64 v[16:17], -v[51:52], v[59:60], v[25:26]
	v_fma_f64 v[18:19], v[49:50], v[59:60], v[18:19]
	s_andn2_b32 exec_lo, exec_lo, s0
	s_cbranch_execnz .LBB233_13
; %bb.14:
	s_or_b32 exec_lo, exec_lo, s0
.LBB233_15:
	s_or_b32 exec_lo, exec_lo, s1
.LBB233_16:
	v_mbcnt_lo_u32_b32 v26, -1, 0
	v_xor_b32_e32 v10, 2, v26
	v_cmp_gt_i32_e32 vcc_lo, 32, v10
	v_cndmask_b32_e32 v10, v26, v10, vcc_lo
	v_lshlrev_b32_e32 v25, 2, v10
	ds_bpermute_b32 v10, v25, v14
	ds_bpermute_b32 v11, v25, v15
	;; [unrolled: 1-line block ×8, first 2 shown]
	s_waitcnt lgkmcnt(6)
	v_add_f64 v[10:11], v[14:15], v[10:11]
	s_waitcnt lgkmcnt(4)
	v_add_f64 v[20:21], v[12:13], v[20:21]
	;; [unrolled: 2-line block ×3, first 2 shown]
	v_xor_b32_e32 v16, 1, v26
	s_waitcnt lgkmcnt(0)
	v_add_f64 v[14:15], v[18:19], v[24:25]
	v_cmp_gt_i32_e32 vcc_lo, 32, v16
	v_cndmask_b32_e32 v16, v26, v16, vcc_lo
	v_cmp_eq_u32_e32 vcc_lo, 3, v0
	v_lshlrev_b32_e32 v23, 2, v16
	ds_bpermute_b32 v24, v23, v10
	ds_bpermute_b32 v25, v23, v11
	;; [unrolled: 1-line block ×8, first 2 shown]
	s_and_b32 exec_lo, exec_lo, vcc_lo
	s_cbranch_execz .LBB233_21
; %bb.17:
	v_cmp_eq_f64_e32 vcc_lo, 0, v[5:6]
	v_cmp_eq_f64_e64 s0, 0, v[7:8]
	s_waitcnt lgkmcnt(6)
	v_add_f64 v[10:11], v[10:11], v[24:25]
	s_waitcnt lgkmcnt(4)
	v_add_f64 v[16:17], v[20:21], v[16:17]
	;; [unrolled: 2-line block ×4, first 2 shown]
	s_load_dwordx2 s[2:3], s[4:5], 0x48
	s_and_b32 s0, vcc_lo, s0
	s_and_saveexec_b32 s1, s0
	s_xor_b32 s0, exec_lo, s1
	s_cbranch_execz .LBB233_19
; %bb.18:
	v_mul_f64 v[5:6], v[16:17], -v[3:4]
	v_mul_f64 v[7:8], v[1:2], v[16:17]
	v_mul_f64 v[16:17], v[14:15], -v[3:4]
	v_mul_f64 v[14:15], v[1:2], v[14:15]
	v_lshlrev_b32_e32 v9, 1, v9
	v_fma_f64 v[5:6], v[1:2], v[10:11], v[5:6]
	v_fma_f64 v[7:8], v[3:4], v[10:11], v[7:8]
	;; [unrolled: 1-line block ×4, first 2 shown]
	v_ashrrev_i32_e32 v10, 31, v9
                                        ; implicit-def: $vgpr16_vgpr17
                                        ; implicit-def: $vgpr12_vgpr13
                                        ; implicit-def: $vgpr14_vgpr15
	v_lshlrev_b64 v[9:10], 4, v[9:10]
	s_waitcnt lgkmcnt(0)
	v_add_co_u32 v9, vcc_lo, s2, v9
	v_add_co_ci_u32_e64 v10, null, s3, v10, vcc_lo
	global_store_dwordx4 v[9:10], v[5:8], off
	global_store_dwordx4 v[9:10], v[0:3], off offset:16
                                        ; implicit-def: $vgpr9
                                        ; implicit-def: $vgpr10_vgpr11
                                        ; implicit-def: $vgpr7_vgpr8
                                        ; implicit-def: $vgpr3_vgpr4
.LBB233_19:
	s_andn2_saveexec_b32 s0, s0
	s_cbranch_execz .LBB233_21
; %bb.20:
	v_lshlrev_b32_e32 v18, 1, v9
	v_mul_f64 v[28:29], v[16:17], -v[3:4]
	v_mul_f64 v[16:17], v[1:2], v[16:17]
	v_mul_f64 v[30:31], v[14:15], -v[3:4]
	v_mul_f64 v[14:15], v[1:2], v[14:15]
	v_ashrrev_i32_e32 v19, 31, v18
	v_lshlrev_b64 v[18:19], 4, v[18:19]
	s_waitcnt lgkmcnt(0)
	v_add_co_u32 v26, vcc_lo, s2, v18
	v_add_co_ci_u32_e64 v27, null, s3, v19, vcc_lo
	s_clause 0x1
	global_load_dwordx4 v[18:21], v[26:27], off
	global_load_dwordx4 v[22:25], v[26:27], off offset:16
	v_fma_f64 v[28:29], v[1:2], v[10:11], v[28:29]
	v_fma_f64 v[9:10], v[3:4], v[10:11], v[16:17]
	v_fma_f64 v[0:1], v[1:2], v[12:13], v[30:31]
	v_fma_f64 v[2:3], v[3:4], v[12:13], v[14:15]
	s_waitcnt vmcnt(1)
	v_fma_f64 v[11:12], v[5:6], v[18:19], v[28:29]
	v_fma_f64 v[9:10], v[7:8], v[18:19], v[9:10]
	s_waitcnt vmcnt(0)
	v_fma_f64 v[13:14], v[5:6], v[22:23], v[0:1]
	v_fma_f64 v[15:16], v[7:8], v[22:23], v[2:3]
	v_fma_f64 v[0:1], -v[7:8], v[20:21], v[11:12]
	v_fma_f64 v[2:3], v[5:6], v[20:21], v[9:10]
	v_fma_f64 v[7:8], -v[7:8], v[24:25], v[13:14]
	v_fma_f64 v[9:10], v[5:6], v[24:25], v[15:16]
	global_store_dwordx4 v[26:27], v[0:3], off
	global_store_dwordx4 v[26:27], v[7:10], off offset:16
.LBB233_21:
	s_endpgm
	.section	.rodata,"a",@progbits
	.p2align	6, 0x0
	.amdhsa_kernel _ZN9rocsparseL19gebsrmvn_2xn_kernelILj128ELj3ELj4E21rocsparse_complex_numIdEEEvi20rocsparse_direction_NS_24const_host_device_scalarIT2_EEPKiS8_PKS5_SA_S6_PS5_21rocsparse_index_base_b
		.amdhsa_group_segment_fixed_size 0
		.amdhsa_private_segment_fixed_size 0
		.amdhsa_kernarg_size 88
		.amdhsa_user_sgpr_count 6
		.amdhsa_user_sgpr_private_segment_buffer 1
		.amdhsa_user_sgpr_dispatch_ptr 0
		.amdhsa_user_sgpr_queue_ptr 0
		.amdhsa_user_sgpr_kernarg_segment_ptr 1
		.amdhsa_user_sgpr_dispatch_id 0
		.amdhsa_user_sgpr_flat_scratch_init 0
		.amdhsa_user_sgpr_private_segment_size 0
		.amdhsa_wavefront_size32 1
		.amdhsa_uses_dynamic_stack 0
		.amdhsa_system_sgpr_private_segment_wavefront_offset 0
		.amdhsa_system_sgpr_workgroup_id_x 1
		.amdhsa_system_sgpr_workgroup_id_y 0
		.amdhsa_system_sgpr_workgroup_id_z 0
		.amdhsa_system_sgpr_workgroup_info 0
		.amdhsa_system_vgpr_workitem_id 0
		.amdhsa_next_free_vgpr 61
		.amdhsa_next_free_sgpr 16
		.amdhsa_reserve_vcc 1
		.amdhsa_reserve_flat_scratch 0
		.amdhsa_float_round_mode_32 0
		.amdhsa_float_round_mode_16_64 0
		.amdhsa_float_denorm_mode_32 3
		.amdhsa_float_denorm_mode_16_64 3
		.amdhsa_dx10_clamp 1
		.amdhsa_ieee_mode 1
		.amdhsa_fp16_overflow 0
		.amdhsa_workgroup_processor_mode 1
		.amdhsa_memory_ordered 1
		.amdhsa_forward_progress 1
		.amdhsa_shared_vgpr_count 0
		.amdhsa_exception_fp_ieee_invalid_op 0
		.amdhsa_exception_fp_denorm_src 0
		.amdhsa_exception_fp_ieee_div_zero 0
		.amdhsa_exception_fp_ieee_overflow 0
		.amdhsa_exception_fp_ieee_underflow 0
		.amdhsa_exception_fp_ieee_inexact 0
		.amdhsa_exception_int_div_zero 0
	.end_amdhsa_kernel
	.section	.text._ZN9rocsparseL19gebsrmvn_2xn_kernelILj128ELj3ELj4E21rocsparse_complex_numIdEEEvi20rocsparse_direction_NS_24const_host_device_scalarIT2_EEPKiS8_PKS5_SA_S6_PS5_21rocsparse_index_base_b,"axG",@progbits,_ZN9rocsparseL19gebsrmvn_2xn_kernelILj128ELj3ELj4E21rocsparse_complex_numIdEEEvi20rocsparse_direction_NS_24const_host_device_scalarIT2_EEPKiS8_PKS5_SA_S6_PS5_21rocsparse_index_base_b,comdat
.Lfunc_end233:
	.size	_ZN9rocsparseL19gebsrmvn_2xn_kernelILj128ELj3ELj4E21rocsparse_complex_numIdEEEvi20rocsparse_direction_NS_24const_host_device_scalarIT2_EEPKiS8_PKS5_SA_S6_PS5_21rocsparse_index_base_b, .Lfunc_end233-_ZN9rocsparseL19gebsrmvn_2xn_kernelILj128ELj3ELj4E21rocsparse_complex_numIdEEEvi20rocsparse_direction_NS_24const_host_device_scalarIT2_EEPKiS8_PKS5_SA_S6_PS5_21rocsparse_index_base_b
                                        ; -- End function
	.set _ZN9rocsparseL19gebsrmvn_2xn_kernelILj128ELj3ELj4E21rocsparse_complex_numIdEEEvi20rocsparse_direction_NS_24const_host_device_scalarIT2_EEPKiS8_PKS5_SA_S6_PS5_21rocsparse_index_base_b.num_vgpr, 61
	.set _ZN9rocsparseL19gebsrmvn_2xn_kernelILj128ELj3ELj4E21rocsparse_complex_numIdEEEvi20rocsparse_direction_NS_24const_host_device_scalarIT2_EEPKiS8_PKS5_SA_S6_PS5_21rocsparse_index_base_b.num_agpr, 0
	.set _ZN9rocsparseL19gebsrmvn_2xn_kernelILj128ELj3ELj4E21rocsparse_complex_numIdEEEvi20rocsparse_direction_NS_24const_host_device_scalarIT2_EEPKiS8_PKS5_SA_S6_PS5_21rocsparse_index_base_b.numbered_sgpr, 16
	.set _ZN9rocsparseL19gebsrmvn_2xn_kernelILj128ELj3ELj4E21rocsparse_complex_numIdEEEvi20rocsparse_direction_NS_24const_host_device_scalarIT2_EEPKiS8_PKS5_SA_S6_PS5_21rocsparse_index_base_b.num_named_barrier, 0
	.set _ZN9rocsparseL19gebsrmvn_2xn_kernelILj128ELj3ELj4E21rocsparse_complex_numIdEEEvi20rocsparse_direction_NS_24const_host_device_scalarIT2_EEPKiS8_PKS5_SA_S6_PS5_21rocsparse_index_base_b.private_seg_size, 0
	.set _ZN9rocsparseL19gebsrmvn_2xn_kernelILj128ELj3ELj4E21rocsparse_complex_numIdEEEvi20rocsparse_direction_NS_24const_host_device_scalarIT2_EEPKiS8_PKS5_SA_S6_PS5_21rocsparse_index_base_b.uses_vcc, 1
	.set _ZN9rocsparseL19gebsrmvn_2xn_kernelILj128ELj3ELj4E21rocsparse_complex_numIdEEEvi20rocsparse_direction_NS_24const_host_device_scalarIT2_EEPKiS8_PKS5_SA_S6_PS5_21rocsparse_index_base_b.uses_flat_scratch, 0
	.set _ZN9rocsparseL19gebsrmvn_2xn_kernelILj128ELj3ELj4E21rocsparse_complex_numIdEEEvi20rocsparse_direction_NS_24const_host_device_scalarIT2_EEPKiS8_PKS5_SA_S6_PS5_21rocsparse_index_base_b.has_dyn_sized_stack, 0
	.set _ZN9rocsparseL19gebsrmvn_2xn_kernelILj128ELj3ELj4E21rocsparse_complex_numIdEEEvi20rocsparse_direction_NS_24const_host_device_scalarIT2_EEPKiS8_PKS5_SA_S6_PS5_21rocsparse_index_base_b.has_recursion, 0
	.set _ZN9rocsparseL19gebsrmvn_2xn_kernelILj128ELj3ELj4E21rocsparse_complex_numIdEEEvi20rocsparse_direction_NS_24const_host_device_scalarIT2_EEPKiS8_PKS5_SA_S6_PS5_21rocsparse_index_base_b.has_indirect_call, 0
	.section	.AMDGPU.csdata,"",@progbits
; Kernel info:
; codeLenInByte = 2264
; TotalNumSgprs: 18
; NumVgprs: 61
; ScratchSize: 0
; MemoryBound: 0
; FloatMode: 240
; IeeeMode: 1
; LDSByteSize: 0 bytes/workgroup (compile time only)
; SGPRBlocks: 0
; VGPRBlocks: 7
; NumSGPRsForWavesPerEU: 18
; NumVGPRsForWavesPerEU: 61
; Occupancy: 16
; WaveLimiterHint : 1
; COMPUTE_PGM_RSRC2:SCRATCH_EN: 0
; COMPUTE_PGM_RSRC2:USER_SGPR: 6
; COMPUTE_PGM_RSRC2:TRAP_HANDLER: 0
; COMPUTE_PGM_RSRC2:TGID_X_EN: 1
; COMPUTE_PGM_RSRC2:TGID_Y_EN: 0
; COMPUTE_PGM_RSRC2:TGID_Z_EN: 0
; COMPUTE_PGM_RSRC2:TIDIG_COMP_CNT: 0
	.section	.text._ZN9rocsparseL19gebsrmvn_2xn_kernelILj128ELj3ELj8E21rocsparse_complex_numIdEEEvi20rocsparse_direction_NS_24const_host_device_scalarIT2_EEPKiS8_PKS5_SA_S6_PS5_21rocsparse_index_base_b,"axG",@progbits,_ZN9rocsparseL19gebsrmvn_2xn_kernelILj128ELj3ELj8E21rocsparse_complex_numIdEEEvi20rocsparse_direction_NS_24const_host_device_scalarIT2_EEPKiS8_PKS5_SA_S6_PS5_21rocsparse_index_base_b,comdat
	.globl	_ZN9rocsparseL19gebsrmvn_2xn_kernelILj128ELj3ELj8E21rocsparse_complex_numIdEEEvi20rocsparse_direction_NS_24const_host_device_scalarIT2_EEPKiS8_PKS5_SA_S6_PS5_21rocsparse_index_base_b ; -- Begin function _ZN9rocsparseL19gebsrmvn_2xn_kernelILj128ELj3ELj8E21rocsparse_complex_numIdEEEvi20rocsparse_direction_NS_24const_host_device_scalarIT2_EEPKiS8_PKS5_SA_S6_PS5_21rocsparse_index_base_b
	.p2align	8
	.type	_ZN9rocsparseL19gebsrmvn_2xn_kernelILj128ELj3ELj8E21rocsparse_complex_numIdEEEvi20rocsparse_direction_NS_24const_host_device_scalarIT2_EEPKiS8_PKS5_SA_S6_PS5_21rocsparse_index_base_b,@function
_ZN9rocsparseL19gebsrmvn_2xn_kernelILj128ELj3ELj8E21rocsparse_complex_numIdEEEvi20rocsparse_direction_NS_24const_host_device_scalarIT2_EEPKiS8_PKS5_SA_S6_PS5_21rocsparse_index_base_b: ; @_ZN9rocsparseL19gebsrmvn_2xn_kernelILj128ELj3ELj8E21rocsparse_complex_numIdEEEvi20rocsparse_direction_NS_24const_host_device_scalarIT2_EEPKiS8_PKS5_SA_S6_PS5_21rocsparse_index_base_b
; %bb.0:
	s_clause 0x1
	s_load_dwordx2 s[2:3], s[4:5], 0x50
	s_load_dwordx2 s[0:1], s[4:5], 0x8
	s_add_u32 s7, s4, 8
	s_addc_u32 s10, s5, 0
	s_add_u32 s11, s4, 56
	s_addc_u32 s12, s5, 0
	s_load_dwordx2 s[8:9], s[4:5], 0x38
	s_waitcnt lgkmcnt(0)
	s_bitcmp1_b32 s3, 0
	s_cselect_b32 s0, s7, s0
	s_cselect_b32 s1, s10, s1
	v_mov_b32_e32 v1, s0
	v_mov_b32_e32 v2, s1
	s_cselect_b32 s0, s11, s8
	s_cselect_b32 s1, s12, s9
	v_mov_b32_e32 v5, s0
	v_mov_b32_e32 v6, s1
	flat_load_dwordx4 v[1:4], v[1:2]
	flat_load_dwordx4 v[5:8], v[5:6]
	s_waitcnt vmcnt(1) lgkmcnt(1)
	v_cmp_eq_f64_e32 vcc_lo, 0, v[1:2]
	v_cmp_eq_f64_e64 s0, 0, v[3:4]
	s_and_b32 s3, vcc_lo, s0
	s_mov_b32 s0, -1
	s_and_saveexec_b32 s1, s3
	s_cbranch_execz .LBB234_2
; %bb.1:
	s_waitcnt vmcnt(0) lgkmcnt(0)
	v_cmp_neq_f64_e32 vcc_lo, 1.0, v[5:6]
	v_cmp_neq_f64_e64 s0, 0, v[7:8]
	s_or_b32 s0, vcc_lo, s0
	s_orn2_b32 s0, s0, exec_lo
.LBB234_2:
	s_or_b32 exec_lo, exec_lo, s1
	s_and_saveexec_b32 s1, s0
	s_cbranch_execz .LBB234_21
; %bb.3:
	s_load_dwordx2 s[0:1], s[4:5], 0x0
	v_lshrrev_b32_e32 v9, 3, v0
	v_lshl_or_b32 v9, s6, 4, v9
	s_waitcnt lgkmcnt(0)
	v_cmp_gt_i32_e32 vcc_lo, s0, v9
	s_and_b32 exec_lo, exec_lo, vcc_lo
	s_cbranch_execz .LBB234_21
; %bb.4:
	s_load_dwordx8 s[8:15], s[4:5], 0x18
	v_ashrrev_i32_e32 v10, 31, v9
	v_and_b32_e32 v0, 7, v0
	s_cmp_lg_u32 s1, 0
	v_lshlrev_b64 v[10:11], 2, v[9:10]
	s_waitcnt lgkmcnt(0)
	v_add_co_u32 v10, vcc_lo, s8, v10
	v_add_co_ci_u32_e64 v11, null, s9, v11, vcc_lo
	global_load_dwordx2 v[10:11], v[10:11], off
	s_waitcnt vmcnt(0)
	v_subrev_nc_u32_e32 v10, s2, v10
	v_subrev_nc_u32_e32 v24, s2, v11
	v_add_nc_u32_e32 v12, v10, v0
	v_cmp_lt_i32_e64 s0, v12, v24
	s_cbranch_scc0 .LBB234_10
; %bb.5:
	v_mov_b32_e32 v10, 0
	v_mov_b32_e32 v14, 0
	v_mov_b32_e32 v16, 0
	v_mov_b32_e32 v18, 0
	v_mov_b32_e32 v11, 0
	v_mov_b32_e32 v15, 0
	v_mov_b32_e32 v17, 0
	v_mov_b32_e32 v19, 0
	s_and_saveexec_b32 s1, s0
	s_cbranch_execz .LBB234_9
; %bb.6:
	v_mul_lo_u32 v20, v12, 6
	v_mov_b32_e32 v10, 0
	v_mov_b32_e32 v14, 0
	;; [unrolled: 1-line block ×10, first 2 shown]
	s_mov_b32 s3, 0
.LBB234_7:                              ; =>This Inner Loop Header: Depth=1
	v_ashrrev_i32_e32 v23, 31, v22
	v_mov_b32_e32 v54, v21
	v_add_nc_u32_e32 v37, 2, v20
	v_mov_b32_e32 v38, v21
	v_mov_b32_e32 v42, v21
	v_lshlrev_b64 v[25:26], 2, v[22:23]
	v_add_nc_u32_e32 v49, 4, v20
	v_mov_b32_e32 v50, v21
	v_lshlrev_b64 v[37:38], 4, v[37:38]
	v_add_nc_u32_e32 v22, 8, v22
	v_add_co_u32 v25, vcc_lo, s10, v25
	v_add_co_ci_u32_e64 v26, null, s11, v26, vcc_lo
	v_lshlrev_b64 v[49:50], 4, v[49:50]
	global_load_dword v13, v[25:26], off
	v_lshlrev_b64 v[25:26], 4, v[20:21]
	v_add_nc_u32_e32 v20, 48, v20
	v_add_co_u32 v29, vcc_lo, s12, v25
	v_add_co_ci_u32_e64 v30, null, s13, v26, vcc_lo
	global_load_dwordx4 v[25:28], v[29:30], off offset:16
	s_waitcnt vmcnt(1)
	v_subrev_nc_u32_e32 v13, s2, v13
	v_lshl_add_u32 v53, v13, 1, v13
	v_lshlrev_b64 v[31:32], 4, v[53:54]
	v_add_nc_u32_e32 v41, 1, v53
	v_add_nc_u32_e32 v53, 2, v53
	v_lshlrev_b64 v[41:42], 4, v[41:42]
	v_add_co_u32 v33, vcc_lo, s14, v31
	v_add_co_ci_u32_e64 v34, null, s15, v32, vcc_lo
	v_add_co_u32 v43, vcc_lo, s12, v37
	global_load_dwordx4 v[29:32], v[29:30], off
	global_load_dwordx4 v[33:36], v[33:34], off
	v_add_co_ci_u32_e64 v44, null, s13, v38, vcc_lo
	v_add_co_u32 v45, vcc_lo, s14, v41
	v_add_co_ci_u32_e64 v46, null, s15, v42, vcc_lo
	s_clause 0x1
	global_load_dwordx4 v[37:40], v[43:44], off offset:16
	global_load_dwordx4 v[41:44], v[43:44], off
	global_load_dwordx4 v[45:48], v[45:46], off
	v_lshlrev_b64 v[53:54], 4, v[53:54]
	v_add_co_u32 v55, vcc_lo, s12, v49
	v_add_co_ci_u32_e64 v56, null, s13, v50, vcc_lo
	v_add_co_u32 v57, vcc_lo, s14, v53
	v_add_co_ci_u32_e64 v58, null, s15, v54, vcc_lo
	s_clause 0x1
	global_load_dwordx4 v[49:52], v[55:56], off offset:16
	global_load_dwordx4 v[53:56], v[55:56], off
	global_load_dwordx4 v[57:60], v[57:58], off
	v_cmp_ge_i32_e32 vcc_lo, v22, v24
	s_or_b32 s3, vcc_lo, s3
	s_waitcnt vmcnt(6)
	v_fma_f64 v[13:14], v[29:30], v[33:34], v[14:15]
	v_fma_f64 v[10:11], v[31:32], v[33:34], v[10:11]
	v_fma_f64 v[15:16], v[25:26], v[33:34], v[16:17]
	v_fma_f64 v[17:18], v[27:28], v[33:34], v[18:19]
	v_fma_f64 v[13:14], -v[31:32], v[35:36], v[13:14]
	v_fma_f64 v[10:11], v[29:30], v[35:36], v[10:11]
	v_fma_f64 v[15:16], -v[27:28], v[35:36], v[15:16]
	v_fma_f64 v[17:18], v[25:26], v[35:36], v[17:18]
	s_waitcnt vmcnt(3)
	v_fma_f64 v[13:14], v[41:42], v[45:46], v[13:14]
	v_fma_f64 v[10:11], v[43:44], v[45:46], v[10:11]
	v_fma_f64 v[15:16], v[37:38], v[45:46], v[15:16]
	v_fma_f64 v[17:18], v[39:40], v[45:46], v[17:18]
	v_fma_f64 v[13:14], -v[43:44], v[47:48], v[13:14]
	v_fma_f64 v[10:11], v[41:42], v[47:48], v[10:11]
	v_fma_f64 v[15:16], -v[39:40], v[47:48], v[15:16]
	v_fma_f64 v[17:18], v[37:38], v[47:48], v[17:18]
	;; [unrolled: 9-line block ×3, first 2 shown]
	s_andn2_b32 exec_lo, exec_lo, s3
	s_cbranch_execnz .LBB234_7
; %bb.8:
	s_or_b32 exec_lo, exec_lo, s3
.LBB234_9:
	s_or_b32 exec_lo, exec_lo, s1
	s_cbranch_execz .LBB234_11
	s_branch .LBB234_16
.LBB234_10:
                                        ; implicit-def: $vgpr10_vgpr11
                                        ; implicit-def: $vgpr14_vgpr15
                                        ; implicit-def: $vgpr16_vgpr17
                                        ; implicit-def: $vgpr18_vgpr19
.LBB234_11:
	v_mov_b32_e32 v10, 0
	v_mov_b32_e32 v14, 0
	;; [unrolled: 1-line block ×8, first 2 shown]
	s_and_saveexec_b32 s1, s0
	s_cbranch_execz .LBB234_15
; %bb.12:
	v_mad_u64_u32 v[20:21], null, v12, 6, 5
	v_mov_b32_e32 v10, 0
	v_mov_b32_e32 v14, 0
	v_mov_b32_e32 v16, 0
	v_mov_b32_e32 v18, 0
	v_mov_b32_e32 v11, 0
	v_mov_b32_e32 v15, 0
	v_mov_b32_e32 v17, 0
	v_mov_b32_e32 v19, 0
	v_mov_b32_e32 v22, 0
	s_mov_b32 s0, 0
.LBB234_13:                             ; =>This Inner Loop Header: Depth=1
	v_ashrrev_i32_e32 v13, 31, v12
	v_add_nc_u32_e32 v21, -5, v20
	v_mov_b32_e32 v54, v22
	v_lshlrev_b64 v[25:26], 2, v[12:13]
	v_lshlrev_b64 v[27:28], 4, v[21:22]
	v_add_nc_u32_e32 v12, 8, v12
	v_add_co_u32 v25, vcc_lo, s10, v25
	v_add_co_ci_u32_e64 v26, null, s11, v26, vcc_lo
	v_add_co_u32 v29, vcc_lo, s12, v27
	v_add_co_ci_u32_e64 v30, null, s13, v28, vcc_lo
	global_load_dword v13, v[25:26], off
	v_add_nc_u32_e32 v25, -2, v20
	v_mov_b32_e32 v26, v22
	v_lshlrev_b64 v[25:26], 4, v[25:26]
	v_add_co_u32 v33, vcc_lo, s12, v25
	v_add_co_ci_u32_e64 v34, null, s13, v26, vcc_lo
	s_clause 0x1
	global_load_dwordx4 v[25:28], v[29:30], off offset:16
	global_load_dwordx4 v[29:32], v[29:30], off
	s_waitcnt vmcnt(2)
	v_subrev_nc_u32_e32 v13, s2, v13
	v_lshl_add_u32 v53, v13, 1, v13
	v_lshlrev_b64 v[35:36], 4, v[53:54]
	v_add_nc_u32_e32 v21, 1, v53
	v_lshlrev_b64 v[41:42], 4, v[21:22]
	v_add_co_u32 v37, vcc_lo, s14, v35
	v_add_co_ci_u32_e64 v38, null, s15, v36, vcc_lo
	global_load_dwordx4 v[33:36], v[33:34], off
	global_load_dwordx4 v[37:40], v[37:38], off
	v_add_nc_u32_e32 v21, -1, v20
	v_add_co_u32 v41, vcc_lo, s14, v41
	v_add_co_ci_u32_e64 v42, null, s15, v42, vcc_lo
	v_lshlrev_b64 v[43:44], 4, v[21:22]
	v_mov_b32_e32 v21, v22
	v_add_co_u32 v45, vcc_lo, s12, v43
	v_add_co_ci_u32_e64 v46, null, s13, v44, vcc_lo
	global_load_dwordx4 v[41:44], v[41:42], off
	global_load_dwordx4 v[45:48], v[45:46], off
	v_lshlrev_b64 v[49:50], 4, v[20:21]
	v_add_nc_u32_e32 v21, -3, v20
	v_add_nc_u32_e32 v20, 48, v20
	v_lshlrev_b64 v[54:55], 4, v[21:22]
	v_add_nc_u32_e32 v21, 2, v53
	v_add_co_u32 v49, vcc_lo, s12, v49
	v_add_co_ci_u32_e64 v50, null, s13, v50, vcc_lo
	v_lshlrev_b64 v[56:57], 4, v[21:22]
	v_add_co_u32 v53, vcc_lo, s12, v54
	v_add_co_ci_u32_e64 v54, null, s13, v55, vcc_lo
	global_load_dwordx4 v[49:52], v[49:50], off
	v_add_co_u32 v58, vcc_lo, s14, v56
	v_add_co_ci_u32_e64 v59, null, s15, v57, vcc_lo
	global_load_dwordx4 v[53:56], v[53:54], off
	global_load_dwordx4 v[57:60], v[58:59], off
	v_cmp_ge_i32_e32 vcc_lo, v12, v24
	s_or_b32 s0, vcc_lo, s0
	s_waitcnt vmcnt(5)
	v_fma_f64 v[13:14], v[29:30], v[37:38], v[14:15]
	v_fma_f64 v[10:11], v[31:32], v[37:38], v[10:11]
	;; [unrolled: 1-line block ×4, first 2 shown]
	v_fma_f64 v[13:14], -v[31:32], v[39:40], v[13:14]
	v_fma_f64 v[10:11], v[29:30], v[39:40], v[10:11]
	v_fma_f64 v[15:16], -v[35:36], v[39:40], v[15:16]
	v_fma_f64 v[17:18], v[33:34], v[39:40], v[17:18]
	s_waitcnt vmcnt(4)
	v_fma_f64 v[13:14], v[25:26], v[41:42], v[13:14]
	v_fma_f64 v[10:11], v[27:28], v[41:42], v[10:11]
	s_waitcnt vmcnt(3)
	v_fma_f64 v[15:16], v[45:46], v[41:42], v[15:16]
	v_fma_f64 v[17:18], v[47:48], v[41:42], v[17:18]
	v_fma_f64 v[13:14], -v[27:28], v[43:44], v[13:14]
	v_fma_f64 v[10:11], v[25:26], v[43:44], v[10:11]
	v_fma_f64 v[15:16], -v[47:48], v[43:44], v[15:16]
	v_fma_f64 v[17:18], v[45:46], v[43:44], v[17:18]
	s_waitcnt vmcnt(0)
	v_fma_f64 v[13:14], v[53:54], v[57:58], v[13:14]
	v_fma_f64 v[10:11], v[55:56], v[57:58], v[10:11]
	;; [unrolled: 1-line block ×4, first 2 shown]
	v_fma_f64 v[14:15], -v[55:56], v[59:60], v[13:14]
	v_fma_f64 v[10:11], v[53:54], v[59:60], v[10:11]
	v_fma_f64 v[16:17], -v[51:52], v[59:60], v[25:26]
	v_fma_f64 v[18:19], v[49:50], v[59:60], v[18:19]
	s_andn2_b32 exec_lo, exec_lo, s0
	s_cbranch_execnz .LBB234_13
; %bb.14:
	s_or_b32 exec_lo, exec_lo, s0
.LBB234_15:
	s_or_b32 exec_lo, exec_lo, s1
.LBB234_16:
	v_mbcnt_lo_u32_b32 v26, -1, 0
	v_xor_b32_e32 v12, 4, v26
	v_cmp_gt_i32_e32 vcc_lo, 32, v12
	v_cndmask_b32_e32 v12, v26, v12, vcc_lo
	v_lshlrev_b32_e32 v25, 2, v12
	ds_bpermute_b32 v12, v25, v14
	ds_bpermute_b32 v13, v25, v15
	;; [unrolled: 1-line block ×8, first 2 shown]
	s_waitcnt lgkmcnt(6)
	v_add_f64 v[12:13], v[14:15], v[12:13]
	s_waitcnt lgkmcnt(4)
	v_add_f64 v[14:15], v[10:11], v[20:21]
	v_xor_b32_e32 v10, 2, v26
	s_waitcnt lgkmcnt(2)
	v_add_f64 v[20:21], v[16:17], v[22:23]
	s_waitcnt lgkmcnt(0)
	v_add_f64 v[18:19], v[18:19], v[24:25]
	v_cmp_gt_i32_e32 vcc_lo, 32, v10
	v_cndmask_b32_e32 v10, v26, v10, vcc_lo
	v_lshlrev_b32_e32 v25, 2, v10
	ds_bpermute_b32 v10, v25, v12
	ds_bpermute_b32 v11, v25, v13
	;; [unrolled: 1-line block ×8, first 2 shown]
	s_waitcnt lgkmcnt(6)
	v_add_f64 v[10:11], v[12:13], v[10:11]
	s_waitcnt lgkmcnt(4)
	v_add_f64 v[16:17], v[14:15], v[16:17]
	;; [unrolled: 2-line block ×4, first 2 shown]
	v_xor_b32_e32 v18, 1, v26
	v_cmp_gt_i32_e32 vcc_lo, 32, v18
	v_cndmask_b32_e32 v18, v26, v18, vcc_lo
	v_cmp_eq_u32_e32 vcc_lo, 7, v0
	v_lshlrev_b32_e32 v21, 2, v18
	ds_bpermute_b32 v24, v21, v10
	ds_bpermute_b32 v25, v21, v11
	;; [unrolled: 1-line block ×8, first 2 shown]
	s_and_b32 exec_lo, exec_lo, vcc_lo
	s_cbranch_execz .LBB234_21
; %bb.17:
	v_cmp_eq_f64_e32 vcc_lo, 0, v[5:6]
	v_cmp_eq_f64_e64 s0, 0, v[7:8]
	s_waitcnt lgkmcnt(6)
	v_add_f64 v[10:11], v[10:11], v[24:25]
	s_waitcnt lgkmcnt(4)
	v_add_f64 v[16:17], v[16:17], v[22:23]
	;; [unrolled: 2-line block ×4, first 2 shown]
	s_load_dwordx2 s[2:3], s[4:5], 0x48
	s_and_b32 s0, vcc_lo, s0
	s_and_saveexec_b32 s1, s0
	s_xor_b32 s0, exec_lo, s1
	s_cbranch_execz .LBB234_19
; %bb.18:
	v_mul_f64 v[5:6], v[16:17], -v[3:4]
	v_mul_f64 v[7:8], v[1:2], v[16:17]
	v_mul_f64 v[16:17], v[14:15], -v[3:4]
	v_mul_f64 v[14:15], v[1:2], v[14:15]
	v_lshlrev_b32_e32 v9, 1, v9
	v_fma_f64 v[5:6], v[1:2], v[10:11], v[5:6]
	v_fma_f64 v[7:8], v[3:4], v[10:11], v[7:8]
	;; [unrolled: 1-line block ×4, first 2 shown]
	v_ashrrev_i32_e32 v10, 31, v9
                                        ; implicit-def: $vgpr16_vgpr17
                                        ; implicit-def: $vgpr12_vgpr13
                                        ; implicit-def: $vgpr14_vgpr15
	v_lshlrev_b64 v[9:10], 4, v[9:10]
	s_waitcnt lgkmcnt(0)
	v_add_co_u32 v9, vcc_lo, s2, v9
	v_add_co_ci_u32_e64 v10, null, s3, v10, vcc_lo
	global_store_dwordx4 v[9:10], v[5:8], off
	global_store_dwordx4 v[9:10], v[0:3], off offset:16
                                        ; implicit-def: $vgpr9
                                        ; implicit-def: $vgpr10_vgpr11
                                        ; implicit-def: $vgpr7_vgpr8
                                        ; implicit-def: $vgpr3_vgpr4
.LBB234_19:
	s_andn2_saveexec_b32 s0, s0
	s_cbranch_execz .LBB234_21
; %bb.20:
	v_lshlrev_b32_e32 v18, 1, v9
	v_mul_f64 v[28:29], v[16:17], -v[3:4]
	v_mul_f64 v[16:17], v[1:2], v[16:17]
	v_mul_f64 v[30:31], v[14:15], -v[3:4]
	v_mul_f64 v[14:15], v[1:2], v[14:15]
	v_ashrrev_i32_e32 v19, 31, v18
	v_lshlrev_b64 v[18:19], 4, v[18:19]
	s_waitcnt lgkmcnt(0)
	v_add_co_u32 v26, vcc_lo, s2, v18
	v_add_co_ci_u32_e64 v27, null, s3, v19, vcc_lo
	s_clause 0x1
	global_load_dwordx4 v[18:21], v[26:27], off
	global_load_dwordx4 v[22:25], v[26:27], off offset:16
	v_fma_f64 v[28:29], v[1:2], v[10:11], v[28:29]
	v_fma_f64 v[9:10], v[3:4], v[10:11], v[16:17]
	;; [unrolled: 1-line block ×4, first 2 shown]
	s_waitcnt vmcnt(1)
	v_fma_f64 v[11:12], v[5:6], v[18:19], v[28:29]
	v_fma_f64 v[9:10], v[7:8], v[18:19], v[9:10]
	s_waitcnt vmcnt(0)
	v_fma_f64 v[13:14], v[5:6], v[22:23], v[0:1]
	v_fma_f64 v[15:16], v[7:8], v[22:23], v[2:3]
	v_fma_f64 v[0:1], -v[7:8], v[20:21], v[11:12]
	v_fma_f64 v[2:3], v[5:6], v[20:21], v[9:10]
	v_fma_f64 v[7:8], -v[7:8], v[24:25], v[13:14]
	v_fma_f64 v[9:10], v[5:6], v[24:25], v[15:16]
	global_store_dwordx4 v[26:27], v[0:3], off
	global_store_dwordx4 v[26:27], v[7:10], off offset:16
.LBB234_21:
	s_endpgm
	.section	.rodata,"a",@progbits
	.p2align	6, 0x0
	.amdhsa_kernel _ZN9rocsparseL19gebsrmvn_2xn_kernelILj128ELj3ELj8E21rocsparse_complex_numIdEEEvi20rocsparse_direction_NS_24const_host_device_scalarIT2_EEPKiS8_PKS5_SA_S6_PS5_21rocsparse_index_base_b
		.amdhsa_group_segment_fixed_size 0
		.amdhsa_private_segment_fixed_size 0
		.amdhsa_kernarg_size 88
		.amdhsa_user_sgpr_count 6
		.amdhsa_user_sgpr_private_segment_buffer 1
		.amdhsa_user_sgpr_dispatch_ptr 0
		.amdhsa_user_sgpr_queue_ptr 0
		.amdhsa_user_sgpr_kernarg_segment_ptr 1
		.amdhsa_user_sgpr_dispatch_id 0
		.amdhsa_user_sgpr_flat_scratch_init 0
		.amdhsa_user_sgpr_private_segment_size 0
		.amdhsa_wavefront_size32 1
		.amdhsa_uses_dynamic_stack 0
		.amdhsa_system_sgpr_private_segment_wavefront_offset 0
		.amdhsa_system_sgpr_workgroup_id_x 1
		.amdhsa_system_sgpr_workgroup_id_y 0
		.amdhsa_system_sgpr_workgroup_id_z 0
		.amdhsa_system_sgpr_workgroup_info 0
		.amdhsa_system_vgpr_workitem_id 0
		.amdhsa_next_free_vgpr 61
		.amdhsa_next_free_sgpr 16
		.amdhsa_reserve_vcc 1
		.amdhsa_reserve_flat_scratch 0
		.amdhsa_float_round_mode_32 0
		.amdhsa_float_round_mode_16_64 0
		.amdhsa_float_denorm_mode_32 3
		.amdhsa_float_denorm_mode_16_64 3
		.amdhsa_dx10_clamp 1
		.amdhsa_ieee_mode 1
		.amdhsa_fp16_overflow 0
		.amdhsa_workgroup_processor_mode 1
		.amdhsa_memory_ordered 1
		.amdhsa_forward_progress 1
		.amdhsa_shared_vgpr_count 0
		.amdhsa_exception_fp_ieee_invalid_op 0
		.amdhsa_exception_fp_denorm_src 0
		.amdhsa_exception_fp_ieee_div_zero 0
		.amdhsa_exception_fp_ieee_overflow 0
		.amdhsa_exception_fp_ieee_underflow 0
		.amdhsa_exception_fp_ieee_inexact 0
		.amdhsa_exception_int_div_zero 0
	.end_amdhsa_kernel
	.section	.text._ZN9rocsparseL19gebsrmvn_2xn_kernelILj128ELj3ELj8E21rocsparse_complex_numIdEEEvi20rocsparse_direction_NS_24const_host_device_scalarIT2_EEPKiS8_PKS5_SA_S6_PS5_21rocsparse_index_base_b,"axG",@progbits,_ZN9rocsparseL19gebsrmvn_2xn_kernelILj128ELj3ELj8E21rocsparse_complex_numIdEEEvi20rocsparse_direction_NS_24const_host_device_scalarIT2_EEPKiS8_PKS5_SA_S6_PS5_21rocsparse_index_base_b,comdat
.Lfunc_end234:
	.size	_ZN9rocsparseL19gebsrmvn_2xn_kernelILj128ELj3ELj8E21rocsparse_complex_numIdEEEvi20rocsparse_direction_NS_24const_host_device_scalarIT2_EEPKiS8_PKS5_SA_S6_PS5_21rocsparse_index_base_b, .Lfunc_end234-_ZN9rocsparseL19gebsrmvn_2xn_kernelILj128ELj3ELj8E21rocsparse_complex_numIdEEEvi20rocsparse_direction_NS_24const_host_device_scalarIT2_EEPKiS8_PKS5_SA_S6_PS5_21rocsparse_index_base_b
                                        ; -- End function
	.set _ZN9rocsparseL19gebsrmvn_2xn_kernelILj128ELj3ELj8E21rocsparse_complex_numIdEEEvi20rocsparse_direction_NS_24const_host_device_scalarIT2_EEPKiS8_PKS5_SA_S6_PS5_21rocsparse_index_base_b.num_vgpr, 61
	.set _ZN9rocsparseL19gebsrmvn_2xn_kernelILj128ELj3ELj8E21rocsparse_complex_numIdEEEvi20rocsparse_direction_NS_24const_host_device_scalarIT2_EEPKiS8_PKS5_SA_S6_PS5_21rocsparse_index_base_b.num_agpr, 0
	.set _ZN9rocsparseL19gebsrmvn_2xn_kernelILj128ELj3ELj8E21rocsparse_complex_numIdEEEvi20rocsparse_direction_NS_24const_host_device_scalarIT2_EEPKiS8_PKS5_SA_S6_PS5_21rocsparse_index_base_b.numbered_sgpr, 16
	.set _ZN9rocsparseL19gebsrmvn_2xn_kernelILj128ELj3ELj8E21rocsparse_complex_numIdEEEvi20rocsparse_direction_NS_24const_host_device_scalarIT2_EEPKiS8_PKS5_SA_S6_PS5_21rocsparse_index_base_b.num_named_barrier, 0
	.set _ZN9rocsparseL19gebsrmvn_2xn_kernelILj128ELj3ELj8E21rocsparse_complex_numIdEEEvi20rocsparse_direction_NS_24const_host_device_scalarIT2_EEPKiS8_PKS5_SA_S6_PS5_21rocsparse_index_base_b.private_seg_size, 0
	.set _ZN9rocsparseL19gebsrmvn_2xn_kernelILj128ELj3ELj8E21rocsparse_complex_numIdEEEvi20rocsparse_direction_NS_24const_host_device_scalarIT2_EEPKiS8_PKS5_SA_S6_PS5_21rocsparse_index_base_b.uses_vcc, 1
	.set _ZN9rocsparseL19gebsrmvn_2xn_kernelILj128ELj3ELj8E21rocsparse_complex_numIdEEEvi20rocsparse_direction_NS_24const_host_device_scalarIT2_EEPKiS8_PKS5_SA_S6_PS5_21rocsparse_index_base_b.uses_flat_scratch, 0
	.set _ZN9rocsparseL19gebsrmvn_2xn_kernelILj128ELj3ELj8E21rocsparse_complex_numIdEEEvi20rocsparse_direction_NS_24const_host_device_scalarIT2_EEPKiS8_PKS5_SA_S6_PS5_21rocsparse_index_base_b.has_dyn_sized_stack, 0
	.set _ZN9rocsparseL19gebsrmvn_2xn_kernelILj128ELj3ELj8E21rocsparse_complex_numIdEEEvi20rocsparse_direction_NS_24const_host_device_scalarIT2_EEPKiS8_PKS5_SA_S6_PS5_21rocsparse_index_base_b.has_recursion, 0
	.set _ZN9rocsparseL19gebsrmvn_2xn_kernelILj128ELj3ELj8E21rocsparse_complex_numIdEEEvi20rocsparse_direction_NS_24const_host_device_scalarIT2_EEPKiS8_PKS5_SA_S6_PS5_21rocsparse_index_base_b.has_indirect_call, 0
	.section	.AMDGPU.csdata,"",@progbits
; Kernel info:
; codeLenInByte = 2392
; TotalNumSgprs: 18
; NumVgprs: 61
; ScratchSize: 0
; MemoryBound: 0
; FloatMode: 240
; IeeeMode: 1
; LDSByteSize: 0 bytes/workgroup (compile time only)
; SGPRBlocks: 0
; VGPRBlocks: 7
; NumSGPRsForWavesPerEU: 18
; NumVGPRsForWavesPerEU: 61
; Occupancy: 16
; WaveLimiterHint : 1
; COMPUTE_PGM_RSRC2:SCRATCH_EN: 0
; COMPUTE_PGM_RSRC2:USER_SGPR: 6
; COMPUTE_PGM_RSRC2:TRAP_HANDLER: 0
; COMPUTE_PGM_RSRC2:TGID_X_EN: 1
; COMPUTE_PGM_RSRC2:TGID_Y_EN: 0
; COMPUTE_PGM_RSRC2:TGID_Z_EN: 0
; COMPUTE_PGM_RSRC2:TIDIG_COMP_CNT: 0
	.section	.text._ZN9rocsparseL19gebsrmvn_2xn_kernelILj128ELj3ELj16E21rocsparse_complex_numIdEEEvi20rocsparse_direction_NS_24const_host_device_scalarIT2_EEPKiS8_PKS5_SA_S6_PS5_21rocsparse_index_base_b,"axG",@progbits,_ZN9rocsparseL19gebsrmvn_2xn_kernelILj128ELj3ELj16E21rocsparse_complex_numIdEEEvi20rocsparse_direction_NS_24const_host_device_scalarIT2_EEPKiS8_PKS5_SA_S6_PS5_21rocsparse_index_base_b,comdat
	.globl	_ZN9rocsparseL19gebsrmvn_2xn_kernelILj128ELj3ELj16E21rocsparse_complex_numIdEEEvi20rocsparse_direction_NS_24const_host_device_scalarIT2_EEPKiS8_PKS5_SA_S6_PS5_21rocsparse_index_base_b ; -- Begin function _ZN9rocsparseL19gebsrmvn_2xn_kernelILj128ELj3ELj16E21rocsparse_complex_numIdEEEvi20rocsparse_direction_NS_24const_host_device_scalarIT2_EEPKiS8_PKS5_SA_S6_PS5_21rocsparse_index_base_b
	.p2align	8
	.type	_ZN9rocsparseL19gebsrmvn_2xn_kernelILj128ELj3ELj16E21rocsparse_complex_numIdEEEvi20rocsparse_direction_NS_24const_host_device_scalarIT2_EEPKiS8_PKS5_SA_S6_PS5_21rocsparse_index_base_b,@function
_ZN9rocsparseL19gebsrmvn_2xn_kernelILj128ELj3ELj16E21rocsparse_complex_numIdEEEvi20rocsparse_direction_NS_24const_host_device_scalarIT2_EEPKiS8_PKS5_SA_S6_PS5_21rocsparse_index_base_b: ; @_ZN9rocsparseL19gebsrmvn_2xn_kernelILj128ELj3ELj16E21rocsparse_complex_numIdEEEvi20rocsparse_direction_NS_24const_host_device_scalarIT2_EEPKiS8_PKS5_SA_S6_PS5_21rocsparse_index_base_b
; %bb.0:
	s_clause 0x1
	s_load_dwordx2 s[2:3], s[4:5], 0x50
	s_load_dwordx2 s[0:1], s[4:5], 0x8
	s_add_u32 s7, s4, 8
	s_addc_u32 s10, s5, 0
	s_add_u32 s11, s4, 56
	s_addc_u32 s12, s5, 0
	s_load_dwordx2 s[8:9], s[4:5], 0x38
	s_waitcnt lgkmcnt(0)
	s_bitcmp1_b32 s3, 0
	s_cselect_b32 s0, s7, s0
	s_cselect_b32 s1, s10, s1
	v_mov_b32_e32 v1, s0
	v_mov_b32_e32 v2, s1
	s_cselect_b32 s0, s11, s8
	s_cselect_b32 s1, s12, s9
	v_mov_b32_e32 v5, s0
	v_mov_b32_e32 v6, s1
	flat_load_dwordx4 v[1:4], v[1:2]
	flat_load_dwordx4 v[5:8], v[5:6]
	s_waitcnt vmcnt(1) lgkmcnt(1)
	v_cmp_eq_f64_e32 vcc_lo, 0, v[1:2]
	v_cmp_eq_f64_e64 s0, 0, v[3:4]
	s_and_b32 s3, vcc_lo, s0
	s_mov_b32 s0, -1
	s_and_saveexec_b32 s1, s3
	s_cbranch_execz .LBB235_2
; %bb.1:
	s_waitcnt vmcnt(0) lgkmcnt(0)
	v_cmp_neq_f64_e32 vcc_lo, 1.0, v[5:6]
	v_cmp_neq_f64_e64 s0, 0, v[7:8]
	s_or_b32 s0, vcc_lo, s0
	s_orn2_b32 s0, s0, exec_lo
.LBB235_2:
	s_or_b32 exec_lo, exec_lo, s1
	s_and_saveexec_b32 s1, s0
	s_cbranch_execz .LBB235_21
; %bb.3:
	s_load_dwordx2 s[0:1], s[4:5], 0x0
	v_lshrrev_b32_e32 v9, 4, v0
	v_lshl_or_b32 v9, s6, 3, v9
	s_waitcnt lgkmcnt(0)
	v_cmp_gt_i32_e32 vcc_lo, s0, v9
	s_and_b32 exec_lo, exec_lo, vcc_lo
	s_cbranch_execz .LBB235_21
; %bb.4:
	s_load_dwordx8 s[8:15], s[4:5], 0x18
	v_ashrrev_i32_e32 v10, 31, v9
	v_and_b32_e32 v0, 15, v0
	s_cmp_lg_u32 s1, 0
	v_lshlrev_b64 v[10:11], 2, v[9:10]
	s_waitcnt lgkmcnt(0)
	v_add_co_u32 v10, vcc_lo, s8, v10
	v_add_co_ci_u32_e64 v11, null, s9, v11, vcc_lo
	global_load_dwordx2 v[10:11], v[10:11], off
	s_waitcnt vmcnt(0)
	v_subrev_nc_u32_e32 v10, s2, v10
	v_subrev_nc_u32_e32 v23, s2, v11
	v_add_nc_u32_e32 v18, v10, v0
	v_cmp_lt_i32_e64 s0, v18, v23
	s_cbranch_scc0 .LBB235_10
; %bb.5:
	v_mov_b32_e32 v10, 0
	v_mov_b32_e32 v12, 0
	;; [unrolled: 1-line block ×8, first 2 shown]
	s_and_saveexec_b32 s1, s0
	s_cbranch_execz .LBB235_9
; %bb.6:
	v_mul_lo_u32 v19, v18, 6
	v_mov_b32_e32 v10, 0
	v_mov_b32_e32 v12, 0
	;; [unrolled: 1-line block ×10, first 2 shown]
	s_mov_b32 s3, 0
.LBB235_7:                              ; =>This Inner Loop Header: Depth=1
	v_ashrrev_i32_e32 v22, 31, v21
	v_mov_b32_e32 v53, v20
	v_add_nc_u32_e32 v36, 2, v19
	v_mov_b32_e32 v37, v20
	v_mov_b32_e32 v41, v20
	v_lshlrev_b64 v[24:25], 2, v[21:22]
	v_add_nc_u32_e32 v48, 4, v19
	v_mov_b32_e32 v49, v20
	v_lshlrev_b64 v[36:37], 4, v[36:37]
	v_add_nc_u32_e32 v21, 16, v21
	v_add_co_u32 v24, vcc_lo, s10, v24
	v_add_co_ci_u32_e64 v25, null, s11, v25, vcc_lo
	v_lshlrev_b64 v[48:49], 4, v[48:49]
	global_load_dword v22, v[24:25], off
	v_lshlrev_b64 v[24:25], 4, v[19:20]
	v_add_nc_u32_e32 v19, 0x60, v19
	v_add_co_u32 v28, vcc_lo, s12, v24
	v_add_co_ci_u32_e64 v29, null, s13, v25, vcc_lo
	global_load_dwordx4 v[24:27], v[28:29], off offset:16
	s_waitcnt vmcnt(1)
	v_subrev_nc_u32_e32 v22, s2, v22
	v_lshl_add_u32 v52, v22, 1, v22
	v_lshlrev_b64 v[30:31], 4, v[52:53]
	v_add_nc_u32_e32 v40, 1, v52
	v_add_nc_u32_e32 v52, 2, v52
	v_lshlrev_b64 v[40:41], 4, v[40:41]
	v_add_co_u32 v32, vcc_lo, s14, v30
	v_add_co_ci_u32_e64 v33, null, s15, v31, vcc_lo
	v_add_co_u32 v42, vcc_lo, s12, v36
	global_load_dwordx4 v[28:31], v[28:29], off
	global_load_dwordx4 v[32:35], v[32:33], off
	v_add_co_ci_u32_e64 v43, null, s13, v37, vcc_lo
	v_add_co_u32 v44, vcc_lo, s14, v40
	v_add_co_ci_u32_e64 v45, null, s15, v41, vcc_lo
	s_clause 0x1
	global_load_dwordx4 v[36:39], v[42:43], off offset:16
	global_load_dwordx4 v[40:43], v[42:43], off
	global_load_dwordx4 v[44:47], v[44:45], off
	v_lshlrev_b64 v[52:53], 4, v[52:53]
	v_add_co_u32 v54, vcc_lo, s12, v48
	v_add_co_ci_u32_e64 v55, null, s13, v49, vcc_lo
	v_add_co_u32 v56, vcc_lo, s14, v52
	v_add_co_ci_u32_e64 v57, null, s15, v53, vcc_lo
	s_clause 0x1
	global_load_dwordx4 v[48:51], v[54:55], off offset:16
	global_load_dwordx4 v[52:55], v[54:55], off
	global_load_dwordx4 v[56:59], v[56:57], off
	v_cmp_ge_i32_e32 vcc_lo, v21, v23
	s_or_b32 s3, vcc_lo, s3
	s_waitcnt vmcnt(6)
	v_fma_f64 v[12:13], v[28:29], v[32:33], v[12:13]
	v_fma_f64 v[10:11], v[30:31], v[32:33], v[10:11]
	v_fma_f64 v[14:15], v[24:25], v[32:33], v[14:15]
	v_fma_f64 v[16:17], v[26:27], v[32:33], v[16:17]
	v_fma_f64 v[12:13], -v[30:31], v[34:35], v[12:13]
	v_fma_f64 v[10:11], v[28:29], v[34:35], v[10:11]
	v_fma_f64 v[14:15], -v[26:27], v[34:35], v[14:15]
	v_fma_f64 v[16:17], v[24:25], v[34:35], v[16:17]
	s_waitcnt vmcnt(3)
	v_fma_f64 v[12:13], v[40:41], v[44:45], v[12:13]
	v_fma_f64 v[10:11], v[42:43], v[44:45], v[10:11]
	v_fma_f64 v[14:15], v[36:37], v[44:45], v[14:15]
	v_fma_f64 v[16:17], v[38:39], v[44:45], v[16:17]
	v_fma_f64 v[12:13], -v[42:43], v[46:47], v[12:13]
	v_fma_f64 v[10:11], v[40:41], v[46:47], v[10:11]
	v_fma_f64 v[14:15], -v[38:39], v[46:47], v[14:15]
	v_fma_f64 v[16:17], v[36:37], v[46:47], v[16:17]
	;; [unrolled: 9-line block ×3, first 2 shown]
	s_andn2_b32 exec_lo, exec_lo, s3
	s_cbranch_execnz .LBB235_7
; %bb.8:
	s_or_b32 exec_lo, exec_lo, s3
.LBB235_9:
	s_or_b32 exec_lo, exec_lo, s1
	s_cbranch_execz .LBB235_11
	s_branch .LBB235_16
.LBB235_10:
                                        ; implicit-def: $vgpr10_vgpr11
                                        ; implicit-def: $vgpr12_vgpr13
                                        ; implicit-def: $vgpr14_vgpr15
                                        ; implicit-def: $vgpr16_vgpr17
.LBB235_11:
	v_mov_b32_e32 v10, 0
	v_mov_b32_e32 v12, 0
	;; [unrolled: 1-line block ×8, first 2 shown]
	s_and_saveexec_b32 s1, s0
	s_cbranch_execz .LBB235_15
; %bb.12:
	v_mad_u64_u32 v[20:21], null, v18, 6, 5
	v_mov_b32_e32 v10, 0
	v_mov_b32_e32 v12, 0
	;; [unrolled: 1-line block ×9, first 2 shown]
	s_mov_b32 s0, 0
.LBB235_13:                             ; =>This Inner Loop Header: Depth=1
	v_ashrrev_i32_e32 v19, 31, v18
	v_add_nc_u32_e32 v21, -5, v20
	v_mov_b32_e32 v53, v22
	v_lshlrev_b64 v[24:25], 2, v[18:19]
	v_lshlrev_b64 v[26:27], 4, v[21:22]
	v_add_nc_u32_e32 v18, 16, v18
	v_add_co_u32 v24, vcc_lo, s10, v24
	v_add_co_ci_u32_e64 v25, null, s11, v25, vcc_lo
	v_add_co_u32 v28, vcc_lo, s12, v26
	v_add_co_ci_u32_e64 v29, null, s13, v27, vcc_lo
	global_load_dword v19, v[24:25], off
	v_add_nc_u32_e32 v24, -2, v20
	v_mov_b32_e32 v25, v22
	v_lshlrev_b64 v[24:25], 4, v[24:25]
	v_add_co_u32 v32, vcc_lo, s12, v24
	v_add_co_ci_u32_e64 v33, null, s13, v25, vcc_lo
	s_clause 0x1
	global_load_dwordx4 v[24:27], v[28:29], off offset:16
	global_load_dwordx4 v[28:31], v[28:29], off
	s_waitcnt vmcnt(2)
	v_subrev_nc_u32_e32 v19, s2, v19
	v_lshl_add_u32 v52, v19, 1, v19
	v_lshlrev_b64 v[34:35], 4, v[52:53]
	v_add_nc_u32_e32 v21, 1, v52
	v_lshlrev_b64 v[40:41], 4, v[21:22]
	v_add_co_u32 v36, vcc_lo, s14, v34
	v_add_co_ci_u32_e64 v37, null, s15, v35, vcc_lo
	global_load_dwordx4 v[32:35], v[32:33], off
	global_load_dwordx4 v[36:39], v[36:37], off
	v_add_nc_u32_e32 v21, -1, v20
	v_add_co_u32 v40, vcc_lo, s14, v40
	v_add_co_ci_u32_e64 v41, null, s15, v41, vcc_lo
	v_lshlrev_b64 v[42:43], 4, v[21:22]
	v_mov_b32_e32 v21, v22
	v_add_co_u32 v44, vcc_lo, s12, v42
	v_add_co_ci_u32_e64 v45, null, s13, v43, vcc_lo
	global_load_dwordx4 v[40:43], v[40:41], off
	global_load_dwordx4 v[44:47], v[44:45], off
	v_lshlrev_b64 v[48:49], 4, v[20:21]
	v_add_nc_u32_e32 v21, -3, v20
	v_add_nc_u32_e32 v20, 0x60, v20
	v_lshlrev_b64 v[53:54], 4, v[21:22]
	v_add_nc_u32_e32 v21, 2, v52
	v_add_co_u32 v48, vcc_lo, s12, v48
	v_add_co_ci_u32_e64 v49, null, s13, v49, vcc_lo
	v_lshlrev_b64 v[55:56], 4, v[21:22]
	v_add_co_u32 v52, vcc_lo, s12, v53
	v_add_co_ci_u32_e64 v53, null, s13, v54, vcc_lo
	global_load_dwordx4 v[48:51], v[48:49], off
	v_add_co_u32 v57, vcc_lo, s14, v55
	v_add_co_ci_u32_e64 v58, null, s15, v56, vcc_lo
	global_load_dwordx4 v[52:55], v[52:53], off
	global_load_dwordx4 v[56:59], v[57:58], off
	v_cmp_ge_i32_e32 vcc_lo, v18, v23
	s_or_b32 s0, vcc_lo, s0
	s_waitcnt vmcnt(5)
	v_fma_f64 v[12:13], v[28:29], v[36:37], v[12:13]
	v_fma_f64 v[10:11], v[30:31], v[36:37], v[10:11]
	;; [unrolled: 1-line block ×4, first 2 shown]
	v_fma_f64 v[12:13], -v[30:31], v[38:39], v[12:13]
	v_fma_f64 v[10:11], v[28:29], v[38:39], v[10:11]
	v_fma_f64 v[14:15], -v[34:35], v[38:39], v[14:15]
	v_fma_f64 v[16:17], v[32:33], v[38:39], v[16:17]
	s_waitcnt vmcnt(4)
	v_fma_f64 v[12:13], v[24:25], v[40:41], v[12:13]
	v_fma_f64 v[10:11], v[26:27], v[40:41], v[10:11]
	s_waitcnt vmcnt(3)
	v_fma_f64 v[14:15], v[44:45], v[40:41], v[14:15]
	v_fma_f64 v[16:17], v[46:47], v[40:41], v[16:17]
	v_fma_f64 v[12:13], -v[26:27], v[42:43], v[12:13]
	v_fma_f64 v[10:11], v[24:25], v[42:43], v[10:11]
	v_fma_f64 v[14:15], -v[46:47], v[42:43], v[14:15]
	v_fma_f64 v[16:17], v[44:45], v[42:43], v[16:17]
	s_waitcnt vmcnt(0)
	v_fma_f64 v[12:13], v[52:53], v[56:57], v[12:13]
	v_fma_f64 v[10:11], v[54:55], v[56:57], v[10:11]
	;; [unrolled: 1-line block ×4, first 2 shown]
	v_fma_f64 v[12:13], -v[54:55], v[58:59], v[12:13]
	v_fma_f64 v[10:11], v[52:53], v[58:59], v[10:11]
	v_fma_f64 v[14:15], -v[50:51], v[58:59], v[14:15]
	v_fma_f64 v[16:17], v[48:49], v[58:59], v[16:17]
	s_andn2_b32 exec_lo, exec_lo, s0
	s_cbranch_execnz .LBB235_13
; %bb.14:
	s_or_b32 exec_lo, exec_lo, s0
.LBB235_15:
	s_or_b32 exec_lo, exec_lo, s1
.LBB235_16:
	v_mbcnt_lo_u32_b32 v26, -1, 0
	v_xor_b32_e32 v18, 8, v26
	v_cmp_gt_i32_e32 vcc_lo, 32, v18
	v_cndmask_b32_e32 v18, v26, v18, vcc_lo
	v_lshlrev_b32_e32 v25, 2, v18
	ds_bpermute_b32 v18, v25, v12
	ds_bpermute_b32 v19, v25, v13
	;; [unrolled: 1-line block ×8, first 2 shown]
	s_waitcnt lgkmcnt(6)
	v_add_f64 v[12:13], v[12:13], v[18:19]
	v_xor_b32_e32 v18, 4, v26
	s_waitcnt lgkmcnt(4)
	v_add_f64 v[10:11], v[10:11], v[20:21]
	s_waitcnt lgkmcnt(2)
	v_add_f64 v[14:15], v[14:15], v[22:23]
	;; [unrolled: 2-line block ×3, first 2 shown]
	v_cmp_gt_i32_e32 vcc_lo, 32, v18
	v_cndmask_b32_e32 v18, v26, v18, vcc_lo
	v_lshlrev_b32_e32 v25, 2, v18
	ds_bpermute_b32 v18, v25, v12
	ds_bpermute_b32 v19, v25, v13
	;; [unrolled: 1-line block ×8, first 2 shown]
	s_waitcnt lgkmcnt(6)
	v_add_f64 v[12:13], v[12:13], v[18:19]
	s_waitcnt lgkmcnt(4)
	v_add_f64 v[18:19], v[10:11], v[20:21]
	v_xor_b32_e32 v10, 2, v26
	s_waitcnt lgkmcnt(2)
	v_add_f64 v[14:15], v[14:15], v[22:23]
	s_waitcnt lgkmcnt(0)
	v_add_f64 v[20:21], v[16:17], v[24:25]
	v_cmp_gt_i32_e32 vcc_lo, 32, v10
	v_cndmask_b32_e32 v10, v26, v10, vcc_lo
	v_lshlrev_b32_e32 v25, 2, v10
	ds_bpermute_b32 v10, v25, v12
	ds_bpermute_b32 v11, v25, v13
	;; [unrolled: 1-line block ×8, first 2 shown]
	s_waitcnt lgkmcnt(6)
	v_add_f64 v[10:11], v[12:13], v[10:11]
	s_waitcnt lgkmcnt(4)
	v_add_f64 v[16:17], v[18:19], v[16:17]
	v_xor_b32_e32 v18, 1, v26
	s_waitcnt lgkmcnt(2)
	v_add_f64 v[12:13], v[14:15], v[22:23]
	s_waitcnt lgkmcnt(0)
	v_add_f64 v[14:15], v[20:21], v[24:25]
	v_cmp_gt_i32_e32 vcc_lo, 32, v18
	v_cndmask_b32_e32 v18, v26, v18, vcc_lo
	v_cmp_eq_u32_e32 vcc_lo, 15, v0
	v_lshlrev_b32_e32 v21, 2, v18
	ds_bpermute_b32 v24, v21, v10
	ds_bpermute_b32 v25, v21, v11
	;; [unrolled: 1-line block ×8, first 2 shown]
	s_and_b32 exec_lo, exec_lo, vcc_lo
	s_cbranch_execz .LBB235_21
; %bb.17:
	v_cmp_eq_f64_e32 vcc_lo, 0, v[5:6]
	v_cmp_eq_f64_e64 s0, 0, v[7:8]
	s_waitcnt lgkmcnt(6)
	v_add_f64 v[10:11], v[10:11], v[24:25]
	s_waitcnt lgkmcnt(4)
	v_add_f64 v[16:17], v[16:17], v[22:23]
	;; [unrolled: 2-line block ×4, first 2 shown]
	s_load_dwordx2 s[2:3], s[4:5], 0x48
	s_and_b32 s0, vcc_lo, s0
	s_and_saveexec_b32 s1, s0
	s_xor_b32 s0, exec_lo, s1
	s_cbranch_execz .LBB235_19
; %bb.18:
	v_mul_f64 v[5:6], v[16:17], -v[3:4]
	v_mul_f64 v[7:8], v[1:2], v[16:17]
	v_mul_f64 v[16:17], v[14:15], -v[3:4]
	v_mul_f64 v[14:15], v[1:2], v[14:15]
	v_lshlrev_b32_e32 v9, 1, v9
	v_fma_f64 v[5:6], v[1:2], v[10:11], v[5:6]
	v_fma_f64 v[7:8], v[3:4], v[10:11], v[7:8]
	;; [unrolled: 1-line block ×4, first 2 shown]
	v_ashrrev_i32_e32 v10, 31, v9
                                        ; implicit-def: $vgpr16_vgpr17
                                        ; implicit-def: $vgpr12_vgpr13
                                        ; implicit-def: $vgpr14_vgpr15
	v_lshlrev_b64 v[9:10], 4, v[9:10]
	s_waitcnt lgkmcnt(0)
	v_add_co_u32 v9, vcc_lo, s2, v9
	v_add_co_ci_u32_e64 v10, null, s3, v10, vcc_lo
	global_store_dwordx4 v[9:10], v[5:8], off
	global_store_dwordx4 v[9:10], v[0:3], off offset:16
                                        ; implicit-def: $vgpr9
                                        ; implicit-def: $vgpr10_vgpr11
                                        ; implicit-def: $vgpr7_vgpr8
                                        ; implicit-def: $vgpr3_vgpr4
.LBB235_19:
	s_andn2_saveexec_b32 s0, s0
	s_cbranch_execz .LBB235_21
; %bb.20:
	v_lshlrev_b32_e32 v18, 1, v9
	v_mul_f64 v[28:29], v[16:17], -v[3:4]
	v_mul_f64 v[16:17], v[1:2], v[16:17]
	v_mul_f64 v[30:31], v[14:15], -v[3:4]
	v_mul_f64 v[14:15], v[1:2], v[14:15]
	v_ashrrev_i32_e32 v19, 31, v18
	v_lshlrev_b64 v[18:19], 4, v[18:19]
	s_waitcnt lgkmcnt(0)
	v_add_co_u32 v26, vcc_lo, s2, v18
	v_add_co_ci_u32_e64 v27, null, s3, v19, vcc_lo
	s_clause 0x1
	global_load_dwordx4 v[18:21], v[26:27], off
	global_load_dwordx4 v[22:25], v[26:27], off offset:16
	v_fma_f64 v[28:29], v[1:2], v[10:11], v[28:29]
	v_fma_f64 v[9:10], v[3:4], v[10:11], v[16:17]
	;; [unrolled: 1-line block ×4, first 2 shown]
	s_waitcnt vmcnt(1)
	v_fma_f64 v[11:12], v[5:6], v[18:19], v[28:29]
	v_fma_f64 v[9:10], v[7:8], v[18:19], v[9:10]
	s_waitcnt vmcnt(0)
	v_fma_f64 v[13:14], v[5:6], v[22:23], v[0:1]
	v_fma_f64 v[15:16], v[7:8], v[22:23], v[2:3]
	v_fma_f64 v[0:1], -v[7:8], v[20:21], v[11:12]
	v_fma_f64 v[2:3], v[5:6], v[20:21], v[9:10]
	v_fma_f64 v[7:8], -v[7:8], v[24:25], v[13:14]
	v_fma_f64 v[9:10], v[5:6], v[24:25], v[15:16]
	global_store_dwordx4 v[26:27], v[0:3], off
	global_store_dwordx4 v[26:27], v[7:10], off offset:16
.LBB235_21:
	s_endpgm
	.section	.rodata,"a",@progbits
	.p2align	6, 0x0
	.amdhsa_kernel _ZN9rocsparseL19gebsrmvn_2xn_kernelILj128ELj3ELj16E21rocsparse_complex_numIdEEEvi20rocsparse_direction_NS_24const_host_device_scalarIT2_EEPKiS8_PKS5_SA_S6_PS5_21rocsparse_index_base_b
		.amdhsa_group_segment_fixed_size 0
		.amdhsa_private_segment_fixed_size 0
		.amdhsa_kernarg_size 88
		.amdhsa_user_sgpr_count 6
		.amdhsa_user_sgpr_private_segment_buffer 1
		.amdhsa_user_sgpr_dispatch_ptr 0
		.amdhsa_user_sgpr_queue_ptr 0
		.amdhsa_user_sgpr_kernarg_segment_ptr 1
		.amdhsa_user_sgpr_dispatch_id 0
		.amdhsa_user_sgpr_flat_scratch_init 0
		.amdhsa_user_sgpr_private_segment_size 0
		.amdhsa_wavefront_size32 1
		.amdhsa_uses_dynamic_stack 0
		.amdhsa_system_sgpr_private_segment_wavefront_offset 0
		.amdhsa_system_sgpr_workgroup_id_x 1
		.amdhsa_system_sgpr_workgroup_id_y 0
		.amdhsa_system_sgpr_workgroup_id_z 0
		.amdhsa_system_sgpr_workgroup_info 0
		.amdhsa_system_vgpr_workitem_id 0
		.amdhsa_next_free_vgpr 60
		.amdhsa_next_free_sgpr 16
		.amdhsa_reserve_vcc 1
		.amdhsa_reserve_flat_scratch 0
		.amdhsa_float_round_mode_32 0
		.amdhsa_float_round_mode_16_64 0
		.amdhsa_float_denorm_mode_32 3
		.amdhsa_float_denorm_mode_16_64 3
		.amdhsa_dx10_clamp 1
		.amdhsa_ieee_mode 1
		.amdhsa_fp16_overflow 0
		.amdhsa_workgroup_processor_mode 1
		.amdhsa_memory_ordered 1
		.amdhsa_forward_progress 1
		.amdhsa_shared_vgpr_count 0
		.amdhsa_exception_fp_ieee_invalid_op 0
		.amdhsa_exception_fp_denorm_src 0
		.amdhsa_exception_fp_ieee_div_zero 0
		.amdhsa_exception_fp_ieee_overflow 0
		.amdhsa_exception_fp_ieee_underflow 0
		.amdhsa_exception_fp_ieee_inexact 0
		.amdhsa_exception_int_div_zero 0
	.end_amdhsa_kernel
	.section	.text._ZN9rocsparseL19gebsrmvn_2xn_kernelILj128ELj3ELj16E21rocsparse_complex_numIdEEEvi20rocsparse_direction_NS_24const_host_device_scalarIT2_EEPKiS8_PKS5_SA_S6_PS5_21rocsparse_index_base_b,"axG",@progbits,_ZN9rocsparseL19gebsrmvn_2xn_kernelILj128ELj3ELj16E21rocsparse_complex_numIdEEEvi20rocsparse_direction_NS_24const_host_device_scalarIT2_EEPKiS8_PKS5_SA_S6_PS5_21rocsparse_index_base_b,comdat
.Lfunc_end235:
	.size	_ZN9rocsparseL19gebsrmvn_2xn_kernelILj128ELj3ELj16E21rocsparse_complex_numIdEEEvi20rocsparse_direction_NS_24const_host_device_scalarIT2_EEPKiS8_PKS5_SA_S6_PS5_21rocsparse_index_base_b, .Lfunc_end235-_ZN9rocsparseL19gebsrmvn_2xn_kernelILj128ELj3ELj16E21rocsparse_complex_numIdEEEvi20rocsparse_direction_NS_24const_host_device_scalarIT2_EEPKiS8_PKS5_SA_S6_PS5_21rocsparse_index_base_b
                                        ; -- End function
	.set _ZN9rocsparseL19gebsrmvn_2xn_kernelILj128ELj3ELj16E21rocsparse_complex_numIdEEEvi20rocsparse_direction_NS_24const_host_device_scalarIT2_EEPKiS8_PKS5_SA_S6_PS5_21rocsparse_index_base_b.num_vgpr, 60
	.set _ZN9rocsparseL19gebsrmvn_2xn_kernelILj128ELj3ELj16E21rocsparse_complex_numIdEEEvi20rocsparse_direction_NS_24const_host_device_scalarIT2_EEPKiS8_PKS5_SA_S6_PS5_21rocsparse_index_base_b.num_agpr, 0
	.set _ZN9rocsparseL19gebsrmvn_2xn_kernelILj128ELj3ELj16E21rocsparse_complex_numIdEEEvi20rocsparse_direction_NS_24const_host_device_scalarIT2_EEPKiS8_PKS5_SA_S6_PS5_21rocsparse_index_base_b.numbered_sgpr, 16
	.set _ZN9rocsparseL19gebsrmvn_2xn_kernelILj128ELj3ELj16E21rocsparse_complex_numIdEEEvi20rocsparse_direction_NS_24const_host_device_scalarIT2_EEPKiS8_PKS5_SA_S6_PS5_21rocsparse_index_base_b.num_named_barrier, 0
	.set _ZN9rocsparseL19gebsrmvn_2xn_kernelILj128ELj3ELj16E21rocsparse_complex_numIdEEEvi20rocsparse_direction_NS_24const_host_device_scalarIT2_EEPKiS8_PKS5_SA_S6_PS5_21rocsparse_index_base_b.private_seg_size, 0
	.set _ZN9rocsparseL19gebsrmvn_2xn_kernelILj128ELj3ELj16E21rocsparse_complex_numIdEEEvi20rocsparse_direction_NS_24const_host_device_scalarIT2_EEPKiS8_PKS5_SA_S6_PS5_21rocsparse_index_base_b.uses_vcc, 1
	.set _ZN9rocsparseL19gebsrmvn_2xn_kernelILj128ELj3ELj16E21rocsparse_complex_numIdEEEvi20rocsparse_direction_NS_24const_host_device_scalarIT2_EEPKiS8_PKS5_SA_S6_PS5_21rocsparse_index_base_b.uses_flat_scratch, 0
	.set _ZN9rocsparseL19gebsrmvn_2xn_kernelILj128ELj3ELj16E21rocsparse_complex_numIdEEEvi20rocsparse_direction_NS_24const_host_device_scalarIT2_EEPKiS8_PKS5_SA_S6_PS5_21rocsparse_index_base_b.has_dyn_sized_stack, 0
	.set _ZN9rocsparseL19gebsrmvn_2xn_kernelILj128ELj3ELj16E21rocsparse_complex_numIdEEEvi20rocsparse_direction_NS_24const_host_device_scalarIT2_EEPKiS8_PKS5_SA_S6_PS5_21rocsparse_index_base_b.has_recursion, 0
	.set _ZN9rocsparseL19gebsrmvn_2xn_kernelILj128ELj3ELj16E21rocsparse_complex_numIdEEEvi20rocsparse_direction_NS_24const_host_device_scalarIT2_EEPKiS8_PKS5_SA_S6_PS5_21rocsparse_index_base_b.has_indirect_call, 0
	.section	.AMDGPU.csdata,"",@progbits
; Kernel info:
; codeLenInByte = 2528
; TotalNumSgprs: 18
; NumVgprs: 60
; ScratchSize: 0
; MemoryBound: 0
; FloatMode: 240
; IeeeMode: 1
; LDSByteSize: 0 bytes/workgroup (compile time only)
; SGPRBlocks: 0
; VGPRBlocks: 7
; NumSGPRsForWavesPerEU: 18
; NumVGPRsForWavesPerEU: 60
; Occupancy: 16
; WaveLimiterHint : 1
; COMPUTE_PGM_RSRC2:SCRATCH_EN: 0
; COMPUTE_PGM_RSRC2:USER_SGPR: 6
; COMPUTE_PGM_RSRC2:TRAP_HANDLER: 0
; COMPUTE_PGM_RSRC2:TGID_X_EN: 1
; COMPUTE_PGM_RSRC2:TGID_Y_EN: 0
; COMPUTE_PGM_RSRC2:TGID_Z_EN: 0
; COMPUTE_PGM_RSRC2:TIDIG_COMP_CNT: 0
	.section	.text._ZN9rocsparseL19gebsrmvn_2xn_kernelILj128ELj3ELj32E21rocsparse_complex_numIdEEEvi20rocsparse_direction_NS_24const_host_device_scalarIT2_EEPKiS8_PKS5_SA_S6_PS5_21rocsparse_index_base_b,"axG",@progbits,_ZN9rocsparseL19gebsrmvn_2xn_kernelILj128ELj3ELj32E21rocsparse_complex_numIdEEEvi20rocsparse_direction_NS_24const_host_device_scalarIT2_EEPKiS8_PKS5_SA_S6_PS5_21rocsparse_index_base_b,comdat
	.globl	_ZN9rocsparseL19gebsrmvn_2xn_kernelILj128ELj3ELj32E21rocsparse_complex_numIdEEEvi20rocsparse_direction_NS_24const_host_device_scalarIT2_EEPKiS8_PKS5_SA_S6_PS5_21rocsparse_index_base_b ; -- Begin function _ZN9rocsparseL19gebsrmvn_2xn_kernelILj128ELj3ELj32E21rocsparse_complex_numIdEEEvi20rocsparse_direction_NS_24const_host_device_scalarIT2_EEPKiS8_PKS5_SA_S6_PS5_21rocsparse_index_base_b
	.p2align	8
	.type	_ZN9rocsparseL19gebsrmvn_2xn_kernelILj128ELj3ELj32E21rocsparse_complex_numIdEEEvi20rocsparse_direction_NS_24const_host_device_scalarIT2_EEPKiS8_PKS5_SA_S6_PS5_21rocsparse_index_base_b,@function
_ZN9rocsparseL19gebsrmvn_2xn_kernelILj128ELj3ELj32E21rocsparse_complex_numIdEEEvi20rocsparse_direction_NS_24const_host_device_scalarIT2_EEPKiS8_PKS5_SA_S6_PS5_21rocsparse_index_base_b: ; @_ZN9rocsparseL19gebsrmvn_2xn_kernelILj128ELj3ELj32E21rocsparse_complex_numIdEEEvi20rocsparse_direction_NS_24const_host_device_scalarIT2_EEPKiS8_PKS5_SA_S6_PS5_21rocsparse_index_base_b
; %bb.0:
	s_clause 0x1
	s_load_dwordx2 s[2:3], s[4:5], 0x50
	s_load_dwordx2 s[0:1], s[4:5], 0x8
	s_add_u32 s7, s4, 8
	s_addc_u32 s10, s5, 0
	s_add_u32 s11, s4, 56
	s_addc_u32 s12, s5, 0
	s_load_dwordx2 s[8:9], s[4:5], 0x38
	s_waitcnt lgkmcnt(0)
	s_bitcmp1_b32 s3, 0
	s_cselect_b32 s0, s7, s0
	s_cselect_b32 s1, s10, s1
	v_mov_b32_e32 v1, s0
	v_mov_b32_e32 v2, s1
	s_cselect_b32 s0, s11, s8
	s_cselect_b32 s1, s12, s9
	v_mov_b32_e32 v5, s0
	v_mov_b32_e32 v6, s1
	flat_load_dwordx4 v[1:4], v[1:2]
	flat_load_dwordx4 v[5:8], v[5:6]
	s_waitcnt vmcnt(1) lgkmcnt(1)
	v_cmp_eq_f64_e32 vcc_lo, 0, v[1:2]
	v_cmp_eq_f64_e64 s0, 0, v[3:4]
	s_and_b32 s3, vcc_lo, s0
	s_mov_b32 s0, -1
	s_and_saveexec_b32 s1, s3
	s_cbranch_execz .LBB236_2
; %bb.1:
	s_waitcnt vmcnt(0) lgkmcnt(0)
	v_cmp_neq_f64_e32 vcc_lo, 1.0, v[5:6]
	v_cmp_neq_f64_e64 s0, 0, v[7:8]
	s_or_b32 s0, vcc_lo, s0
	s_orn2_b32 s0, s0, exec_lo
.LBB236_2:
	s_or_b32 exec_lo, exec_lo, s1
	s_and_saveexec_b32 s1, s0
	s_cbranch_execz .LBB236_21
; %bb.3:
	s_load_dwordx2 s[0:1], s[4:5], 0x0
	v_lshrrev_b32_e32 v9, 5, v0
	v_lshl_or_b32 v9, s6, 2, v9
	s_waitcnt lgkmcnt(0)
	v_cmp_gt_i32_e32 vcc_lo, s0, v9
	s_and_b32 exec_lo, exec_lo, vcc_lo
	s_cbranch_execz .LBB236_21
; %bb.4:
	s_load_dwordx8 s[8:15], s[4:5], 0x18
	v_ashrrev_i32_e32 v10, 31, v9
	v_and_b32_e32 v0, 31, v0
	s_cmp_lg_u32 s1, 0
	v_lshlrev_b64 v[10:11], 2, v[9:10]
	s_waitcnt lgkmcnt(0)
	v_add_co_u32 v10, vcc_lo, s8, v10
	v_add_co_ci_u32_e64 v11, null, s9, v11, vcc_lo
	global_load_dwordx2 v[10:11], v[10:11], off
	s_waitcnt vmcnt(0)
	v_subrev_nc_u32_e32 v10, s2, v10
	v_subrev_nc_u32_e32 v23, s2, v11
	v_add_nc_u32_e32 v18, v10, v0
	v_cmp_lt_i32_e64 s0, v18, v23
	s_cbranch_scc0 .LBB236_10
; %bb.5:
	v_mov_b32_e32 v10, 0
	v_mov_b32_e32 v12, 0
	;; [unrolled: 1-line block ×8, first 2 shown]
	s_and_saveexec_b32 s1, s0
	s_cbranch_execz .LBB236_9
; %bb.6:
	v_mul_lo_u32 v19, v18, 6
	v_mov_b32_e32 v10, 0
	v_mov_b32_e32 v12, 0
	;; [unrolled: 1-line block ×10, first 2 shown]
	s_mov_b32 s3, 0
.LBB236_7:                              ; =>This Inner Loop Header: Depth=1
	v_ashrrev_i32_e32 v22, 31, v21
	v_mov_b32_e32 v53, v20
	v_add_nc_u32_e32 v36, 2, v19
	v_mov_b32_e32 v37, v20
	v_mov_b32_e32 v41, v20
	v_lshlrev_b64 v[24:25], 2, v[21:22]
	v_add_nc_u32_e32 v48, 4, v19
	v_mov_b32_e32 v49, v20
	v_lshlrev_b64 v[36:37], 4, v[36:37]
	v_add_nc_u32_e32 v21, 32, v21
	v_add_co_u32 v24, vcc_lo, s10, v24
	v_add_co_ci_u32_e64 v25, null, s11, v25, vcc_lo
	v_lshlrev_b64 v[48:49], 4, v[48:49]
	global_load_dword v22, v[24:25], off
	v_lshlrev_b64 v[24:25], 4, v[19:20]
	v_add_nc_u32_e32 v19, 0xc0, v19
	v_add_co_u32 v28, vcc_lo, s12, v24
	v_add_co_ci_u32_e64 v29, null, s13, v25, vcc_lo
	global_load_dwordx4 v[24:27], v[28:29], off offset:16
	s_waitcnt vmcnt(1)
	v_subrev_nc_u32_e32 v22, s2, v22
	v_lshl_add_u32 v52, v22, 1, v22
	v_lshlrev_b64 v[30:31], 4, v[52:53]
	v_add_nc_u32_e32 v40, 1, v52
	v_add_nc_u32_e32 v52, 2, v52
	v_lshlrev_b64 v[40:41], 4, v[40:41]
	v_add_co_u32 v32, vcc_lo, s14, v30
	v_add_co_ci_u32_e64 v33, null, s15, v31, vcc_lo
	v_add_co_u32 v42, vcc_lo, s12, v36
	global_load_dwordx4 v[28:31], v[28:29], off
	global_load_dwordx4 v[32:35], v[32:33], off
	v_add_co_ci_u32_e64 v43, null, s13, v37, vcc_lo
	v_add_co_u32 v44, vcc_lo, s14, v40
	v_add_co_ci_u32_e64 v45, null, s15, v41, vcc_lo
	s_clause 0x1
	global_load_dwordx4 v[36:39], v[42:43], off offset:16
	global_load_dwordx4 v[40:43], v[42:43], off
	global_load_dwordx4 v[44:47], v[44:45], off
	v_lshlrev_b64 v[52:53], 4, v[52:53]
	v_add_co_u32 v54, vcc_lo, s12, v48
	v_add_co_ci_u32_e64 v55, null, s13, v49, vcc_lo
	v_add_co_u32 v56, vcc_lo, s14, v52
	v_add_co_ci_u32_e64 v57, null, s15, v53, vcc_lo
	s_clause 0x1
	global_load_dwordx4 v[48:51], v[54:55], off offset:16
	global_load_dwordx4 v[52:55], v[54:55], off
	global_load_dwordx4 v[56:59], v[56:57], off
	v_cmp_ge_i32_e32 vcc_lo, v21, v23
	s_or_b32 s3, vcc_lo, s3
	s_waitcnt vmcnt(6)
	v_fma_f64 v[12:13], v[28:29], v[32:33], v[12:13]
	v_fma_f64 v[10:11], v[30:31], v[32:33], v[10:11]
	v_fma_f64 v[14:15], v[24:25], v[32:33], v[14:15]
	v_fma_f64 v[16:17], v[26:27], v[32:33], v[16:17]
	v_fma_f64 v[12:13], -v[30:31], v[34:35], v[12:13]
	v_fma_f64 v[10:11], v[28:29], v[34:35], v[10:11]
	v_fma_f64 v[14:15], -v[26:27], v[34:35], v[14:15]
	v_fma_f64 v[16:17], v[24:25], v[34:35], v[16:17]
	s_waitcnt vmcnt(3)
	v_fma_f64 v[12:13], v[40:41], v[44:45], v[12:13]
	v_fma_f64 v[10:11], v[42:43], v[44:45], v[10:11]
	v_fma_f64 v[14:15], v[36:37], v[44:45], v[14:15]
	v_fma_f64 v[16:17], v[38:39], v[44:45], v[16:17]
	v_fma_f64 v[12:13], -v[42:43], v[46:47], v[12:13]
	v_fma_f64 v[10:11], v[40:41], v[46:47], v[10:11]
	v_fma_f64 v[14:15], -v[38:39], v[46:47], v[14:15]
	v_fma_f64 v[16:17], v[36:37], v[46:47], v[16:17]
	;; [unrolled: 9-line block ×3, first 2 shown]
	s_andn2_b32 exec_lo, exec_lo, s3
	s_cbranch_execnz .LBB236_7
; %bb.8:
	s_or_b32 exec_lo, exec_lo, s3
.LBB236_9:
	s_or_b32 exec_lo, exec_lo, s1
	s_cbranch_execz .LBB236_11
	s_branch .LBB236_16
.LBB236_10:
                                        ; implicit-def: $vgpr10_vgpr11
                                        ; implicit-def: $vgpr12_vgpr13
                                        ; implicit-def: $vgpr14_vgpr15
                                        ; implicit-def: $vgpr16_vgpr17
.LBB236_11:
	v_mov_b32_e32 v10, 0
	v_mov_b32_e32 v12, 0
	;; [unrolled: 1-line block ×8, first 2 shown]
	s_and_saveexec_b32 s1, s0
	s_cbranch_execz .LBB236_15
; %bb.12:
	v_mad_u64_u32 v[20:21], null, v18, 6, 5
	v_mov_b32_e32 v10, 0
	v_mov_b32_e32 v12, 0
	;; [unrolled: 1-line block ×9, first 2 shown]
	s_mov_b32 s0, 0
.LBB236_13:                             ; =>This Inner Loop Header: Depth=1
	v_ashrrev_i32_e32 v19, 31, v18
	v_add_nc_u32_e32 v21, -5, v20
	v_mov_b32_e32 v53, v22
	v_lshlrev_b64 v[24:25], 2, v[18:19]
	v_lshlrev_b64 v[26:27], 4, v[21:22]
	v_add_nc_u32_e32 v18, 32, v18
	v_add_co_u32 v24, vcc_lo, s10, v24
	v_add_co_ci_u32_e64 v25, null, s11, v25, vcc_lo
	v_add_co_u32 v28, vcc_lo, s12, v26
	v_add_co_ci_u32_e64 v29, null, s13, v27, vcc_lo
	global_load_dword v19, v[24:25], off
	v_add_nc_u32_e32 v24, -2, v20
	v_mov_b32_e32 v25, v22
	v_lshlrev_b64 v[24:25], 4, v[24:25]
	v_add_co_u32 v32, vcc_lo, s12, v24
	v_add_co_ci_u32_e64 v33, null, s13, v25, vcc_lo
	s_clause 0x1
	global_load_dwordx4 v[24:27], v[28:29], off offset:16
	global_load_dwordx4 v[28:31], v[28:29], off
	s_waitcnt vmcnt(2)
	v_subrev_nc_u32_e32 v19, s2, v19
	v_lshl_add_u32 v52, v19, 1, v19
	v_lshlrev_b64 v[34:35], 4, v[52:53]
	v_add_nc_u32_e32 v21, 1, v52
	v_lshlrev_b64 v[40:41], 4, v[21:22]
	v_add_co_u32 v36, vcc_lo, s14, v34
	v_add_co_ci_u32_e64 v37, null, s15, v35, vcc_lo
	global_load_dwordx4 v[32:35], v[32:33], off
	global_load_dwordx4 v[36:39], v[36:37], off
	v_add_nc_u32_e32 v21, -1, v20
	v_add_co_u32 v40, vcc_lo, s14, v40
	v_add_co_ci_u32_e64 v41, null, s15, v41, vcc_lo
	v_lshlrev_b64 v[42:43], 4, v[21:22]
	v_mov_b32_e32 v21, v22
	v_add_co_u32 v44, vcc_lo, s12, v42
	v_add_co_ci_u32_e64 v45, null, s13, v43, vcc_lo
	global_load_dwordx4 v[40:43], v[40:41], off
	global_load_dwordx4 v[44:47], v[44:45], off
	v_lshlrev_b64 v[48:49], 4, v[20:21]
	v_add_nc_u32_e32 v21, -3, v20
	v_add_nc_u32_e32 v20, 0xc0, v20
	v_lshlrev_b64 v[53:54], 4, v[21:22]
	v_add_nc_u32_e32 v21, 2, v52
	v_add_co_u32 v48, vcc_lo, s12, v48
	v_add_co_ci_u32_e64 v49, null, s13, v49, vcc_lo
	v_lshlrev_b64 v[55:56], 4, v[21:22]
	v_add_co_u32 v52, vcc_lo, s12, v53
	v_add_co_ci_u32_e64 v53, null, s13, v54, vcc_lo
	global_load_dwordx4 v[48:51], v[48:49], off
	v_add_co_u32 v57, vcc_lo, s14, v55
	v_add_co_ci_u32_e64 v58, null, s15, v56, vcc_lo
	global_load_dwordx4 v[52:55], v[52:53], off
	global_load_dwordx4 v[56:59], v[57:58], off
	v_cmp_ge_i32_e32 vcc_lo, v18, v23
	s_or_b32 s0, vcc_lo, s0
	s_waitcnt vmcnt(5)
	v_fma_f64 v[12:13], v[28:29], v[36:37], v[12:13]
	v_fma_f64 v[10:11], v[30:31], v[36:37], v[10:11]
	;; [unrolled: 1-line block ×4, first 2 shown]
	v_fma_f64 v[12:13], -v[30:31], v[38:39], v[12:13]
	v_fma_f64 v[10:11], v[28:29], v[38:39], v[10:11]
	v_fma_f64 v[14:15], -v[34:35], v[38:39], v[14:15]
	v_fma_f64 v[16:17], v[32:33], v[38:39], v[16:17]
	s_waitcnt vmcnt(4)
	v_fma_f64 v[12:13], v[24:25], v[40:41], v[12:13]
	v_fma_f64 v[10:11], v[26:27], v[40:41], v[10:11]
	s_waitcnt vmcnt(3)
	v_fma_f64 v[14:15], v[44:45], v[40:41], v[14:15]
	v_fma_f64 v[16:17], v[46:47], v[40:41], v[16:17]
	v_fma_f64 v[12:13], -v[26:27], v[42:43], v[12:13]
	v_fma_f64 v[10:11], v[24:25], v[42:43], v[10:11]
	v_fma_f64 v[14:15], -v[46:47], v[42:43], v[14:15]
	v_fma_f64 v[16:17], v[44:45], v[42:43], v[16:17]
	s_waitcnt vmcnt(0)
	v_fma_f64 v[12:13], v[52:53], v[56:57], v[12:13]
	v_fma_f64 v[10:11], v[54:55], v[56:57], v[10:11]
	;; [unrolled: 1-line block ×4, first 2 shown]
	v_fma_f64 v[12:13], -v[54:55], v[58:59], v[12:13]
	v_fma_f64 v[10:11], v[52:53], v[58:59], v[10:11]
	v_fma_f64 v[14:15], -v[50:51], v[58:59], v[14:15]
	v_fma_f64 v[16:17], v[48:49], v[58:59], v[16:17]
	s_andn2_b32 exec_lo, exec_lo, s0
	s_cbranch_execnz .LBB236_13
; %bb.14:
	s_or_b32 exec_lo, exec_lo, s0
.LBB236_15:
	s_or_b32 exec_lo, exec_lo, s1
.LBB236_16:
	v_mbcnt_lo_u32_b32 v26, -1, 0
	v_xor_b32_e32 v18, 16, v26
	v_cmp_gt_i32_e32 vcc_lo, 32, v18
	v_cndmask_b32_e32 v18, v26, v18, vcc_lo
	v_lshlrev_b32_e32 v25, 2, v18
	ds_bpermute_b32 v18, v25, v12
	ds_bpermute_b32 v19, v25, v13
	;; [unrolled: 1-line block ×8, first 2 shown]
	s_waitcnt lgkmcnt(6)
	v_add_f64 v[12:13], v[12:13], v[18:19]
	v_xor_b32_e32 v18, 8, v26
	s_waitcnt lgkmcnt(4)
	v_add_f64 v[10:11], v[10:11], v[20:21]
	s_waitcnt lgkmcnt(2)
	v_add_f64 v[14:15], v[14:15], v[22:23]
	;; [unrolled: 2-line block ×3, first 2 shown]
	v_cmp_gt_i32_e32 vcc_lo, 32, v18
	v_cndmask_b32_e32 v18, v26, v18, vcc_lo
	v_lshlrev_b32_e32 v25, 2, v18
	ds_bpermute_b32 v18, v25, v12
	ds_bpermute_b32 v19, v25, v13
	;; [unrolled: 1-line block ×8, first 2 shown]
	s_waitcnt lgkmcnt(6)
	v_add_f64 v[12:13], v[12:13], v[18:19]
	v_xor_b32_e32 v18, 4, v26
	s_waitcnt lgkmcnt(4)
	v_add_f64 v[10:11], v[10:11], v[20:21]
	s_waitcnt lgkmcnt(2)
	v_add_f64 v[14:15], v[14:15], v[22:23]
	;; [unrolled: 2-line block ×3, first 2 shown]
	v_cmp_gt_i32_e32 vcc_lo, 32, v18
	v_cndmask_b32_e32 v18, v26, v18, vcc_lo
	v_lshlrev_b32_e32 v25, 2, v18
	ds_bpermute_b32 v18, v25, v12
	ds_bpermute_b32 v19, v25, v13
	;; [unrolled: 1-line block ×8, first 2 shown]
	s_waitcnt lgkmcnt(6)
	v_add_f64 v[12:13], v[12:13], v[18:19]
	s_waitcnt lgkmcnt(4)
	v_add_f64 v[18:19], v[10:11], v[20:21]
	v_xor_b32_e32 v10, 2, v26
	s_waitcnt lgkmcnt(2)
	v_add_f64 v[14:15], v[14:15], v[22:23]
	s_waitcnt lgkmcnt(0)
	v_add_f64 v[20:21], v[16:17], v[24:25]
	v_cmp_gt_i32_e32 vcc_lo, 32, v10
	v_cndmask_b32_e32 v10, v26, v10, vcc_lo
	v_lshlrev_b32_e32 v25, 2, v10
	ds_bpermute_b32 v10, v25, v12
	ds_bpermute_b32 v11, v25, v13
	;; [unrolled: 1-line block ×8, first 2 shown]
	s_waitcnt lgkmcnt(6)
	v_add_f64 v[10:11], v[12:13], v[10:11]
	s_waitcnt lgkmcnt(4)
	v_add_f64 v[16:17], v[18:19], v[16:17]
	v_xor_b32_e32 v18, 1, v26
	s_waitcnt lgkmcnt(2)
	v_add_f64 v[12:13], v[14:15], v[22:23]
	s_waitcnt lgkmcnt(0)
	v_add_f64 v[14:15], v[20:21], v[24:25]
	v_cmp_gt_i32_e32 vcc_lo, 32, v18
	v_cndmask_b32_e32 v18, v26, v18, vcc_lo
	v_cmp_eq_u32_e32 vcc_lo, 31, v0
	v_lshlrev_b32_e32 v21, 2, v18
	ds_bpermute_b32 v24, v21, v10
	ds_bpermute_b32 v25, v21, v11
	;; [unrolled: 1-line block ×8, first 2 shown]
	s_and_b32 exec_lo, exec_lo, vcc_lo
	s_cbranch_execz .LBB236_21
; %bb.17:
	v_cmp_eq_f64_e32 vcc_lo, 0, v[5:6]
	v_cmp_eq_f64_e64 s0, 0, v[7:8]
	s_waitcnt lgkmcnt(6)
	v_add_f64 v[10:11], v[10:11], v[24:25]
	s_waitcnt lgkmcnt(4)
	v_add_f64 v[16:17], v[16:17], v[22:23]
	;; [unrolled: 2-line block ×4, first 2 shown]
	s_load_dwordx2 s[2:3], s[4:5], 0x48
	s_and_b32 s0, vcc_lo, s0
	s_and_saveexec_b32 s1, s0
	s_xor_b32 s0, exec_lo, s1
	s_cbranch_execz .LBB236_19
; %bb.18:
	v_mul_f64 v[5:6], v[16:17], -v[3:4]
	v_mul_f64 v[7:8], v[1:2], v[16:17]
	v_mul_f64 v[16:17], v[14:15], -v[3:4]
	v_mul_f64 v[14:15], v[1:2], v[14:15]
	v_lshlrev_b32_e32 v9, 1, v9
	v_fma_f64 v[5:6], v[1:2], v[10:11], v[5:6]
	v_fma_f64 v[7:8], v[3:4], v[10:11], v[7:8]
	;; [unrolled: 1-line block ×4, first 2 shown]
	v_ashrrev_i32_e32 v10, 31, v9
                                        ; implicit-def: $vgpr16_vgpr17
                                        ; implicit-def: $vgpr12_vgpr13
                                        ; implicit-def: $vgpr14_vgpr15
	v_lshlrev_b64 v[9:10], 4, v[9:10]
	s_waitcnt lgkmcnt(0)
	v_add_co_u32 v9, vcc_lo, s2, v9
	v_add_co_ci_u32_e64 v10, null, s3, v10, vcc_lo
	global_store_dwordx4 v[9:10], v[5:8], off
	global_store_dwordx4 v[9:10], v[0:3], off offset:16
                                        ; implicit-def: $vgpr9
                                        ; implicit-def: $vgpr10_vgpr11
                                        ; implicit-def: $vgpr7_vgpr8
                                        ; implicit-def: $vgpr3_vgpr4
.LBB236_19:
	s_andn2_saveexec_b32 s0, s0
	s_cbranch_execz .LBB236_21
; %bb.20:
	v_lshlrev_b32_e32 v18, 1, v9
	v_mul_f64 v[28:29], v[16:17], -v[3:4]
	v_mul_f64 v[16:17], v[1:2], v[16:17]
	v_mul_f64 v[30:31], v[14:15], -v[3:4]
	v_mul_f64 v[14:15], v[1:2], v[14:15]
	v_ashrrev_i32_e32 v19, 31, v18
	v_lshlrev_b64 v[18:19], 4, v[18:19]
	s_waitcnt lgkmcnt(0)
	v_add_co_u32 v26, vcc_lo, s2, v18
	v_add_co_ci_u32_e64 v27, null, s3, v19, vcc_lo
	s_clause 0x1
	global_load_dwordx4 v[18:21], v[26:27], off
	global_load_dwordx4 v[22:25], v[26:27], off offset:16
	v_fma_f64 v[28:29], v[1:2], v[10:11], v[28:29]
	v_fma_f64 v[9:10], v[3:4], v[10:11], v[16:17]
	;; [unrolled: 1-line block ×4, first 2 shown]
	s_waitcnt vmcnt(1)
	v_fma_f64 v[11:12], v[5:6], v[18:19], v[28:29]
	v_fma_f64 v[9:10], v[7:8], v[18:19], v[9:10]
	s_waitcnt vmcnt(0)
	v_fma_f64 v[13:14], v[5:6], v[22:23], v[0:1]
	v_fma_f64 v[15:16], v[7:8], v[22:23], v[2:3]
	v_fma_f64 v[0:1], -v[7:8], v[20:21], v[11:12]
	v_fma_f64 v[2:3], v[5:6], v[20:21], v[9:10]
	v_fma_f64 v[7:8], -v[7:8], v[24:25], v[13:14]
	v_fma_f64 v[9:10], v[5:6], v[24:25], v[15:16]
	global_store_dwordx4 v[26:27], v[0:3], off
	global_store_dwordx4 v[26:27], v[7:10], off offset:16
.LBB236_21:
	s_endpgm
	.section	.rodata,"a",@progbits
	.p2align	6, 0x0
	.amdhsa_kernel _ZN9rocsparseL19gebsrmvn_2xn_kernelILj128ELj3ELj32E21rocsparse_complex_numIdEEEvi20rocsparse_direction_NS_24const_host_device_scalarIT2_EEPKiS8_PKS5_SA_S6_PS5_21rocsparse_index_base_b
		.amdhsa_group_segment_fixed_size 0
		.amdhsa_private_segment_fixed_size 0
		.amdhsa_kernarg_size 88
		.amdhsa_user_sgpr_count 6
		.amdhsa_user_sgpr_private_segment_buffer 1
		.amdhsa_user_sgpr_dispatch_ptr 0
		.amdhsa_user_sgpr_queue_ptr 0
		.amdhsa_user_sgpr_kernarg_segment_ptr 1
		.amdhsa_user_sgpr_dispatch_id 0
		.amdhsa_user_sgpr_flat_scratch_init 0
		.amdhsa_user_sgpr_private_segment_size 0
		.amdhsa_wavefront_size32 1
		.amdhsa_uses_dynamic_stack 0
		.amdhsa_system_sgpr_private_segment_wavefront_offset 0
		.amdhsa_system_sgpr_workgroup_id_x 1
		.amdhsa_system_sgpr_workgroup_id_y 0
		.amdhsa_system_sgpr_workgroup_id_z 0
		.amdhsa_system_sgpr_workgroup_info 0
		.amdhsa_system_vgpr_workitem_id 0
		.amdhsa_next_free_vgpr 60
		.amdhsa_next_free_sgpr 16
		.amdhsa_reserve_vcc 1
		.amdhsa_reserve_flat_scratch 0
		.amdhsa_float_round_mode_32 0
		.amdhsa_float_round_mode_16_64 0
		.amdhsa_float_denorm_mode_32 3
		.amdhsa_float_denorm_mode_16_64 3
		.amdhsa_dx10_clamp 1
		.amdhsa_ieee_mode 1
		.amdhsa_fp16_overflow 0
		.amdhsa_workgroup_processor_mode 1
		.amdhsa_memory_ordered 1
		.amdhsa_forward_progress 1
		.amdhsa_shared_vgpr_count 0
		.amdhsa_exception_fp_ieee_invalid_op 0
		.amdhsa_exception_fp_denorm_src 0
		.amdhsa_exception_fp_ieee_div_zero 0
		.amdhsa_exception_fp_ieee_overflow 0
		.amdhsa_exception_fp_ieee_underflow 0
		.amdhsa_exception_fp_ieee_inexact 0
		.amdhsa_exception_int_div_zero 0
	.end_amdhsa_kernel
	.section	.text._ZN9rocsparseL19gebsrmvn_2xn_kernelILj128ELj3ELj32E21rocsparse_complex_numIdEEEvi20rocsparse_direction_NS_24const_host_device_scalarIT2_EEPKiS8_PKS5_SA_S6_PS5_21rocsparse_index_base_b,"axG",@progbits,_ZN9rocsparseL19gebsrmvn_2xn_kernelILj128ELj3ELj32E21rocsparse_complex_numIdEEEvi20rocsparse_direction_NS_24const_host_device_scalarIT2_EEPKiS8_PKS5_SA_S6_PS5_21rocsparse_index_base_b,comdat
.Lfunc_end236:
	.size	_ZN9rocsparseL19gebsrmvn_2xn_kernelILj128ELj3ELj32E21rocsparse_complex_numIdEEEvi20rocsparse_direction_NS_24const_host_device_scalarIT2_EEPKiS8_PKS5_SA_S6_PS5_21rocsparse_index_base_b, .Lfunc_end236-_ZN9rocsparseL19gebsrmvn_2xn_kernelILj128ELj3ELj32E21rocsparse_complex_numIdEEEvi20rocsparse_direction_NS_24const_host_device_scalarIT2_EEPKiS8_PKS5_SA_S6_PS5_21rocsparse_index_base_b
                                        ; -- End function
	.set _ZN9rocsparseL19gebsrmvn_2xn_kernelILj128ELj3ELj32E21rocsparse_complex_numIdEEEvi20rocsparse_direction_NS_24const_host_device_scalarIT2_EEPKiS8_PKS5_SA_S6_PS5_21rocsparse_index_base_b.num_vgpr, 60
	.set _ZN9rocsparseL19gebsrmvn_2xn_kernelILj128ELj3ELj32E21rocsparse_complex_numIdEEEvi20rocsparse_direction_NS_24const_host_device_scalarIT2_EEPKiS8_PKS5_SA_S6_PS5_21rocsparse_index_base_b.num_agpr, 0
	.set _ZN9rocsparseL19gebsrmvn_2xn_kernelILj128ELj3ELj32E21rocsparse_complex_numIdEEEvi20rocsparse_direction_NS_24const_host_device_scalarIT2_EEPKiS8_PKS5_SA_S6_PS5_21rocsparse_index_base_b.numbered_sgpr, 16
	.set _ZN9rocsparseL19gebsrmvn_2xn_kernelILj128ELj3ELj32E21rocsparse_complex_numIdEEEvi20rocsparse_direction_NS_24const_host_device_scalarIT2_EEPKiS8_PKS5_SA_S6_PS5_21rocsparse_index_base_b.num_named_barrier, 0
	.set _ZN9rocsparseL19gebsrmvn_2xn_kernelILj128ELj3ELj32E21rocsparse_complex_numIdEEEvi20rocsparse_direction_NS_24const_host_device_scalarIT2_EEPKiS8_PKS5_SA_S6_PS5_21rocsparse_index_base_b.private_seg_size, 0
	.set _ZN9rocsparseL19gebsrmvn_2xn_kernelILj128ELj3ELj32E21rocsparse_complex_numIdEEEvi20rocsparse_direction_NS_24const_host_device_scalarIT2_EEPKiS8_PKS5_SA_S6_PS5_21rocsparse_index_base_b.uses_vcc, 1
	.set _ZN9rocsparseL19gebsrmvn_2xn_kernelILj128ELj3ELj32E21rocsparse_complex_numIdEEEvi20rocsparse_direction_NS_24const_host_device_scalarIT2_EEPKiS8_PKS5_SA_S6_PS5_21rocsparse_index_base_b.uses_flat_scratch, 0
	.set _ZN9rocsparseL19gebsrmvn_2xn_kernelILj128ELj3ELj32E21rocsparse_complex_numIdEEEvi20rocsparse_direction_NS_24const_host_device_scalarIT2_EEPKiS8_PKS5_SA_S6_PS5_21rocsparse_index_base_b.has_dyn_sized_stack, 0
	.set _ZN9rocsparseL19gebsrmvn_2xn_kernelILj128ELj3ELj32E21rocsparse_complex_numIdEEEvi20rocsparse_direction_NS_24const_host_device_scalarIT2_EEPKiS8_PKS5_SA_S6_PS5_21rocsparse_index_base_b.has_recursion, 0
	.set _ZN9rocsparseL19gebsrmvn_2xn_kernelILj128ELj3ELj32E21rocsparse_complex_numIdEEEvi20rocsparse_direction_NS_24const_host_device_scalarIT2_EEPKiS8_PKS5_SA_S6_PS5_21rocsparse_index_base_b.has_indirect_call, 0
	.section	.AMDGPU.csdata,"",@progbits
; Kernel info:
; codeLenInByte = 2656
; TotalNumSgprs: 18
; NumVgprs: 60
; ScratchSize: 0
; MemoryBound: 0
; FloatMode: 240
; IeeeMode: 1
; LDSByteSize: 0 bytes/workgroup (compile time only)
; SGPRBlocks: 0
; VGPRBlocks: 7
; NumSGPRsForWavesPerEU: 18
; NumVGPRsForWavesPerEU: 60
; Occupancy: 16
; WaveLimiterHint : 1
; COMPUTE_PGM_RSRC2:SCRATCH_EN: 0
; COMPUTE_PGM_RSRC2:USER_SGPR: 6
; COMPUTE_PGM_RSRC2:TRAP_HANDLER: 0
; COMPUTE_PGM_RSRC2:TGID_X_EN: 1
; COMPUTE_PGM_RSRC2:TGID_Y_EN: 0
; COMPUTE_PGM_RSRC2:TGID_Z_EN: 0
; COMPUTE_PGM_RSRC2:TIDIG_COMP_CNT: 0
	.section	.text._ZN9rocsparseL19gebsrmvn_2xn_kernelILj128ELj3ELj64E21rocsparse_complex_numIdEEEvi20rocsparse_direction_NS_24const_host_device_scalarIT2_EEPKiS8_PKS5_SA_S6_PS5_21rocsparse_index_base_b,"axG",@progbits,_ZN9rocsparseL19gebsrmvn_2xn_kernelILj128ELj3ELj64E21rocsparse_complex_numIdEEEvi20rocsparse_direction_NS_24const_host_device_scalarIT2_EEPKiS8_PKS5_SA_S6_PS5_21rocsparse_index_base_b,comdat
	.globl	_ZN9rocsparseL19gebsrmvn_2xn_kernelILj128ELj3ELj64E21rocsparse_complex_numIdEEEvi20rocsparse_direction_NS_24const_host_device_scalarIT2_EEPKiS8_PKS5_SA_S6_PS5_21rocsparse_index_base_b ; -- Begin function _ZN9rocsparseL19gebsrmvn_2xn_kernelILj128ELj3ELj64E21rocsparse_complex_numIdEEEvi20rocsparse_direction_NS_24const_host_device_scalarIT2_EEPKiS8_PKS5_SA_S6_PS5_21rocsparse_index_base_b
	.p2align	8
	.type	_ZN9rocsparseL19gebsrmvn_2xn_kernelILj128ELj3ELj64E21rocsparse_complex_numIdEEEvi20rocsparse_direction_NS_24const_host_device_scalarIT2_EEPKiS8_PKS5_SA_S6_PS5_21rocsparse_index_base_b,@function
_ZN9rocsparseL19gebsrmvn_2xn_kernelILj128ELj3ELj64E21rocsparse_complex_numIdEEEvi20rocsparse_direction_NS_24const_host_device_scalarIT2_EEPKiS8_PKS5_SA_S6_PS5_21rocsparse_index_base_b: ; @_ZN9rocsparseL19gebsrmvn_2xn_kernelILj128ELj3ELj64E21rocsparse_complex_numIdEEEvi20rocsparse_direction_NS_24const_host_device_scalarIT2_EEPKiS8_PKS5_SA_S6_PS5_21rocsparse_index_base_b
; %bb.0:
	s_clause 0x1
	s_load_dwordx2 s[2:3], s[4:5], 0x50
	s_load_dwordx2 s[0:1], s[4:5], 0x8
	s_add_u32 s7, s4, 8
	s_addc_u32 s10, s5, 0
	s_add_u32 s11, s4, 56
	s_addc_u32 s12, s5, 0
	s_load_dwordx2 s[8:9], s[4:5], 0x38
	s_waitcnt lgkmcnt(0)
	s_bitcmp1_b32 s3, 0
	s_cselect_b32 s0, s7, s0
	s_cselect_b32 s1, s10, s1
	v_mov_b32_e32 v1, s0
	v_mov_b32_e32 v2, s1
	s_cselect_b32 s0, s11, s8
	s_cselect_b32 s1, s12, s9
	v_mov_b32_e32 v5, s0
	v_mov_b32_e32 v6, s1
	flat_load_dwordx4 v[1:4], v[1:2]
	flat_load_dwordx4 v[5:8], v[5:6]
	s_waitcnt vmcnt(1) lgkmcnt(1)
	v_cmp_eq_f64_e32 vcc_lo, 0, v[1:2]
	v_cmp_eq_f64_e64 s0, 0, v[3:4]
	s_and_b32 s3, vcc_lo, s0
	s_mov_b32 s0, -1
	s_and_saveexec_b32 s1, s3
	s_cbranch_execz .LBB237_2
; %bb.1:
	s_waitcnt vmcnt(0) lgkmcnt(0)
	v_cmp_neq_f64_e32 vcc_lo, 1.0, v[5:6]
	v_cmp_neq_f64_e64 s0, 0, v[7:8]
	s_or_b32 s0, vcc_lo, s0
	s_orn2_b32 s0, s0, exec_lo
.LBB237_2:
	s_or_b32 exec_lo, exec_lo, s1
	s_and_saveexec_b32 s1, s0
	s_cbranch_execz .LBB237_21
; %bb.3:
	s_load_dwordx2 s[0:1], s[4:5], 0x0
	v_lshrrev_b32_e32 v9, 6, v0
	v_lshl_or_b32 v9, s6, 1, v9
	s_waitcnt lgkmcnt(0)
	v_cmp_gt_i32_e32 vcc_lo, s0, v9
	s_and_b32 exec_lo, exec_lo, vcc_lo
	s_cbranch_execz .LBB237_21
; %bb.4:
	s_load_dwordx8 s[8:15], s[4:5], 0x18
	v_ashrrev_i32_e32 v10, 31, v9
	v_and_b32_e32 v0, 63, v0
	s_cmp_lg_u32 s1, 0
	v_lshlrev_b64 v[10:11], 2, v[9:10]
	s_waitcnt lgkmcnt(0)
	v_add_co_u32 v10, vcc_lo, s8, v10
	v_add_co_ci_u32_e64 v11, null, s9, v11, vcc_lo
	global_load_dwordx2 v[10:11], v[10:11], off
	s_waitcnt vmcnt(0)
	v_subrev_nc_u32_e32 v10, s2, v10
	v_subrev_nc_u32_e32 v23, s2, v11
	v_add_nc_u32_e32 v18, v10, v0
	v_cmp_lt_i32_e64 s0, v18, v23
	s_cbranch_scc0 .LBB237_10
; %bb.5:
	v_mov_b32_e32 v10, 0
	v_mov_b32_e32 v12, 0
	;; [unrolled: 1-line block ×8, first 2 shown]
	s_and_saveexec_b32 s1, s0
	s_cbranch_execz .LBB237_9
; %bb.6:
	v_mul_lo_u32 v19, v18, 6
	v_mov_b32_e32 v10, 0
	v_mov_b32_e32 v12, 0
	;; [unrolled: 1-line block ×10, first 2 shown]
	s_mov_b32 s3, 0
.LBB237_7:                              ; =>This Inner Loop Header: Depth=1
	v_ashrrev_i32_e32 v22, 31, v21
	v_mov_b32_e32 v53, v20
	v_add_nc_u32_e32 v36, 2, v19
	v_mov_b32_e32 v37, v20
	v_mov_b32_e32 v41, v20
	v_lshlrev_b64 v[24:25], 2, v[21:22]
	v_add_nc_u32_e32 v48, 4, v19
	v_mov_b32_e32 v49, v20
	v_lshlrev_b64 v[36:37], 4, v[36:37]
	v_add_nc_u32_e32 v21, 64, v21
	v_add_co_u32 v24, vcc_lo, s10, v24
	v_add_co_ci_u32_e64 v25, null, s11, v25, vcc_lo
	v_lshlrev_b64 v[48:49], 4, v[48:49]
	global_load_dword v22, v[24:25], off
	v_lshlrev_b64 v[24:25], 4, v[19:20]
	v_add_nc_u32_e32 v19, 0x180, v19
	v_add_co_u32 v28, vcc_lo, s12, v24
	v_add_co_ci_u32_e64 v29, null, s13, v25, vcc_lo
	global_load_dwordx4 v[24:27], v[28:29], off offset:16
	s_waitcnt vmcnt(1)
	v_subrev_nc_u32_e32 v22, s2, v22
	v_lshl_add_u32 v52, v22, 1, v22
	v_lshlrev_b64 v[30:31], 4, v[52:53]
	v_add_nc_u32_e32 v40, 1, v52
	v_add_nc_u32_e32 v52, 2, v52
	v_lshlrev_b64 v[40:41], 4, v[40:41]
	v_add_co_u32 v32, vcc_lo, s14, v30
	v_add_co_ci_u32_e64 v33, null, s15, v31, vcc_lo
	v_add_co_u32 v42, vcc_lo, s12, v36
	global_load_dwordx4 v[28:31], v[28:29], off
	global_load_dwordx4 v[32:35], v[32:33], off
	v_add_co_ci_u32_e64 v43, null, s13, v37, vcc_lo
	v_add_co_u32 v44, vcc_lo, s14, v40
	v_add_co_ci_u32_e64 v45, null, s15, v41, vcc_lo
	s_clause 0x1
	global_load_dwordx4 v[36:39], v[42:43], off offset:16
	global_load_dwordx4 v[40:43], v[42:43], off
	global_load_dwordx4 v[44:47], v[44:45], off
	v_lshlrev_b64 v[52:53], 4, v[52:53]
	v_add_co_u32 v54, vcc_lo, s12, v48
	v_add_co_ci_u32_e64 v55, null, s13, v49, vcc_lo
	v_add_co_u32 v56, vcc_lo, s14, v52
	v_add_co_ci_u32_e64 v57, null, s15, v53, vcc_lo
	s_clause 0x1
	global_load_dwordx4 v[48:51], v[54:55], off offset:16
	global_load_dwordx4 v[52:55], v[54:55], off
	global_load_dwordx4 v[56:59], v[56:57], off
	v_cmp_ge_i32_e32 vcc_lo, v21, v23
	s_or_b32 s3, vcc_lo, s3
	s_waitcnt vmcnt(6)
	v_fma_f64 v[12:13], v[28:29], v[32:33], v[12:13]
	v_fma_f64 v[10:11], v[30:31], v[32:33], v[10:11]
	v_fma_f64 v[14:15], v[24:25], v[32:33], v[14:15]
	v_fma_f64 v[16:17], v[26:27], v[32:33], v[16:17]
	v_fma_f64 v[12:13], -v[30:31], v[34:35], v[12:13]
	v_fma_f64 v[10:11], v[28:29], v[34:35], v[10:11]
	v_fma_f64 v[14:15], -v[26:27], v[34:35], v[14:15]
	v_fma_f64 v[16:17], v[24:25], v[34:35], v[16:17]
	s_waitcnt vmcnt(3)
	v_fma_f64 v[12:13], v[40:41], v[44:45], v[12:13]
	v_fma_f64 v[10:11], v[42:43], v[44:45], v[10:11]
	v_fma_f64 v[14:15], v[36:37], v[44:45], v[14:15]
	v_fma_f64 v[16:17], v[38:39], v[44:45], v[16:17]
	v_fma_f64 v[12:13], -v[42:43], v[46:47], v[12:13]
	v_fma_f64 v[10:11], v[40:41], v[46:47], v[10:11]
	v_fma_f64 v[14:15], -v[38:39], v[46:47], v[14:15]
	v_fma_f64 v[16:17], v[36:37], v[46:47], v[16:17]
	;; [unrolled: 9-line block ×3, first 2 shown]
	s_andn2_b32 exec_lo, exec_lo, s3
	s_cbranch_execnz .LBB237_7
; %bb.8:
	s_or_b32 exec_lo, exec_lo, s3
.LBB237_9:
	s_or_b32 exec_lo, exec_lo, s1
	s_cbranch_execz .LBB237_11
	s_branch .LBB237_16
.LBB237_10:
                                        ; implicit-def: $vgpr10_vgpr11
                                        ; implicit-def: $vgpr12_vgpr13
                                        ; implicit-def: $vgpr14_vgpr15
                                        ; implicit-def: $vgpr16_vgpr17
.LBB237_11:
	v_mov_b32_e32 v10, 0
	v_mov_b32_e32 v12, 0
	;; [unrolled: 1-line block ×8, first 2 shown]
	s_and_saveexec_b32 s1, s0
	s_cbranch_execz .LBB237_15
; %bb.12:
	v_mad_u64_u32 v[20:21], null, v18, 6, 5
	v_mov_b32_e32 v10, 0
	v_mov_b32_e32 v12, 0
	;; [unrolled: 1-line block ×9, first 2 shown]
	s_mov_b32 s0, 0
.LBB237_13:                             ; =>This Inner Loop Header: Depth=1
	v_ashrrev_i32_e32 v19, 31, v18
	v_add_nc_u32_e32 v21, -5, v20
	v_mov_b32_e32 v53, v22
	v_lshlrev_b64 v[24:25], 2, v[18:19]
	v_lshlrev_b64 v[26:27], 4, v[21:22]
	v_add_nc_u32_e32 v18, 64, v18
	v_add_co_u32 v24, vcc_lo, s10, v24
	v_add_co_ci_u32_e64 v25, null, s11, v25, vcc_lo
	v_add_co_u32 v28, vcc_lo, s12, v26
	v_add_co_ci_u32_e64 v29, null, s13, v27, vcc_lo
	global_load_dword v19, v[24:25], off
	v_add_nc_u32_e32 v24, -2, v20
	v_mov_b32_e32 v25, v22
	v_lshlrev_b64 v[24:25], 4, v[24:25]
	v_add_co_u32 v32, vcc_lo, s12, v24
	v_add_co_ci_u32_e64 v33, null, s13, v25, vcc_lo
	s_clause 0x1
	global_load_dwordx4 v[24:27], v[28:29], off offset:16
	global_load_dwordx4 v[28:31], v[28:29], off
	s_waitcnt vmcnt(2)
	v_subrev_nc_u32_e32 v19, s2, v19
	v_lshl_add_u32 v52, v19, 1, v19
	v_lshlrev_b64 v[34:35], 4, v[52:53]
	v_add_nc_u32_e32 v21, 1, v52
	v_lshlrev_b64 v[40:41], 4, v[21:22]
	v_add_co_u32 v36, vcc_lo, s14, v34
	v_add_co_ci_u32_e64 v37, null, s15, v35, vcc_lo
	global_load_dwordx4 v[32:35], v[32:33], off
	global_load_dwordx4 v[36:39], v[36:37], off
	v_add_nc_u32_e32 v21, -1, v20
	v_add_co_u32 v40, vcc_lo, s14, v40
	v_add_co_ci_u32_e64 v41, null, s15, v41, vcc_lo
	v_lshlrev_b64 v[42:43], 4, v[21:22]
	v_mov_b32_e32 v21, v22
	v_add_co_u32 v44, vcc_lo, s12, v42
	v_add_co_ci_u32_e64 v45, null, s13, v43, vcc_lo
	global_load_dwordx4 v[40:43], v[40:41], off
	global_load_dwordx4 v[44:47], v[44:45], off
	v_lshlrev_b64 v[48:49], 4, v[20:21]
	v_add_nc_u32_e32 v21, -3, v20
	v_add_nc_u32_e32 v20, 0x180, v20
	v_lshlrev_b64 v[53:54], 4, v[21:22]
	v_add_nc_u32_e32 v21, 2, v52
	v_add_co_u32 v48, vcc_lo, s12, v48
	v_add_co_ci_u32_e64 v49, null, s13, v49, vcc_lo
	v_lshlrev_b64 v[55:56], 4, v[21:22]
	v_add_co_u32 v52, vcc_lo, s12, v53
	v_add_co_ci_u32_e64 v53, null, s13, v54, vcc_lo
	global_load_dwordx4 v[48:51], v[48:49], off
	v_add_co_u32 v57, vcc_lo, s14, v55
	v_add_co_ci_u32_e64 v58, null, s15, v56, vcc_lo
	global_load_dwordx4 v[52:55], v[52:53], off
	global_load_dwordx4 v[56:59], v[57:58], off
	v_cmp_ge_i32_e32 vcc_lo, v18, v23
	s_or_b32 s0, vcc_lo, s0
	s_waitcnt vmcnt(5)
	v_fma_f64 v[12:13], v[28:29], v[36:37], v[12:13]
	v_fma_f64 v[10:11], v[30:31], v[36:37], v[10:11]
	;; [unrolled: 1-line block ×4, first 2 shown]
	v_fma_f64 v[12:13], -v[30:31], v[38:39], v[12:13]
	v_fma_f64 v[10:11], v[28:29], v[38:39], v[10:11]
	v_fma_f64 v[14:15], -v[34:35], v[38:39], v[14:15]
	v_fma_f64 v[16:17], v[32:33], v[38:39], v[16:17]
	s_waitcnt vmcnt(4)
	v_fma_f64 v[12:13], v[24:25], v[40:41], v[12:13]
	v_fma_f64 v[10:11], v[26:27], v[40:41], v[10:11]
	s_waitcnt vmcnt(3)
	v_fma_f64 v[14:15], v[44:45], v[40:41], v[14:15]
	v_fma_f64 v[16:17], v[46:47], v[40:41], v[16:17]
	v_fma_f64 v[12:13], -v[26:27], v[42:43], v[12:13]
	v_fma_f64 v[10:11], v[24:25], v[42:43], v[10:11]
	v_fma_f64 v[14:15], -v[46:47], v[42:43], v[14:15]
	v_fma_f64 v[16:17], v[44:45], v[42:43], v[16:17]
	s_waitcnt vmcnt(0)
	v_fma_f64 v[12:13], v[52:53], v[56:57], v[12:13]
	v_fma_f64 v[10:11], v[54:55], v[56:57], v[10:11]
	;; [unrolled: 1-line block ×4, first 2 shown]
	v_fma_f64 v[12:13], -v[54:55], v[58:59], v[12:13]
	v_fma_f64 v[10:11], v[52:53], v[58:59], v[10:11]
	v_fma_f64 v[14:15], -v[50:51], v[58:59], v[14:15]
	v_fma_f64 v[16:17], v[48:49], v[58:59], v[16:17]
	s_andn2_b32 exec_lo, exec_lo, s0
	s_cbranch_execnz .LBB237_13
; %bb.14:
	s_or_b32 exec_lo, exec_lo, s0
.LBB237_15:
	s_or_b32 exec_lo, exec_lo, s1
.LBB237_16:
	v_mbcnt_lo_u32_b32 v26, -1, 0
	v_or_b32_e32 v18, 32, v26
	v_cmp_gt_i32_e32 vcc_lo, 32, v18
	v_cndmask_b32_e32 v18, v26, v18, vcc_lo
	v_lshlrev_b32_e32 v25, 2, v18
	ds_bpermute_b32 v18, v25, v12
	ds_bpermute_b32 v19, v25, v13
	ds_bpermute_b32 v20, v25, v10
	ds_bpermute_b32 v21, v25, v11
	ds_bpermute_b32 v22, v25, v14
	ds_bpermute_b32 v23, v25, v15
	ds_bpermute_b32 v24, v25, v16
	ds_bpermute_b32 v25, v25, v17
	s_waitcnt lgkmcnt(6)
	v_add_f64 v[12:13], v[12:13], v[18:19]
	v_xor_b32_e32 v18, 16, v26
	s_waitcnt lgkmcnt(4)
	v_add_f64 v[10:11], v[10:11], v[20:21]
	s_waitcnt lgkmcnt(2)
	v_add_f64 v[14:15], v[14:15], v[22:23]
	s_waitcnt lgkmcnt(0)
	v_add_f64 v[16:17], v[16:17], v[24:25]
	v_cmp_gt_i32_e32 vcc_lo, 32, v18
	v_cndmask_b32_e32 v18, v26, v18, vcc_lo
	v_lshlrev_b32_e32 v25, 2, v18
	ds_bpermute_b32 v18, v25, v12
	ds_bpermute_b32 v19, v25, v13
	ds_bpermute_b32 v20, v25, v10
	ds_bpermute_b32 v21, v25, v11
	ds_bpermute_b32 v22, v25, v14
	ds_bpermute_b32 v23, v25, v15
	ds_bpermute_b32 v24, v25, v16
	ds_bpermute_b32 v25, v25, v17
	s_waitcnt lgkmcnt(6)
	v_add_f64 v[12:13], v[12:13], v[18:19]
	v_xor_b32_e32 v18, 8, v26
	s_waitcnt lgkmcnt(4)
	v_add_f64 v[10:11], v[10:11], v[20:21]
	s_waitcnt lgkmcnt(2)
	v_add_f64 v[14:15], v[14:15], v[22:23]
	s_waitcnt lgkmcnt(0)
	v_add_f64 v[16:17], v[16:17], v[24:25]
	;; [unrolled: 20-line block ×3, first 2 shown]
	v_cmp_gt_i32_e32 vcc_lo, 32, v18
	v_cndmask_b32_e32 v18, v26, v18, vcc_lo
	v_lshlrev_b32_e32 v25, 2, v18
	ds_bpermute_b32 v18, v25, v12
	ds_bpermute_b32 v19, v25, v13
	;; [unrolled: 1-line block ×8, first 2 shown]
	s_waitcnt lgkmcnt(6)
	v_add_f64 v[12:13], v[12:13], v[18:19]
	s_waitcnt lgkmcnt(4)
	v_add_f64 v[18:19], v[10:11], v[20:21]
	v_xor_b32_e32 v10, 2, v26
	s_waitcnt lgkmcnt(2)
	v_add_f64 v[14:15], v[14:15], v[22:23]
	s_waitcnt lgkmcnt(0)
	v_add_f64 v[20:21], v[16:17], v[24:25]
	v_cmp_gt_i32_e32 vcc_lo, 32, v10
	v_cndmask_b32_e32 v10, v26, v10, vcc_lo
	v_lshlrev_b32_e32 v25, 2, v10
	ds_bpermute_b32 v10, v25, v12
	ds_bpermute_b32 v11, v25, v13
	;; [unrolled: 1-line block ×8, first 2 shown]
	s_waitcnt lgkmcnt(6)
	v_add_f64 v[10:11], v[12:13], v[10:11]
	s_waitcnt lgkmcnt(4)
	v_add_f64 v[16:17], v[18:19], v[16:17]
	v_xor_b32_e32 v18, 1, v26
	s_waitcnt lgkmcnt(2)
	v_add_f64 v[12:13], v[14:15], v[22:23]
	s_waitcnt lgkmcnt(0)
	v_add_f64 v[14:15], v[20:21], v[24:25]
	v_cmp_gt_i32_e32 vcc_lo, 32, v18
	v_cndmask_b32_e32 v18, v26, v18, vcc_lo
	v_cmp_eq_u32_e32 vcc_lo, 63, v0
	v_lshlrev_b32_e32 v21, 2, v18
	ds_bpermute_b32 v24, v21, v10
	ds_bpermute_b32 v25, v21, v11
	;; [unrolled: 1-line block ×8, first 2 shown]
	s_and_b32 exec_lo, exec_lo, vcc_lo
	s_cbranch_execz .LBB237_21
; %bb.17:
	v_cmp_eq_f64_e32 vcc_lo, 0, v[5:6]
	v_cmp_eq_f64_e64 s0, 0, v[7:8]
	s_waitcnt lgkmcnt(6)
	v_add_f64 v[10:11], v[10:11], v[24:25]
	s_waitcnt lgkmcnt(4)
	v_add_f64 v[16:17], v[16:17], v[22:23]
	;; [unrolled: 2-line block ×4, first 2 shown]
	s_load_dwordx2 s[2:3], s[4:5], 0x48
	s_and_b32 s0, vcc_lo, s0
	s_and_saveexec_b32 s1, s0
	s_xor_b32 s0, exec_lo, s1
	s_cbranch_execz .LBB237_19
; %bb.18:
	v_mul_f64 v[5:6], v[16:17], -v[3:4]
	v_mul_f64 v[7:8], v[1:2], v[16:17]
	v_mul_f64 v[16:17], v[14:15], -v[3:4]
	v_mul_f64 v[14:15], v[1:2], v[14:15]
	v_lshlrev_b32_e32 v9, 1, v9
	v_fma_f64 v[5:6], v[1:2], v[10:11], v[5:6]
	v_fma_f64 v[7:8], v[3:4], v[10:11], v[7:8]
	v_fma_f64 v[0:1], v[1:2], v[12:13], v[16:17]
	v_fma_f64 v[2:3], v[3:4], v[12:13], v[14:15]
	v_ashrrev_i32_e32 v10, 31, v9
                                        ; implicit-def: $vgpr16_vgpr17
                                        ; implicit-def: $vgpr12_vgpr13
                                        ; implicit-def: $vgpr14_vgpr15
	v_lshlrev_b64 v[9:10], 4, v[9:10]
	s_waitcnt lgkmcnt(0)
	v_add_co_u32 v9, vcc_lo, s2, v9
	v_add_co_ci_u32_e64 v10, null, s3, v10, vcc_lo
	global_store_dwordx4 v[9:10], v[5:8], off
	global_store_dwordx4 v[9:10], v[0:3], off offset:16
                                        ; implicit-def: $vgpr9
                                        ; implicit-def: $vgpr10_vgpr11
                                        ; implicit-def: $vgpr7_vgpr8
                                        ; implicit-def: $vgpr3_vgpr4
.LBB237_19:
	s_andn2_saveexec_b32 s0, s0
	s_cbranch_execz .LBB237_21
; %bb.20:
	v_lshlrev_b32_e32 v18, 1, v9
	v_mul_f64 v[28:29], v[16:17], -v[3:4]
	v_mul_f64 v[16:17], v[1:2], v[16:17]
	v_mul_f64 v[30:31], v[14:15], -v[3:4]
	v_mul_f64 v[14:15], v[1:2], v[14:15]
	v_ashrrev_i32_e32 v19, 31, v18
	v_lshlrev_b64 v[18:19], 4, v[18:19]
	s_waitcnt lgkmcnt(0)
	v_add_co_u32 v26, vcc_lo, s2, v18
	v_add_co_ci_u32_e64 v27, null, s3, v19, vcc_lo
	s_clause 0x1
	global_load_dwordx4 v[18:21], v[26:27], off
	global_load_dwordx4 v[22:25], v[26:27], off offset:16
	v_fma_f64 v[28:29], v[1:2], v[10:11], v[28:29]
	v_fma_f64 v[9:10], v[3:4], v[10:11], v[16:17]
	;; [unrolled: 1-line block ×4, first 2 shown]
	s_waitcnt vmcnt(1)
	v_fma_f64 v[11:12], v[5:6], v[18:19], v[28:29]
	v_fma_f64 v[9:10], v[7:8], v[18:19], v[9:10]
	s_waitcnt vmcnt(0)
	v_fma_f64 v[13:14], v[5:6], v[22:23], v[0:1]
	v_fma_f64 v[15:16], v[7:8], v[22:23], v[2:3]
	v_fma_f64 v[0:1], -v[7:8], v[20:21], v[11:12]
	v_fma_f64 v[2:3], v[5:6], v[20:21], v[9:10]
	v_fma_f64 v[7:8], -v[7:8], v[24:25], v[13:14]
	v_fma_f64 v[9:10], v[5:6], v[24:25], v[15:16]
	global_store_dwordx4 v[26:27], v[0:3], off
	global_store_dwordx4 v[26:27], v[7:10], off offset:16
.LBB237_21:
	s_endpgm
	.section	.rodata,"a",@progbits
	.p2align	6, 0x0
	.amdhsa_kernel _ZN9rocsparseL19gebsrmvn_2xn_kernelILj128ELj3ELj64E21rocsparse_complex_numIdEEEvi20rocsparse_direction_NS_24const_host_device_scalarIT2_EEPKiS8_PKS5_SA_S6_PS5_21rocsparse_index_base_b
		.amdhsa_group_segment_fixed_size 0
		.amdhsa_private_segment_fixed_size 0
		.amdhsa_kernarg_size 88
		.amdhsa_user_sgpr_count 6
		.amdhsa_user_sgpr_private_segment_buffer 1
		.amdhsa_user_sgpr_dispatch_ptr 0
		.amdhsa_user_sgpr_queue_ptr 0
		.amdhsa_user_sgpr_kernarg_segment_ptr 1
		.amdhsa_user_sgpr_dispatch_id 0
		.amdhsa_user_sgpr_flat_scratch_init 0
		.amdhsa_user_sgpr_private_segment_size 0
		.amdhsa_wavefront_size32 1
		.amdhsa_uses_dynamic_stack 0
		.amdhsa_system_sgpr_private_segment_wavefront_offset 0
		.amdhsa_system_sgpr_workgroup_id_x 1
		.amdhsa_system_sgpr_workgroup_id_y 0
		.amdhsa_system_sgpr_workgroup_id_z 0
		.amdhsa_system_sgpr_workgroup_info 0
		.amdhsa_system_vgpr_workitem_id 0
		.amdhsa_next_free_vgpr 60
		.amdhsa_next_free_sgpr 16
		.amdhsa_reserve_vcc 1
		.amdhsa_reserve_flat_scratch 0
		.amdhsa_float_round_mode_32 0
		.amdhsa_float_round_mode_16_64 0
		.amdhsa_float_denorm_mode_32 3
		.amdhsa_float_denorm_mode_16_64 3
		.amdhsa_dx10_clamp 1
		.amdhsa_ieee_mode 1
		.amdhsa_fp16_overflow 0
		.amdhsa_workgroup_processor_mode 1
		.amdhsa_memory_ordered 1
		.amdhsa_forward_progress 1
		.amdhsa_shared_vgpr_count 0
		.amdhsa_exception_fp_ieee_invalid_op 0
		.amdhsa_exception_fp_denorm_src 0
		.amdhsa_exception_fp_ieee_div_zero 0
		.amdhsa_exception_fp_ieee_overflow 0
		.amdhsa_exception_fp_ieee_underflow 0
		.amdhsa_exception_fp_ieee_inexact 0
		.amdhsa_exception_int_div_zero 0
	.end_amdhsa_kernel
	.section	.text._ZN9rocsparseL19gebsrmvn_2xn_kernelILj128ELj3ELj64E21rocsparse_complex_numIdEEEvi20rocsparse_direction_NS_24const_host_device_scalarIT2_EEPKiS8_PKS5_SA_S6_PS5_21rocsparse_index_base_b,"axG",@progbits,_ZN9rocsparseL19gebsrmvn_2xn_kernelILj128ELj3ELj64E21rocsparse_complex_numIdEEEvi20rocsparse_direction_NS_24const_host_device_scalarIT2_EEPKiS8_PKS5_SA_S6_PS5_21rocsparse_index_base_b,comdat
.Lfunc_end237:
	.size	_ZN9rocsparseL19gebsrmvn_2xn_kernelILj128ELj3ELj64E21rocsparse_complex_numIdEEEvi20rocsparse_direction_NS_24const_host_device_scalarIT2_EEPKiS8_PKS5_SA_S6_PS5_21rocsparse_index_base_b, .Lfunc_end237-_ZN9rocsparseL19gebsrmvn_2xn_kernelILj128ELj3ELj64E21rocsparse_complex_numIdEEEvi20rocsparse_direction_NS_24const_host_device_scalarIT2_EEPKiS8_PKS5_SA_S6_PS5_21rocsparse_index_base_b
                                        ; -- End function
	.set _ZN9rocsparseL19gebsrmvn_2xn_kernelILj128ELj3ELj64E21rocsparse_complex_numIdEEEvi20rocsparse_direction_NS_24const_host_device_scalarIT2_EEPKiS8_PKS5_SA_S6_PS5_21rocsparse_index_base_b.num_vgpr, 60
	.set _ZN9rocsparseL19gebsrmvn_2xn_kernelILj128ELj3ELj64E21rocsparse_complex_numIdEEEvi20rocsparse_direction_NS_24const_host_device_scalarIT2_EEPKiS8_PKS5_SA_S6_PS5_21rocsparse_index_base_b.num_agpr, 0
	.set _ZN9rocsparseL19gebsrmvn_2xn_kernelILj128ELj3ELj64E21rocsparse_complex_numIdEEEvi20rocsparse_direction_NS_24const_host_device_scalarIT2_EEPKiS8_PKS5_SA_S6_PS5_21rocsparse_index_base_b.numbered_sgpr, 16
	.set _ZN9rocsparseL19gebsrmvn_2xn_kernelILj128ELj3ELj64E21rocsparse_complex_numIdEEEvi20rocsparse_direction_NS_24const_host_device_scalarIT2_EEPKiS8_PKS5_SA_S6_PS5_21rocsparse_index_base_b.num_named_barrier, 0
	.set _ZN9rocsparseL19gebsrmvn_2xn_kernelILj128ELj3ELj64E21rocsparse_complex_numIdEEEvi20rocsparse_direction_NS_24const_host_device_scalarIT2_EEPKiS8_PKS5_SA_S6_PS5_21rocsparse_index_base_b.private_seg_size, 0
	.set _ZN9rocsparseL19gebsrmvn_2xn_kernelILj128ELj3ELj64E21rocsparse_complex_numIdEEEvi20rocsparse_direction_NS_24const_host_device_scalarIT2_EEPKiS8_PKS5_SA_S6_PS5_21rocsparse_index_base_b.uses_vcc, 1
	.set _ZN9rocsparseL19gebsrmvn_2xn_kernelILj128ELj3ELj64E21rocsparse_complex_numIdEEEvi20rocsparse_direction_NS_24const_host_device_scalarIT2_EEPKiS8_PKS5_SA_S6_PS5_21rocsparse_index_base_b.uses_flat_scratch, 0
	.set _ZN9rocsparseL19gebsrmvn_2xn_kernelILj128ELj3ELj64E21rocsparse_complex_numIdEEEvi20rocsparse_direction_NS_24const_host_device_scalarIT2_EEPKiS8_PKS5_SA_S6_PS5_21rocsparse_index_base_b.has_dyn_sized_stack, 0
	.set _ZN9rocsparseL19gebsrmvn_2xn_kernelILj128ELj3ELj64E21rocsparse_complex_numIdEEEvi20rocsparse_direction_NS_24const_host_device_scalarIT2_EEPKiS8_PKS5_SA_S6_PS5_21rocsparse_index_base_b.has_recursion, 0
	.set _ZN9rocsparseL19gebsrmvn_2xn_kernelILj128ELj3ELj64E21rocsparse_complex_numIdEEEvi20rocsparse_direction_NS_24const_host_device_scalarIT2_EEPKiS8_PKS5_SA_S6_PS5_21rocsparse_index_base_b.has_indirect_call, 0
	.section	.AMDGPU.csdata,"",@progbits
; Kernel info:
; codeLenInByte = 2784
; TotalNumSgprs: 18
; NumVgprs: 60
; ScratchSize: 0
; MemoryBound: 0
; FloatMode: 240
; IeeeMode: 1
; LDSByteSize: 0 bytes/workgroup (compile time only)
; SGPRBlocks: 0
; VGPRBlocks: 7
; NumSGPRsForWavesPerEU: 18
; NumVGPRsForWavesPerEU: 60
; Occupancy: 16
; WaveLimiterHint : 1
; COMPUTE_PGM_RSRC2:SCRATCH_EN: 0
; COMPUTE_PGM_RSRC2:USER_SGPR: 6
; COMPUTE_PGM_RSRC2:TRAP_HANDLER: 0
; COMPUTE_PGM_RSRC2:TGID_X_EN: 1
; COMPUTE_PGM_RSRC2:TGID_Y_EN: 0
; COMPUTE_PGM_RSRC2:TGID_Z_EN: 0
; COMPUTE_PGM_RSRC2:TIDIG_COMP_CNT: 0
	.section	.text._ZN9rocsparseL19gebsrmvn_2xn_kernelILj128ELj4ELj4E21rocsparse_complex_numIdEEEvi20rocsparse_direction_NS_24const_host_device_scalarIT2_EEPKiS8_PKS5_SA_S6_PS5_21rocsparse_index_base_b,"axG",@progbits,_ZN9rocsparseL19gebsrmvn_2xn_kernelILj128ELj4ELj4E21rocsparse_complex_numIdEEEvi20rocsparse_direction_NS_24const_host_device_scalarIT2_EEPKiS8_PKS5_SA_S6_PS5_21rocsparse_index_base_b,comdat
	.globl	_ZN9rocsparseL19gebsrmvn_2xn_kernelILj128ELj4ELj4E21rocsparse_complex_numIdEEEvi20rocsparse_direction_NS_24const_host_device_scalarIT2_EEPKiS8_PKS5_SA_S6_PS5_21rocsparse_index_base_b ; -- Begin function _ZN9rocsparseL19gebsrmvn_2xn_kernelILj128ELj4ELj4E21rocsparse_complex_numIdEEEvi20rocsparse_direction_NS_24const_host_device_scalarIT2_EEPKiS8_PKS5_SA_S6_PS5_21rocsparse_index_base_b
	.p2align	8
	.type	_ZN9rocsparseL19gebsrmvn_2xn_kernelILj128ELj4ELj4E21rocsparse_complex_numIdEEEvi20rocsparse_direction_NS_24const_host_device_scalarIT2_EEPKiS8_PKS5_SA_S6_PS5_21rocsparse_index_base_b,@function
_ZN9rocsparseL19gebsrmvn_2xn_kernelILj128ELj4ELj4E21rocsparse_complex_numIdEEEvi20rocsparse_direction_NS_24const_host_device_scalarIT2_EEPKiS8_PKS5_SA_S6_PS5_21rocsparse_index_base_b: ; @_ZN9rocsparseL19gebsrmvn_2xn_kernelILj128ELj4ELj4E21rocsparse_complex_numIdEEEvi20rocsparse_direction_NS_24const_host_device_scalarIT2_EEPKiS8_PKS5_SA_S6_PS5_21rocsparse_index_base_b
; %bb.0:
	s_clause 0x1
	s_load_dwordx2 s[2:3], s[4:5], 0x50
	s_load_dwordx2 s[0:1], s[4:5], 0x8
	s_add_u32 s7, s4, 8
	s_addc_u32 s10, s5, 0
	s_add_u32 s11, s4, 56
	s_addc_u32 s12, s5, 0
	s_load_dwordx2 s[8:9], s[4:5], 0x38
	s_waitcnt lgkmcnt(0)
	s_bitcmp1_b32 s3, 0
	s_cselect_b32 s0, s7, s0
	s_cselect_b32 s1, s10, s1
	v_mov_b32_e32 v1, s0
	v_mov_b32_e32 v2, s1
	s_cselect_b32 s0, s11, s8
	s_cselect_b32 s1, s12, s9
	v_mov_b32_e32 v5, s0
	v_mov_b32_e32 v6, s1
	flat_load_dwordx4 v[1:4], v[1:2]
	flat_load_dwordx4 v[5:8], v[5:6]
	s_waitcnt vmcnt(1) lgkmcnt(1)
	v_cmp_eq_f64_e32 vcc_lo, 0, v[1:2]
	v_cmp_eq_f64_e64 s0, 0, v[3:4]
	s_and_b32 s3, vcc_lo, s0
	s_mov_b32 s0, -1
	s_and_saveexec_b32 s1, s3
	s_cbranch_execz .LBB238_2
; %bb.1:
	s_waitcnt vmcnt(0) lgkmcnt(0)
	v_cmp_neq_f64_e32 vcc_lo, 1.0, v[5:6]
	v_cmp_neq_f64_e64 s0, 0, v[7:8]
	s_or_b32 s0, vcc_lo, s0
	s_orn2_b32 s0, s0, exec_lo
.LBB238_2:
	s_or_b32 exec_lo, exec_lo, s1
	s_and_saveexec_b32 s1, s0
	s_cbranch_execz .LBB238_21
; %bb.3:
	s_load_dwordx2 s[0:1], s[4:5], 0x0
	v_lshrrev_b32_e32 v9, 2, v0
	v_lshl_or_b32 v9, s6, 5, v9
	s_waitcnt lgkmcnt(0)
	v_cmp_gt_i32_e32 vcc_lo, s0, v9
	s_and_b32 exec_lo, exec_lo, vcc_lo
	s_cbranch_execz .LBB238_21
; %bb.4:
	s_load_dwordx8 s[8:15], s[4:5], 0x18
	v_ashrrev_i32_e32 v10, 31, v9
	v_and_b32_e32 v0, 3, v0
	s_cmp_lg_u32 s1, 0
	v_lshlrev_b64 v[10:11], 2, v[9:10]
	s_waitcnt lgkmcnt(0)
	v_add_co_u32 v10, vcc_lo, s8, v10
	v_add_co_ci_u32_e64 v11, null, s9, v11, vcc_lo
	global_load_dwordx2 v[10:11], v[10:11], off
	s_waitcnt vmcnt(0)
	v_subrev_nc_u32_e32 v10, s2, v10
	v_subrev_nc_u32_e32 v24, s2, v11
	v_add_nc_u32_e32 v10, v10, v0
	v_cmp_lt_i32_e64 s0, v10, v24
	s_cbranch_scc0 .LBB238_10
; %bb.5:
	v_mov_b32_e32 v12, 0
	v_mov_b32_e32 v14, 0
	;; [unrolled: 1-line block ×8, first 2 shown]
	s_and_saveexec_b32 s1, s0
	s_cbranch_execz .LBB238_9
; %bb.6:
	v_mov_b32_e32 v12, 0
	v_mov_b32_e32 v14, 0
	;; [unrolled: 1-line block ×4, first 2 shown]
	v_lshlrev_b32_e32 v20, 3, v10
	v_mov_b32_e32 v13, 0
	v_mov_b32_e32 v21, 0
	;; [unrolled: 1-line block ×6, first 2 shown]
	s_mov_b32 s3, 0
.LBB238_7:                              ; =>This Inner Loop Header: Depth=1
	v_ashrrev_i32_e32 v23, 31, v22
	v_mov_b32_e32 v30, v21
	v_lshlrev_b64 v[25:26], 2, v[22:23]
	v_add_nc_u32_e32 v22, 4, v22
	v_add_co_u32 v25, vcc_lo, s10, v25
	v_add_co_ci_u32_e64 v26, null, s11, v26, vcc_lo
	global_load_dword v11, v[25:26], off
	v_lshlrev_b64 v[25:26], 4, v[20:21]
	v_add_nc_u32_e32 v20, 32, v20
	v_add_co_u32 v65, vcc_lo, s12, v25
	v_add_co_ci_u32_e64 v66, null, s13, v26, vcc_lo
	global_load_dwordx4 v[25:28], v[65:66], off offset:16
	s_waitcnt vmcnt(1)
	v_subrev_nc_u32_e32 v11, s2, v11
	v_lshlrev_b32_e32 v29, 2, v11
	v_lshlrev_b64 v[29:30], 4, v[29:30]
	v_add_co_u32 v69, vcc_lo, s14, v29
	v_add_co_ci_u32_e64 v70, null, s15, v30, vcc_lo
	v_cmp_ge_i32_e32 vcc_lo, v22, v24
	global_load_dwordx4 v[29:32], v[65:66], off
	global_load_dwordx4 v[33:36], v[69:70], off
	s_clause 0x1
	global_load_dwordx4 v[37:40], v[65:66], off offset:32
	global_load_dwordx4 v[41:44], v[65:66], off offset:48
	global_load_dwordx4 v[45:48], v[69:70], off offset:16
	s_clause 0x1
	global_load_dwordx4 v[49:52], v[65:66], off offset:80
	global_load_dwordx4 v[53:56], v[65:66], off offset:64
	global_load_dwordx4 v[57:60], v[69:70], off offset:32
	;; [unrolled: 4-line block ×3, first 2 shown]
	s_or_b32 s3, vcc_lo, s3
	s_waitcnt vmcnt(9)
	v_fma_f64 v[14:15], v[29:30], v[33:34], v[14:15]
	v_fma_f64 v[11:12], v[31:32], v[33:34], v[12:13]
	v_fma_f64 v[16:17], v[25:26], v[33:34], v[16:17]
	v_fma_f64 v[18:19], v[27:28], v[33:34], v[18:19]
	v_fma_f64 v[13:14], -v[31:32], v[35:36], v[14:15]
	v_fma_f64 v[11:12], v[29:30], v[35:36], v[11:12]
	v_fma_f64 v[15:16], -v[27:28], v[35:36], v[16:17]
	v_fma_f64 v[17:18], v[25:26], v[35:36], v[18:19]
	s_waitcnt vmcnt(6)
	v_fma_f64 v[13:14], v[37:38], v[45:46], v[13:14]
	v_fma_f64 v[11:12], v[39:40], v[45:46], v[11:12]
	v_fma_f64 v[15:16], v[41:42], v[45:46], v[15:16]
	v_fma_f64 v[17:18], v[43:44], v[45:46], v[17:18]
	v_fma_f64 v[13:14], -v[39:40], v[47:48], v[13:14]
	v_fma_f64 v[11:12], v[37:38], v[47:48], v[11:12]
	v_fma_f64 v[15:16], -v[43:44], v[47:48], v[15:16]
	v_fma_f64 v[17:18], v[41:42], v[47:48], v[17:18]
	;; [unrolled: 9-line block ×4, first 2 shown]
	s_andn2_b32 exec_lo, exec_lo, s3
	s_cbranch_execnz .LBB238_7
; %bb.8:
	s_or_b32 exec_lo, exec_lo, s3
.LBB238_9:
	s_or_b32 exec_lo, exec_lo, s1
	s_cbranch_execz .LBB238_11
	s_branch .LBB238_16
.LBB238_10:
                                        ; implicit-def: $vgpr12_vgpr13
                                        ; implicit-def: $vgpr14_vgpr15
                                        ; implicit-def: $vgpr16_vgpr17
                                        ; implicit-def: $vgpr18_vgpr19
.LBB238_11:
	v_mov_b32_e32 v12, 0
	v_mov_b32_e32 v14, 0
	;; [unrolled: 1-line block ×8, first 2 shown]
	s_and_saveexec_b32 s1, s0
	s_cbranch_execz .LBB238_15
; %bb.12:
	v_mov_b32_e32 v12, 0
	v_mov_b32_e32 v14, 0
	;; [unrolled: 1-line block ×4, first 2 shown]
	v_lshlrev_b32_e32 v20, 3, v10
	v_mov_b32_e32 v13, 0
	v_mov_b32_e32 v15, 0
	;; [unrolled: 1-line block ×5, first 2 shown]
	s_mov_b32 s0, 0
.LBB238_13:                             ; =>This Inner Loop Header: Depth=1
	v_ashrrev_i32_e32 v11, 31, v10
	v_mov_b32_e32 v30, v21
	v_lshlrev_b64 v[22:23], 2, v[10:11]
	v_add_nc_u32_e32 v10, 4, v10
	v_add_co_u32 v22, vcc_lo, s10, v22
	v_add_co_ci_u32_e64 v23, null, s11, v23, vcc_lo
	global_load_dword v11, v[22:23], off
	v_lshlrev_b64 v[22:23], 4, v[20:21]
	v_add_nc_u32_e32 v20, 32, v20
	v_add_co_u32 v22, vcc_lo, s12, v22
	v_add_co_ci_u32_e64 v23, null, s13, v23, vcc_lo
	global_load_dwordx4 v[25:28], v[22:23], off
	s_waitcnt vmcnt(1)
	v_subrev_nc_u32_e32 v11, s2, v11
	v_lshlrev_b32_e32 v29, 2, v11
	v_lshlrev_b64 v[29:30], 4, v[29:30]
	v_add_co_u32 v69, vcc_lo, s14, v29
	v_add_co_ci_u32_e64 v70, null, s15, v30, vcc_lo
	v_cmp_ge_i32_e32 vcc_lo, v10, v24
	global_load_dwordx4 v[29:32], v[22:23], off offset:64
	global_load_dwordx4 v[33:36], v[69:70], off
	s_clause 0x1
	global_load_dwordx4 v[37:40], v[22:23], off offset:16
	global_load_dwordx4 v[41:44], v[22:23], off offset:80
	global_load_dwordx4 v[45:48], v[69:70], off offset:16
	s_clause 0x1
	global_load_dwordx4 v[49:52], v[22:23], off offset:32
	global_load_dwordx4 v[53:56], v[22:23], off offset:96
	global_load_dwordx4 v[57:60], v[69:70], off offset:32
	;; [unrolled: 4-line block ×3, first 2 shown]
	s_or_b32 s0, vcc_lo, s0
	s_waitcnt vmcnt(9)
	v_fma_f64 v[14:15], v[25:26], v[33:34], v[14:15]
	v_fma_f64 v[11:12], v[27:28], v[33:34], v[12:13]
	v_fma_f64 v[16:17], v[29:30], v[33:34], v[16:17]
	v_fma_f64 v[18:19], v[31:32], v[33:34], v[18:19]
	v_fma_f64 v[13:14], -v[27:28], v[35:36], v[14:15]
	v_fma_f64 v[11:12], v[25:26], v[35:36], v[11:12]
	v_fma_f64 v[15:16], -v[31:32], v[35:36], v[16:17]
	v_fma_f64 v[17:18], v[29:30], v[35:36], v[18:19]
	s_waitcnt vmcnt(6)
	v_fma_f64 v[13:14], v[37:38], v[45:46], v[13:14]
	v_fma_f64 v[11:12], v[39:40], v[45:46], v[11:12]
	v_fma_f64 v[15:16], v[41:42], v[45:46], v[15:16]
	v_fma_f64 v[17:18], v[43:44], v[45:46], v[17:18]
	v_fma_f64 v[13:14], -v[39:40], v[47:48], v[13:14]
	v_fma_f64 v[11:12], v[37:38], v[47:48], v[11:12]
	v_fma_f64 v[15:16], -v[43:44], v[47:48], v[15:16]
	v_fma_f64 v[17:18], v[41:42], v[47:48], v[17:18]
	;; [unrolled: 9-line block ×4, first 2 shown]
	s_andn2_b32 exec_lo, exec_lo, s0
	s_cbranch_execnz .LBB238_13
; %bb.14:
	s_or_b32 exec_lo, exec_lo, s0
.LBB238_15:
	s_or_b32 exec_lo, exec_lo, s1
.LBB238_16:
	v_mbcnt_lo_u32_b32 v26, -1, 0
	v_xor_b32_e32 v10, 2, v26
	v_cmp_gt_i32_e32 vcc_lo, 32, v10
	v_cndmask_b32_e32 v10, v26, v10, vcc_lo
	v_lshlrev_b32_e32 v25, 2, v10
	ds_bpermute_b32 v10, v25, v14
	ds_bpermute_b32 v11, v25, v15
	;; [unrolled: 1-line block ×8, first 2 shown]
	s_waitcnt lgkmcnt(6)
	v_add_f64 v[10:11], v[14:15], v[10:11]
	s_waitcnt lgkmcnt(4)
	v_add_f64 v[20:21], v[12:13], v[20:21]
	;; [unrolled: 2-line block ×3, first 2 shown]
	v_xor_b32_e32 v16, 1, v26
	s_waitcnt lgkmcnt(0)
	v_add_f64 v[14:15], v[18:19], v[24:25]
	v_cmp_gt_i32_e32 vcc_lo, 32, v16
	v_cndmask_b32_e32 v16, v26, v16, vcc_lo
	v_cmp_eq_u32_e32 vcc_lo, 3, v0
	v_lshlrev_b32_e32 v23, 2, v16
	ds_bpermute_b32 v24, v23, v10
	ds_bpermute_b32 v25, v23, v11
	ds_bpermute_b32 v16, v23, v20
	ds_bpermute_b32 v17, v23, v21
	ds_bpermute_b32 v18, v23, v12
	ds_bpermute_b32 v19, v23, v13
	ds_bpermute_b32 v22, v23, v14
	ds_bpermute_b32 v23, v23, v15
	s_and_b32 exec_lo, exec_lo, vcc_lo
	s_cbranch_execz .LBB238_21
; %bb.17:
	v_cmp_eq_f64_e32 vcc_lo, 0, v[5:6]
	v_cmp_eq_f64_e64 s0, 0, v[7:8]
	s_waitcnt lgkmcnt(6)
	v_add_f64 v[10:11], v[10:11], v[24:25]
	s_waitcnt lgkmcnt(4)
	v_add_f64 v[16:17], v[20:21], v[16:17]
	;; [unrolled: 2-line block ×4, first 2 shown]
	s_load_dwordx2 s[2:3], s[4:5], 0x48
	s_and_b32 s0, vcc_lo, s0
	s_and_saveexec_b32 s1, s0
	s_xor_b32 s0, exec_lo, s1
	s_cbranch_execz .LBB238_19
; %bb.18:
	v_mul_f64 v[5:6], v[16:17], -v[3:4]
	v_mul_f64 v[7:8], v[1:2], v[16:17]
	v_mul_f64 v[16:17], v[14:15], -v[3:4]
	v_mul_f64 v[14:15], v[1:2], v[14:15]
	v_lshlrev_b32_e32 v9, 1, v9
	v_fma_f64 v[5:6], v[1:2], v[10:11], v[5:6]
	v_fma_f64 v[7:8], v[3:4], v[10:11], v[7:8]
	;; [unrolled: 1-line block ×4, first 2 shown]
	v_ashrrev_i32_e32 v10, 31, v9
                                        ; implicit-def: $vgpr16_vgpr17
                                        ; implicit-def: $vgpr12_vgpr13
                                        ; implicit-def: $vgpr14_vgpr15
	v_lshlrev_b64 v[9:10], 4, v[9:10]
	s_waitcnt lgkmcnt(0)
	v_add_co_u32 v9, vcc_lo, s2, v9
	v_add_co_ci_u32_e64 v10, null, s3, v10, vcc_lo
	global_store_dwordx4 v[9:10], v[5:8], off
	global_store_dwordx4 v[9:10], v[0:3], off offset:16
                                        ; implicit-def: $vgpr9
                                        ; implicit-def: $vgpr10_vgpr11
                                        ; implicit-def: $vgpr7_vgpr8
                                        ; implicit-def: $vgpr3_vgpr4
.LBB238_19:
	s_andn2_saveexec_b32 s0, s0
	s_cbranch_execz .LBB238_21
; %bb.20:
	v_lshlrev_b32_e32 v18, 1, v9
	v_mul_f64 v[28:29], v[16:17], -v[3:4]
	v_mul_f64 v[16:17], v[1:2], v[16:17]
	v_mul_f64 v[30:31], v[14:15], -v[3:4]
	v_mul_f64 v[14:15], v[1:2], v[14:15]
	v_ashrrev_i32_e32 v19, 31, v18
	v_lshlrev_b64 v[18:19], 4, v[18:19]
	s_waitcnt lgkmcnt(0)
	v_add_co_u32 v26, vcc_lo, s2, v18
	v_add_co_ci_u32_e64 v27, null, s3, v19, vcc_lo
	s_clause 0x1
	global_load_dwordx4 v[18:21], v[26:27], off
	global_load_dwordx4 v[22:25], v[26:27], off offset:16
	v_fma_f64 v[28:29], v[1:2], v[10:11], v[28:29]
	v_fma_f64 v[9:10], v[3:4], v[10:11], v[16:17]
	;; [unrolled: 1-line block ×4, first 2 shown]
	s_waitcnt vmcnt(1)
	v_fma_f64 v[11:12], v[5:6], v[18:19], v[28:29]
	v_fma_f64 v[9:10], v[7:8], v[18:19], v[9:10]
	s_waitcnt vmcnt(0)
	v_fma_f64 v[13:14], v[5:6], v[22:23], v[0:1]
	v_fma_f64 v[15:16], v[7:8], v[22:23], v[2:3]
	v_fma_f64 v[0:1], -v[7:8], v[20:21], v[11:12]
	v_fma_f64 v[2:3], v[5:6], v[20:21], v[9:10]
	v_fma_f64 v[7:8], -v[7:8], v[24:25], v[13:14]
	v_fma_f64 v[9:10], v[5:6], v[24:25], v[15:16]
	global_store_dwordx4 v[26:27], v[0:3], off
	global_store_dwordx4 v[26:27], v[7:10], off offset:16
.LBB238_21:
	s_endpgm
	.section	.rodata,"a",@progbits
	.p2align	6, 0x0
	.amdhsa_kernel _ZN9rocsparseL19gebsrmvn_2xn_kernelILj128ELj4ELj4E21rocsparse_complex_numIdEEEvi20rocsparse_direction_NS_24const_host_device_scalarIT2_EEPKiS8_PKS5_SA_S6_PS5_21rocsparse_index_base_b
		.amdhsa_group_segment_fixed_size 0
		.amdhsa_private_segment_fixed_size 0
		.amdhsa_kernarg_size 88
		.amdhsa_user_sgpr_count 6
		.amdhsa_user_sgpr_private_segment_buffer 1
		.amdhsa_user_sgpr_dispatch_ptr 0
		.amdhsa_user_sgpr_queue_ptr 0
		.amdhsa_user_sgpr_kernarg_segment_ptr 1
		.amdhsa_user_sgpr_dispatch_id 0
		.amdhsa_user_sgpr_flat_scratch_init 0
		.amdhsa_user_sgpr_private_segment_size 0
		.amdhsa_wavefront_size32 1
		.amdhsa_uses_dynamic_stack 0
		.amdhsa_system_sgpr_private_segment_wavefront_offset 0
		.amdhsa_system_sgpr_workgroup_id_x 1
		.amdhsa_system_sgpr_workgroup_id_y 0
		.amdhsa_system_sgpr_workgroup_id_z 0
		.amdhsa_system_sgpr_workgroup_info 0
		.amdhsa_system_vgpr_workitem_id 0
		.amdhsa_next_free_vgpr 73
		.amdhsa_next_free_sgpr 16
		.amdhsa_reserve_vcc 1
		.amdhsa_reserve_flat_scratch 0
		.amdhsa_float_round_mode_32 0
		.amdhsa_float_round_mode_16_64 0
		.amdhsa_float_denorm_mode_32 3
		.amdhsa_float_denorm_mode_16_64 3
		.amdhsa_dx10_clamp 1
		.amdhsa_ieee_mode 1
		.amdhsa_fp16_overflow 0
		.amdhsa_workgroup_processor_mode 1
		.amdhsa_memory_ordered 1
		.amdhsa_forward_progress 1
		.amdhsa_shared_vgpr_count 0
		.amdhsa_exception_fp_ieee_invalid_op 0
		.amdhsa_exception_fp_denorm_src 0
		.amdhsa_exception_fp_ieee_div_zero 0
		.amdhsa_exception_fp_ieee_overflow 0
		.amdhsa_exception_fp_ieee_underflow 0
		.amdhsa_exception_fp_ieee_inexact 0
		.amdhsa_exception_int_div_zero 0
	.end_amdhsa_kernel
	.section	.text._ZN9rocsparseL19gebsrmvn_2xn_kernelILj128ELj4ELj4E21rocsparse_complex_numIdEEEvi20rocsparse_direction_NS_24const_host_device_scalarIT2_EEPKiS8_PKS5_SA_S6_PS5_21rocsparse_index_base_b,"axG",@progbits,_ZN9rocsparseL19gebsrmvn_2xn_kernelILj128ELj4ELj4E21rocsparse_complex_numIdEEEvi20rocsparse_direction_NS_24const_host_device_scalarIT2_EEPKiS8_PKS5_SA_S6_PS5_21rocsparse_index_base_b,comdat
.Lfunc_end238:
	.size	_ZN9rocsparseL19gebsrmvn_2xn_kernelILj128ELj4ELj4E21rocsparse_complex_numIdEEEvi20rocsparse_direction_NS_24const_host_device_scalarIT2_EEPKiS8_PKS5_SA_S6_PS5_21rocsparse_index_base_b, .Lfunc_end238-_ZN9rocsparseL19gebsrmvn_2xn_kernelILj128ELj4ELj4E21rocsparse_complex_numIdEEEvi20rocsparse_direction_NS_24const_host_device_scalarIT2_EEPKiS8_PKS5_SA_S6_PS5_21rocsparse_index_base_b
                                        ; -- End function
	.set _ZN9rocsparseL19gebsrmvn_2xn_kernelILj128ELj4ELj4E21rocsparse_complex_numIdEEEvi20rocsparse_direction_NS_24const_host_device_scalarIT2_EEPKiS8_PKS5_SA_S6_PS5_21rocsparse_index_base_b.num_vgpr, 73
	.set _ZN9rocsparseL19gebsrmvn_2xn_kernelILj128ELj4ELj4E21rocsparse_complex_numIdEEEvi20rocsparse_direction_NS_24const_host_device_scalarIT2_EEPKiS8_PKS5_SA_S6_PS5_21rocsparse_index_base_b.num_agpr, 0
	.set _ZN9rocsparseL19gebsrmvn_2xn_kernelILj128ELj4ELj4E21rocsparse_complex_numIdEEEvi20rocsparse_direction_NS_24const_host_device_scalarIT2_EEPKiS8_PKS5_SA_S6_PS5_21rocsparse_index_base_b.numbered_sgpr, 16
	.set _ZN9rocsparseL19gebsrmvn_2xn_kernelILj128ELj4ELj4E21rocsparse_complex_numIdEEEvi20rocsparse_direction_NS_24const_host_device_scalarIT2_EEPKiS8_PKS5_SA_S6_PS5_21rocsparse_index_base_b.num_named_barrier, 0
	.set _ZN9rocsparseL19gebsrmvn_2xn_kernelILj128ELj4ELj4E21rocsparse_complex_numIdEEEvi20rocsparse_direction_NS_24const_host_device_scalarIT2_EEPKiS8_PKS5_SA_S6_PS5_21rocsparse_index_base_b.private_seg_size, 0
	.set _ZN9rocsparseL19gebsrmvn_2xn_kernelILj128ELj4ELj4E21rocsparse_complex_numIdEEEvi20rocsparse_direction_NS_24const_host_device_scalarIT2_EEPKiS8_PKS5_SA_S6_PS5_21rocsparse_index_base_b.uses_vcc, 1
	.set _ZN9rocsparseL19gebsrmvn_2xn_kernelILj128ELj4ELj4E21rocsparse_complex_numIdEEEvi20rocsparse_direction_NS_24const_host_device_scalarIT2_EEPKiS8_PKS5_SA_S6_PS5_21rocsparse_index_base_b.uses_flat_scratch, 0
	.set _ZN9rocsparseL19gebsrmvn_2xn_kernelILj128ELj4ELj4E21rocsparse_complex_numIdEEEvi20rocsparse_direction_NS_24const_host_device_scalarIT2_EEPKiS8_PKS5_SA_S6_PS5_21rocsparse_index_base_b.has_dyn_sized_stack, 0
	.set _ZN9rocsparseL19gebsrmvn_2xn_kernelILj128ELj4ELj4E21rocsparse_complex_numIdEEEvi20rocsparse_direction_NS_24const_host_device_scalarIT2_EEPKiS8_PKS5_SA_S6_PS5_21rocsparse_index_base_b.has_recursion, 0
	.set _ZN9rocsparseL19gebsrmvn_2xn_kernelILj128ELj4ELj4E21rocsparse_complex_numIdEEEvi20rocsparse_direction_NS_24const_host_device_scalarIT2_EEPKiS8_PKS5_SA_S6_PS5_21rocsparse_index_base_b.has_indirect_call, 0
	.section	.AMDGPU.csdata,"",@progbits
; Kernel info:
; codeLenInByte = 2140
; TotalNumSgprs: 18
; NumVgprs: 73
; ScratchSize: 0
; MemoryBound: 1
; FloatMode: 240
; IeeeMode: 1
; LDSByteSize: 0 bytes/workgroup (compile time only)
; SGPRBlocks: 0
; VGPRBlocks: 9
; NumSGPRsForWavesPerEU: 18
; NumVGPRsForWavesPerEU: 73
; Occupancy: 12
; WaveLimiterHint : 1
; COMPUTE_PGM_RSRC2:SCRATCH_EN: 0
; COMPUTE_PGM_RSRC2:USER_SGPR: 6
; COMPUTE_PGM_RSRC2:TRAP_HANDLER: 0
; COMPUTE_PGM_RSRC2:TGID_X_EN: 1
; COMPUTE_PGM_RSRC2:TGID_Y_EN: 0
; COMPUTE_PGM_RSRC2:TGID_Z_EN: 0
; COMPUTE_PGM_RSRC2:TIDIG_COMP_CNT: 0
	.section	.text._ZN9rocsparseL19gebsrmvn_2xn_kernelILj128ELj4ELj8E21rocsparse_complex_numIdEEEvi20rocsparse_direction_NS_24const_host_device_scalarIT2_EEPKiS8_PKS5_SA_S6_PS5_21rocsparse_index_base_b,"axG",@progbits,_ZN9rocsparseL19gebsrmvn_2xn_kernelILj128ELj4ELj8E21rocsparse_complex_numIdEEEvi20rocsparse_direction_NS_24const_host_device_scalarIT2_EEPKiS8_PKS5_SA_S6_PS5_21rocsparse_index_base_b,comdat
	.globl	_ZN9rocsparseL19gebsrmvn_2xn_kernelILj128ELj4ELj8E21rocsparse_complex_numIdEEEvi20rocsparse_direction_NS_24const_host_device_scalarIT2_EEPKiS8_PKS5_SA_S6_PS5_21rocsparse_index_base_b ; -- Begin function _ZN9rocsparseL19gebsrmvn_2xn_kernelILj128ELj4ELj8E21rocsparse_complex_numIdEEEvi20rocsparse_direction_NS_24const_host_device_scalarIT2_EEPKiS8_PKS5_SA_S6_PS5_21rocsparse_index_base_b
	.p2align	8
	.type	_ZN9rocsparseL19gebsrmvn_2xn_kernelILj128ELj4ELj8E21rocsparse_complex_numIdEEEvi20rocsparse_direction_NS_24const_host_device_scalarIT2_EEPKiS8_PKS5_SA_S6_PS5_21rocsparse_index_base_b,@function
_ZN9rocsparseL19gebsrmvn_2xn_kernelILj128ELj4ELj8E21rocsparse_complex_numIdEEEvi20rocsparse_direction_NS_24const_host_device_scalarIT2_EEPKiS8_PKS5_SA_S6_PS5_21rocsparse_index_base_b: ; @_ZN9rocsparseL19gebsrmvn_2xn_kernelILj128ELj4ELj8E21rocsparse_complex_numIdEEEvi20rocsparse_direction_NS_24const_host_device_scalarIT2_EEPKiS8_PKS5_SA_S6_PS5_21rocsparse_index_base_b
; %bb.0:
	s_clause 0x1
	s_load_dwordx2 s[2:3], s[4:5], 0x50
	s_load_dwordx2 s[0:1], s[4:5], 0x8
	s_add_u32 s7, s4, 8
	s_addc_u32 s10, s5, 0
	s_add_u32 s11, s4, 56
	s_addc_u32 s12, s5, 0
	s_load_dwordx2 s[8:9], s[4:5], 0x38
	s_waitcnt lgkmcnt(0)
	s_bitcmp1_b32 s3, 0
	s_cselect_b32 s0, s7, s0
	s_cselect_b32 s1, s10, s1
	v_mov_b32_e32 v1, s0
	v_mov_b32_e32 v2, s1
	s_cselect_b32 s0, s11, s8
	s_cselect_b32 s1, s12, s9
	v_mov_b32_e32 v5, s0
	v_mov_b32_e32 v6, s1
	flat_load_dwordx4 v[1:4], v[1:2]
	flat_load_dwordx4 v[5:8], v[5:6]
	s_waitcnt vmcnt(1) lgkmcnt(1)
	v_cmp_eq_f64_e32 vcc_lo, 0, v[1:2]
	v_cmp_eq_f64_e64 s0, 0, v[3:4]
	s_and_b32 s3, vcc_lo, s0
	s_mov_b32 s0, -1
	s_and_saveexec_b32 s1, s3
	s_cbranch_execz .LBB239_2
; %bb.1:
	s_waitcnt vmcnt(0) lgkmcnt(0)
	v_cmp_neq_f64_e32 vcc_lo, 1.0, v[5:6]
	v_cmp_neq_f64_e64 s0, 0, v[7:8]
	s_or_b32 s0, vcc_lo, s0
	s_orn2_b32 s0, s0, exec_lo
.LBB239_2:
	s_or_b32 exec_lo, exec_lo, s1
	s_and_saveexec_b32 s1, s0
	s_cbranch_execz .LBB239_21
; %bb.3:
	s_load_dwordx2 s[0:1], s[4:5], 0x0
	v_lshrrev_b32_e32 v9, 3, v0
	v_lshl_or_b32 v9, s6, 4, v9
	s_waitcnt lgkmcnt(0)
	v_cmp_gt_i32_e32 vcc_lo, s0, v9
	s_and_b32 exec_lo, exec_lo, vcc_lo
	s_cbranch_execz .LBB239_21
; %bb.4:
	s_load_dwordx8 s[8:15], s[4:5], 0x18
	v_ashrrev_i32_e32 v10, 31, v9
	v_and_b32_e32 v0, 7, v0
	s_cmp_lg_u32 s1, 0
	v_lshlrev_b64 v[10:11], 2, v[9:10]
	s_waitcnt lgkmcnt(0)
	v_add_co_u32 v10, vcc_lo, s8, v10
	v_add_co_ci_u32_e64 v11, null, s9, v11, vcc_lo
	global_load_dwordx2 v[10:11], v[10:11], off
	s_waitcnt vmcnt(0)
	v_subrev_nc_u32_e32 v10, s2, v10
	v_subrev_nc_u32_e32 v24, s2, v11
	v_add_nc_u32_e32 v10, v10, v0
	v_cmp_lt_i32_e64 s0, v10, v24
	s_cbranch_scc0 .LBB239_10
; %bb.5:
	v_mov_b32_e32 v12, 0
	v_mov_b32_e32 v14, 0
	;; [unrolled: 1-line block ×8, first 2 shown]
	s_and_saveexec_b32 s1, s0
	s_cbranch_execz .LBB239_9
; %bb.6:
	v_mov_b32_e32 v12, 0
	v_mov_b32_e32 v14, 0
	;; [unrolled: 1-line block ×4, first 2 shown]
	v_lshlrev_b32_e32 v20, 3, v10
	v_mov_b32_e32 v13, 0
	v_mov_b32_e32 v21, 0
	;; [unrolled: 1-line block ×6, first 2 shown]
	s_mov_b32 s3, 0
.LBB239_7:                              ; =>This Inner Loop Header: Depth=1
	v_ashrrev_i32_e32 v23, 31, v22
	v_mov_b32_e32 v30, v21
	v_lshlrev_b64 v[25:26], 2, v[22:23]
	v_add_nc_u32_e32 v22, 8, v22
	v_add_co_u32 v25, vcc_lo, s10, v25
	v_add_co_ci_u32_e64 v26, null, s11, v26, vcc_lo
	global_load_dword v11, v[25:26], off
	v_lshlrev_b64 v[25:26], 4, v[20:21]
	v_add_nc_u32_e32 v20, 64, v20
	v_add_co_u32 v65, vcc_lo, s12, v25
	v_add_co_ci_u32_e64 v66, null, s13, v26, vcc_lo
	global_load_dwordx4 v[25:28], v[65:66], off offset:16
	s_waitcnt vmcnt(1)
	v_subrev_nc_u32_e32 v11, s2, v11
	v_lshlrev_b32_e32 v29, 2, v11
	v_lshlrev_b64 v[29:30], 4, v[29:30]
	v_add_co_u32 v69, vcc_lo, s14, v29
	v_add_co_ci_u32_e64 v70, null, s15, v30, vcc_lo
	v_cmp_ge_i32_e32 vcc_lo, v22, v24
	global_load_dwordx4 v[29:32], v[65:66], off
	global_load_dwordx4 v[33:36], v[69:70], off
	s_clause 0x1
	global_load_dwordx4 v[37:40], v[65:66], off offset:32
	global_load_dwordx4 v[41:44], v[65:66], off offset:48
	global_load_dwordx4 v[45:48], v[69:70], off offset:16
	s_clause 0x1
	global_load_dwordx4 v[49:52], v[65:66], off offset:80
	global_load_dwordx4 v[53:56], v[65:66], off offset:64
	global_load_dwordx4 v[57:60], v[69:70], off offset:32
	;; [unrolled: 4-line block ×3, first 2 shown]
	s_or_b32 s3, vcc_lo, s3
	s_waitcnt vmcnt(9)
	v_fma_f64 v[14:15], v[29:30], v[33:34], v[14:15]
	v_fma_f64 v[11:12], v[31:32], v[33:34], v[12:13]
	v_fma_f64 v[16:17], v[25:26], v[33:34], v[16:17]
	v_fma_f64 v[18:19], v[27:28], v[33:34], v[18:19]
	v_fma_f64 v[13:14], -v[31:32], v[35:36], v[14:15]
	v_fma_f64 v[11:12], v[29:30], v[35:36], v[11:12]
	v_fma_f64 v[15:16], -v[27:28], v[35:36], v[16:17]
	v_fma_f64 v[17:18], v[25:26], v[35:36], v[18:19]
	s_waitcnt vmcnt(6)
	v_fma_f64 v[13:14], v[37:38], v[45:46], v[13:14]
	v_fma_f64 v[11:12], v[39:40], v[45:46], v[11:12]
	v_fma_f64 v[15:16], v[41:42], v[45:46], v[15:16]
	v_fma_f64 v[17:18], v[43:44], v[45:46], v[17:18]
	v_fma_f64 v[13:14], -v[39:40], v[47:48], v[13:14]
	v_fma_f64 v[11:12], v[37:38], v[47:48], v[11:12]
	v_fma_f64 v[15:16], -v[43:44], v[47:48], v[15:16]
	v_fma_f64 v[17:18], v[41:42], v[47:48], v[17:18]
	;; [unrolled: 9-line block ×4, first 2 shown]
	s_andn2_b32 exec_lo, exec_lo, s3
	s_cbranch_execnz .LBB239_7
; %bb.8:
	s_or_b32 exec_lo, exec_lo, s3
.LBB239_9:
	s_or_b32 exec_lo, exec_lo, s1
	s_cbranch_execz .LBB239_11
	s_branch .LBB239_16
.LBB239_10:
                                        ; implicit-def: $vgpr12_vgpr13
                                        ; implicit-def: $vgpr14_vgpr15
                                        ; implicit-def: $vgpr16_vgpr17
                                        ; implicit-def: $vgpr18_vgpr19
.LBB239_11:
	v_mov_b32_e32 v12, 0
	v_mov_b32_e32 v14, 0
	v_mov_b32_e32 v16, 0
	v_mov_b32_e32 v18, 0
	v_mov_b32_e32 v13, 0
	v_mov_b32_e32 v15, 0
	v_mov_b32_e32 v17, 0
	v_mov_b32_e32 v19, 0
	s_and_saveexec_b32 s1, s0
	s_cbranch_execz .LBB239_15
; %bb.12:
	v_mov_b32_e32 v12, 0
	v_mov_b32_e32 v14, 0
	;; [unrolled: 1-line block ×4, first 2 shown]
	v_lshlrev_b32_e32 v20, 3, v10
	v_mov_b32_e32 v13, 0
	v_mov_b32_e32 v15, 0
	;; [unrolled: 1-line block ×5, first 2 shown]
	s_mov_b32 s0, 0
.LBB239_13:                             ; =>This Inner Loop Header: Depth=1
	v_ashrrev_i32_e32 v11, 31, v10
	v_mov_b32_e32 v30, v21
	v_lshlrev_b64 v[22:23], 2, v[10:11]
	v_add_nc_u32_e32 v10, 8, v10
	v_add_co_u32 v22, vcc_lo, s10, v22
	v_add_co_ci_u32_e64 v23, null, s11, v23, vcc_lo
	global_load_dword v11, v[22:23], off
	v_lshlrev_b64 v[22:23], 4, v[20:21]
	v_add_nc_u32_e32 v20, 64, v20
	v_add_co_u32 v22, vcc_lo, s12, v22
	v_add_co_ci_u32_e64 v23, null, s13, v23, vcc_lo
	global_load_dwordx4 v[25:28], v[22:23], off
	s_waitcnt vmcnt(1)
	v_subrev_nc_u32_e32 v11, s2, v11
	v_lshlrev_b32_e32 v29, 2, v11
	v_lshlrev_b64 v[29:30], 4, v[29:30]
	v_add_co_u32 v69, vcc_lo, s14, v29
	v_add_co_ci_u32_e64 v70, null, s15, v30, vcc_lo
	v_cmp_ge_i32_e32 vcc_lo, v10, v24
	global_load_dwordx4 v[29:32], v[22:23], off offset:64
	global_load_dwordx4 v[33:36], v[69:70], off
	s_clause 0x1
	global_load_dwordx4 v[37:40], v[22:23], off offset:16
	global_load_dwordx4 v[41:44], v[22:23], off offset:80
	global_load_dwordx4 v[45:48], v[69:70], off offset:16
	s_clause 0x1
	global_load_dwordx4 v[49:52], v[22:23], off offset:32
	global_load_dwordx4 v[53:56], v[22:23], off offset:96
	global_load_dwordx4 v[57:60], v[69:70], off offset:32
	;; [unrolled: 4-line block ×3, first 2 shown]
	s_or_b32 s0, vcc_lo, s0
	s_waitcnt vmcnt(9)
	v_fma_f64 v[14:15], v[25:26], v[33:34], v[14:15]
	v_fma_f64 v[11:12], v[27:28], v[33:34], v[12:13]
	v_fma_f64 v[16:17], v[29:30], v[33:34], v[16:17]
	v_fma_f64 v[18:19], v[31:32], v[33:34], v[18:19]
	v_fma_f64 v[13:14], -v[27:28], v[35:36], v[14:15]
	v_fma_f64 v[11:12], v[25:26], v[35:36], v[11:12]
	v_fma_f64 v[15:16], -v[31:32], v[35:36], v[16:17]
	v_fma_f64 v[17:18], v[29:30], v[35:36], v[18:19]
	s_waitcnt vmcnt(6)
	v_fma_f64 v[13:14], v[37:38], v[45:46], v[13:14]
	v_fma_f64 v[11:12], v[39:40], v[45:46], v[11:12]
	v_fma_f64 v[15:16], v[41:42], v[45:46], v[15:16]
	v_fma_f64 v[17:18], v[43:44], v[45:46], v[17:18]
	v_fma_f64 v[13:14], -v[39:40], v[47:48], v[13:14]
	v_fma_f64 v[11:12], v[37:38], v[47:48], v[11:12]
	v_fma_f64 v[15:16], -v[43:44], v[47:48], v[15:16]
	v_fma_f64 v[17:18], v[41:42], v[47:48], v[17:18]
	;; [unrolled: 9-line block ×4, first 2 shown]
	s_andn2_b32 exec_lo, exec_lo, s0
	s_cbranch_execnz .LBB239_13
; %bb.14:
	s_or_b32 exec_lo, exec_lo, s0
.LBB239_15:
	s_or_b32 exec_lo, exec_lo, s1
.LBB239_16:
	v_mbcnt_lo_u32_b32 v26, -1, 0
	v_xor_b32_e32 v10, 4, v26
	v_cmp_gt_i32_e32 vcc_lo, 32, v10
	v_cndmask_b32_e32 v10, v26, v10, vcc_lo
	v_lshlrev_b32_e32 v25, 2, v10
	ds_bpermute_b32 v10, v25, v14
	ds_bpermute_b32 v11, v25, v15
	ds_bpermute_b32 v20, v25, v12
	ds_bpermute_b32 v21, v25, v13
	ds_bpermute_b32 v22, v25, v16
	ds_bpermute_b32 v23, v25, v17
	ds_bpermute_b32 v24, v25, v18
	ds_bpermute_b32 v25, v25, v19
	s_waitcnt lgkmcnt(6)
	v_add_f64 v[10:11], v[14:15], v[10:11]
	s_waitcnt lgkmcnt(4)
	v_add_f64 v[12:13], v[12:13], v[20:21]
	;; [unrolled: 2-line block ×3, first 2 shown]
	v_xor_b32_e32 v16, 2, v26
	s_waitcnt lgkmcnt(0)
	v_add_f64 v[18:19], v[18:19], v[24:25]
	v_cmp_gt_i32_e32 vcc_lo, 32, v16
	v_cndmask_b32_e32 v16, v26, v16, vcc_lo
	v_lshlrev_b32_e32 v25, 2, v16
	ds_bpermute_b32 v16, v25, v10
	ds_bpermute_b32 v17, v25, v11
	;; [unrolled: 1-line block ×8, first 2 shown]
	s_waitcnt lgkmcnt(6)
	v_add_f64 v[10:11], v[10:11], v[16:17]
	s_waitcnt lgkmcnt(4)
	v_add_f64 v[16:17], v[12:13], v[20:21]
	;; [unrolled: 2-line block ×4, first 2 shown]
	v_xor_b32_e32 v18, 1, v26
	v_cmp_gt_i32_e32 vcc_lo, 32, v18
	v_cndmask_b32_e32 v18, v26, v18, vcc_lo
	v_cmp_eq_u32_e32 vcc_lo, 7, v0
	v_lshlrev_b32_e32 v21, 2, v18
	ds_bpermute_b32 v24, v21, v10
	ds_bpermute_b32 v25, v21, v11
	;; [unrolled: 1-line block ×8, first 2 shown]
	s_and_b32 exec_lo, exec_lo, vcc_lo
	s_cbranch_execz .LBB239_21
; %bb.17:
	v_cmp_eq_f64_e32 vcc_lo, 0, v[5:6]
	v_cmp_eq_f64_e64 s0, 0, v[7:8]
	s_waitcnt lgkmcnt(6)
	v_add_f64 v[10:11], v[10:11], v[24:25]
	s_waitcnt lgkmcnt(4)
	v_add_f64 v[16:17], v[16:17], v[22:23]
	;; [unrolled: 2-line block ×4, first 2 shown]
	s_load_dwordx2 s[2:3], s[4:5], 0x48
	s_and_b32 s0, vcc_lo, s0
	s_and_saveexec_b32 s1, s0
	s_xor_b32 s0, exec_lo, s1
	s_cbranch_execz .LBB239_19
; %bb.18:
	v_mul_f64 v[5:6], v[16:17], -v[3:4]
	v_mul_f64 v[7:8], v[1:2], v[16:17]
	v_mul_f64 v[16:17], v[14:15], -v[3:4]
	v_mul_f64 v[14:15], v[1:2], v[14:15]
	v_lshlrev_b32_e32 v9, 1, v9
	v_fma_f64 v[5:6], v[1:2], v[10:11], v[5:6]
	v_fma_f64 v[7:8], v[3:4], v[10:11], v[7:8]
	;; [unrolled: 1-line block ×4, first 2 shown]
	v_ashrrev_i32_e32 v10, 31, v9
                                        ; implicit-def: $vgpr16_vgpr17
                                        ; implicit-def: $vgpr12_vgpr13
                                        ; implicit-def: $vgpr14_vgpr15
	v_lshlrev_b64 v[9:10], 4, v[9:10]
	s_waitcnt lgkmcnt(0)
	v_add_co_u32 v9, vcc_lo, s2, v9
	v_add_co_ci_u32_e64 v10, null, s3, v10, vcc_lo
	global_store_dwordx4 v[9:10], v[5:8], off
	global_store_dwordx4 v[9:10], v[0:3], off offset:16
                                        ; implicit-def: $vgpr9
                                        ; implicit-def: $vgpr10_vgpr11
                                        ; implicit-def: $vgpr7_vgpr8
                                        ; implicit-def: $vgpr3_vgpr4
.LBB239_19:
	s_andn2_saveexec_b32 s0, s0
	s_cbranch_execz .LBB239_21
; %bb.20:
	v_lshlrev_b32_e32 v18, 1, v9
	v_mul_f64 v[28:29], v[16:17], -v[3:4]
	v_mul_f64 v[16:17], v[1:2], v[16:17]
	v_mul_f64 v[30:31], v[14:15], -v[3:4]
	v_mul_f64 v[14:15], v[1:2], v[14:15]
	v_ashrrev_i32_e32 v19, 31, v18
	v_lshlrev_b64 v[18:19], 4, v[18:19]
	s_waitcnt lgkmcnt(0)
	v_add_co_u32 v26, vcc_lo, s2, v18
	v_add_co_ci_u32_e64 v27, null, s3, v19, vcc_lo
	s_clause 0x1
	global_load_dwordx4 v[18:21], v[26:27], off
	global_load_dwordx4 v[22:25], v[26:27], off offset:16
	v_fma_f64 v[28:29], v[1:2], v[10:11], v[28:29]
	v_fma_f64 v[9:10], v[3:4], v[10:11], v[16:17]
	;; [unrolled: 1-line block ×4, first 2 shown]
	s_waitcnt vmcnt(1)
	v_fma_f64 v[11:12], v[5:6], v[18:19], v[28:29]
	v_fma_f64 v[9:10], v[7:8], v[18:19], v[9:10]
	s_waitcnt vmcnt(0)
	v_fma_f64 v[13:14], v[5:6], v[22:23], v[0:1]
	v_fma_f64 v[15:16], v[7:8], v[22:23], v[2:3]
	v_fma_f64 v[0:1], -v[7:8], v[20:21], v[11:12]
	v_fma_f64 v[2:3], v[5:6], v[20:21], v[9:10]
	v_fma_f64 v[7:8], -v[7:8], v[24:25], v[13:14]
	v_fma_f64 v[9:10], v[5:6], v[24:25], v[15:16]
	global_store_dwordx4 v[26:27], v[0:3], off
	global_store_dwordx4 v[26:27], v[7:10], off offset:16
.LBB239_21:
	s_endpgm
	.section	.rodata,"a",@progbits
	.p2align	6, 0x0
	.amdhsa_kernel _ZN9rocsparseL19gebsrmvn_2xn_kernelILj128ELj4ELj8E21rocsparse_complex_numIdEEEvi20rocsparse_direction_NS_24const_host_device_scalarIT2_EEPKiS8_PKS5_SA_S6_PS5_21rocsparse_index_base_b
		.amdhsa_group_segment_fixed_size 0
		.amdhsa_private_segment_fixed_size 0
		.amdhsa_kernarg_size 88
		.amdhsa_user_sgpr_count 6
		.amdhsa_user_sgpr_private_segment_buffer 1
		.amdhsa_user_sgpr_dispatch_ptr 0
		.amdhsa_user_sgpr_queue_ptr 0
		.amdhsa_user_sgpr_kernarg_segment_ptr 1
		.amdhsa_user_sgpr_dispatch_id 0
		.amdhsa_user_sgpr_flat_scratch_init 0
		.amdhsa_user_sgpr_private_segment_size 0
		.amdhsa_wavefront_size32 1
		.amdhsa_uses_dynamic_stack 0
		.amdhsa_system_sgpr_private_segment_wavefront_offset 0
		.amdhsa_system_sgpr_workgroup_id_x 1
		.amdhsa_system_sgpr_workgroup_id_y 0
		.amdhsa_system_sgpr_workgroup_id_z 0
		.amdhsa_system_sgpr_workgroup_info 0
		.amdhsa_system_vgpr_workitem_id 0
		.amdhsa_next_free_vgpr 73
		.amdhsa_next_free_sgpr 16
		.amdhsa_reserve_vcc 1
		.amdhsa_reserve_flat_scratch 0
		.amdhsa_float_round_mode_32 0
		.amdhsa_float_round_mode_16_64 0
		.amdhsa_float_denorm_mode_32 3
		.amdhsa_float_denorm_mode_16_64 3
		.amdhsa_dx10_clamp 1
		.amdhsa_ieee_mode 1
		.amdhsa_fp16_overflow 0
		.amdhsa_workgroup_processor_mode 1
		.amdhsa_memory_ordered 1
		.amdhsa_forward_progress 1
		.amdhsa_shared_vgpr_count 0
		.amdhsa_exception_fp_ieee_invalid_op 0
		.amdhsa_exception_fp_denorm_src 0
		.amdhsa_exception_fp_ieee_div_zero 0
		.amdhsa_exception_fp_ieee_overflow 0
		.amdhsa_exception_fp_ieee_underflow 0
		.amdhsa_exception_fp_ieee_inexact 0
		.amdhsa_exception_int_div_zero 0
	.end_amdhsa_kernel
	.section	.text._ZN9rocsparseL19gebsrmvn_2xn_kernelILj128ELj4ELj8E21rocsparse_complex_numIdEEEvi20rocsparse_direction_NS_24const_host_device_scalarIT2_EEPKiS8_PKS5_SA_S6_PS5_21rocsparse_index_base_b,"axG",@progbits,_ZN9rocsparseL19gebsrmvn_2xn_kernelILj128ELj4ELj8E21rocsparse_complex_numIdEEEvi20rocsparse_direction_NS_24const_host_device_scalarIT2_EEPKiS8_PKS5_SA_S6_PS5_21rocsparse_index_base_b,comdat
.Lfunc_end239:
	.size	_ZN9rocsparseL19gebsrmvn_2xn_kernelILj128ELj4ELj8E21rocsparse_complex_numIdEEEvi20rocsparse_direction_NS_24const_host_device_scalarIT2_EEPKiS8_PKS5_SA_S6_PS5_21rocsparse_index_base_b, .Lfunc_end239-_ZN9rocsparseL19gebsrmvn_2xn_kernelILj128ELj4ELj8E21rocsparse_complex_numIdEEEvi20rocsparse_direction_NS_24const_host_device_scalarIT2_EEPKiS8_PKS5_SA_S6_PS5_21rocsparse_index_base_b
                                        ; -- End function
	.set _ZN9rocsparseL19gebsrmvn_2xn_kernelILj128ELj4ELj8E21rocsparse_complex_numIdEEEvi20rocsparse_direction_NS_24const_host_device_scalarIT2_EEPKiS8_PKS5_SA_S6_PS5_21rocsparse_index_base_b.num_vgpr, 73
	.set _ZN9rocsparseL19gebsrmvn_2xn_kernelILj128ELj4ELj8E21rocsparse_complex_numIdEEEvi20rocsparse_direction_NS_24const_host_device_scalarIT2_EEPKiS8_PKS5_SA_S6_PS5_21rocsparse_index_base_b.num_agpr, 0
	.set _ZN9rocsparseL19gebsrmvn_2xn_kernelILj128ELj4ELj8E21rocsparse_complex_numIdEEEvi20rocsparse_direction_NS_24const_host_device_scalarIT2_EEPKiS8_PKS5_SA_S6_PS5_21rocsparse_index_base_b.numbered_sgpr, 16
	.set _ZN9rocsparseL19gebsrmvn_2xn_kernelILj128ELj4ELj8E21rocsparse_complex_numIdEEEvi20rocsparse_direction_NS_24const_host_device_scalarIT2_EEPKiS8_PKS5_SA_S6_PS5_21rocsparse_index_base_b.num_named_barrier, 0
	.set _ZN9rocsparseL19gebsrmvn_2xn_kernelILj128ELj4ELj8E21rocsparse_complex_numIdEEEvi20rocsparse_direction_NS_24const_host_device_scalarIT2_EEPKiS8_PKS5_SA_S6_PS5_21rocsparse_index_base_b.private_seg_size, 0
	.set _ZN9rocsparseL19gebsrmvn_2xn_kernelILj128ELj4ELj8E21rocsparse_complex_numIdEEEvi20rocsparse_direction_NS_24const_host_device_scalarIT2_EEPKiS8_PKS5_SA_S6_PS5_21rocsparse_index_base_b.uses_vcc, 1
	.set _ZN9rocsparseL19gebsrmvn_2xn_kernelILj128ELj4ELj8E21rocsparse_complex_numIdEEEvi20rocsparse_direction_NS_24const_host_device_scalarIT2_EEPKiS8_PKS5_SA_S6_PS5_21rocsparse_index_base_b.uses_flat_scratch, 0
	.set _ZN9rocsparseL19gebsrmvn_2xn_kernelILj128ELj4ELj8E21rocsparse_complex_numIdEEEvi20rocsparse_direction_NS_24const_host_device_scalarIT2_EEPKiS8_PKS5_SA_S6_PS5_21rocsparse_index_base_b.has_dyn_sized_stack, 0
	.set _ZN9rocsparseL19gebsrmvn_2xn_kernelILj128ELj4ELj8E21rocsparse_complex_numIdEEEvi20rocsparse_direction_NS_24const_host_device_scalarIT2_EEPKiS8_PKS5_SA_S6_PS5_21rocsparse_index_base_b.has_recursion, 0
	.set _ZN9rocsparseL19gebsrmvn_2xn_kernelILj128ELj4ELj8E21rocsparse_complex_numIdEEEvi20rocsparse_direction_NS_24const_host_device_scalarIT2_EEPKiS8_PKS5_SA_S6_PS5_21rocsparse_index_base_b.has_indirect_call, 0
	.section	.AMDGPU.csdata,"",@progbits
; Kernel info:
; codeLenInByte = 2268
; TotalNumSgprs: 18
; NumVgprs: 73
; ScratchSize: 0
; MemoryBound: 1
; FloatMode: 240
; IeeeMode: 1
; LDSByteSize: 0 bytes/workgroup (compile time only)
; SGPRBlocks: 0
; VGPRBlocks: 9
; NumSGPRsForWavesPerEU: 18
; NumVGPRsForWavesPerEU: 73
; Occupancy: 12
; WaveLimiterHint : 1
; COMPUTE_PGM_RSRC2:SCRATCH_EN: 0
; COMPUTE_PGM_RSRC2:USER_SGPR: 6
; COMPUTE_PGM_RSRC2:TRAP_HANDLER: 0
; COMPUTE_PGM_RSRC2:TGID_X_EN: 1
; COMPUTE_PGM_RSRC2:TGID_Y_EN: 0
; COMPUTE_PGM_RSRC2:TGID_Z_EN: 0
; COMPUTE_PGM_RSRC2:TIDIG_COMP_CNT: 0
	.section	.text._ZN9rocsparseL19gebsrmvn_2xn_kernelILj128ELj4ELj16E21rocsparse_complex_numIdEEEvi20rocsparse_direction_NS_24const_host_device_scalarIT2_EEPKiS8_PKS5_SA_S6_PS5_21rocsparse_index_base_b,"axG",@progbits,_ZN9rocsparseL19gebsrmvn_2xn_kernelILj128ELj4ELj16E21rocsparse_complex_numIdEEEvi20rocsparse_direction_NS_24const_host_device_scalarIT2_EEPKiS8_PKS5_SA_S6_PS5_21rocsparse_index_base_b,comdat
	.globl	_ZN9rocsparseL19gebsrmvn_2xn_kernelILj128ELj4ELj16E21rocsparse_complex_numIdEEEvi20rocsparse_direction_NS_24const_host_device_scalarIT2_EEPKiS8_PKS5_SA_S6_PS5_21rocsparse_index_base_b ; -- Begin function _ZN9rocsparseL19gebsrmvn_2xn_kernelILj128ELj4ELj16E21rocsparse_complex_numIdEEEvi20rocsparse_direction_NS_24const_host_device_scalarIT2_EEPKiS8_PKS5_SA_S6_PS5_21rocsparse_index_base_b
	.p2align	8
	.type	_ZN9rocsparseL19gebsrmvn_2xn_kernelILj128ELj4ELj16E21rocsparse_complex_numIdEEEvi20rocsparse_direction_NS_24const_host_device_scalarIT2_EEPKiS8_PKS5_SA_S6_PS5_21rocsparse_index_base_b,@function
_ZN9rocsparseL19gebsrmvn_2xn_kernelILj128ELj4ELj16E21rocsparse_complex_numIdEEEvi20rocsparse_direction_NS_24const_host_device_scalarIT2_EEPKiS8_PKS5_SA_S6_PS5_21rocsparse_index_base_b: ; @_ZN9rocsparseL19gebsrmvn_2xn_kernelILj128ELj4ELj16E21rocsparse_complex_numIdEEEvi20rocsparse_direction_NS_24const_host_device_scalarIT2_EEPKiS8_PKS5_SA_S6_PS5_21rocsparse_index_base_b
; %bb.0:
	s_clause 0x1
	s_load_dwordx2 s[2:3], s[4:5], 0x50
	s_load_dwordx2 s[0:1], s[4:5], 0x8
	s_add_u32 s7, s4, 8
	s_addc_u32 s10, s5, 0
	s_add_u32 s11, s4, 56
	s_addc_u32 s12, s5, 0
	s_load_dwordx2 s[8:9], s[4:5], 0x38
	s_waitcnt lgkmcnt(0)
	s_bitcmp1_b32 s3, 0
	s_cselect_b32 s0, s7, s0
	s_cselect_b32 s1, s10, s1
	v_mov_b32_e32 v1, s0
	v_mov_b32_e32 v2, s1
	s_cselect_b32 s0, s11, s8
	s_cselect_b32 s1, s12, s9
	v_mov_b32_e32 v5, s0
	v_mov_b32_e32 v6, s1
	flat_load_dwordx4 v[1:4], v[1:2]
	flat_load_dwordx4 v[5:8], v[5:6]
	s_waitcnt vmcnt(1) lgkmcnt(1)
	v_cmp_eq_f64_e32 vcc_lo, 0, v[1:2]
	v_cmp_eq_f64_e64 s0, 0, v[3:4]
	s_and_b32 s3, vcc_lo, s0
	s_mov_b32 s0, -1
	s_and_saveexec_b32 s1, s3
	s_cbranch_execz .LBB240_2
; %bb.1:
	s_waitcnt vmcnt(0) lgkmcnt(0)
	v_cmp_neq_f64_e32 vcc_lo, 1.0, v[5:6]
	v_cmp_neq_f64_e64 s0, 0, v[7:8]
	s_or_b32 s0, vcc_lo, s0
	s_orn2_b32 s0, s0, exec_lo
.LBB240_2:
	s_or_b32 exec_lo, exec_lo, s1
	s_and_saveexec_b32 s1, s0
	s_cbranch_execz .LBB240_21
; %bb.3:
	s_load_dwordx2 s[0:1], s[4:5], 0x0
	v_lshrrev_b32_e32 v9, 4, v0
	v_lshl_or_b32 v9, s6, 3, v9
	s_waitcnt lgkmcnt(0)
	v_cmp_gt_i32_e32 vcc_lo, s0, v9
	s_and_b32 exec_lo, exec_lo, vcc_lo
	s_cbranch_execz .LBB240_21
; %bb.4:
	s_load_dwordx8 s[8:15], s[4:5], 0x18
	v_ashrrev_i32_e32 v10, 31, v9
	v_and_b32_e32 v0, 15, v0
	s_cmp_lg_u32 s1, 0
	v_lshlrev_b64 v[10:11], 2, v[9:10]
	s_waitcnt lgkmcnt(0)
	v_add_co_u32 v10, vcc_lo, s8, v10
	v_add_co_ci_u32_e64 v11, null, s9, v11, vcc_lo
	global_load_dwordx2 v[10:11], v[10:11], off
	s_waitcnt vmcnt(0)
	v_subrev_nc_u32_e32 v10, s2, v10
	v_subrev_nc_u32_e32 v24, s2, v11
	v_add_nc_u32_e32 v10, v10, v0
	v_cmp_lt_i32_e64 s0, v10, v24
	s_cbranch_scc0 .LBB240_10
; %bb.5:
	v_mov_b32_e32 v12, 0
	v_mov_b32_e32 v14, 0
	v_mov_b32_e32 v16, 0
	v_mov_b32_e32 v18, 0
	v_mov_b32_e32 v13, 0
	v_mov_b32_e32 v15, 0
	v_mov_b32_e32 v17, 0
	v_mov_b32_e32 v19, 0
	s_and_saveexec_b32 s1, s0
	s_cbranch_execz .LBB240_9
; %bb.6:
	v_mov_b32_e32 v12, 0
	v_mov_b32_e32 v14, 0
	;; [unrolled: 1-line block ×4, first 2 shown]
	v_lshlrev_b32_e32 v20, 3, v10
	v_mov_b32_e32 v13, 0
	v_mov_b32_e32 v21, 0
	;; [unrolled: 1-line block ×6, first 2 shown]
	s_mov_b32 s3, 0
.LBB240_7:                              ; =>This Inner Loop Header: Depth=1
	v_ashrrev_i32_e32 v23, 31, v22
	v_mov_b32_e32 v30, v21
	v_lshlrev_b64 v[25:26], 2, v[22:23]
	v_add_nc_u32_e32 v22, 16, v22
	v_add_co_u32 v25, vcc_lo, s10, v25
	v_add_co_ci_u32_e64 v26, null, s11, v26, vcc_lo
	global_load_dword v11, v[25:26], off
	v_lshlrev_b64 v[25:26], 4, v[20:21]
	v_add_nc_u32_e32 v20, 0x80, v20
	v_add_co_u32 v65, vcc_lo, s12, v25
	v_add_co_ci_u32_e64 v66, null, s13, v26, vcc_lo
	global_load_dwordx4 v[25:28], v[65:66], off offset:16
	s_waitcnt vmcnt(1)
	v_subrev_nc_u32_e32 v11, s2, v11
	v_lshlrev_b32_e32 v29, 2, v11
	v_lshlrev_b64 v[29:30], 4, v[29:30]
	v_add_co_u32 v69, vcc_lo, s14, v29
	v_add_co_ci_u32_e64 v70, null, s15, v30, vcc_lo
	v_cmp_ge_i32_e32 vcc_lo, v22, v24
	global_load_dwordx4 v[29:32], v[65:66], off
	global_load_dwordx4 v[33:36], v[69:70], off
	s_clause 0x1
	global_load_dwordx4 v[37:40], v[65:66], off offset:32
	global_load_dwordx4 v[41:44], v[65:66], off offset:48
	global_load_dwordx4 v[45:48], v[69:70], off offset:16
	s_clause 0x1
	global_load_dwordx4 v[49:52], v[65:66], off offset:80
	global_load_dwordx4 v[53:56], v[65:66], off offset:64
	global_load_dwordx4 v[57:60], v[69:70], off offset:32
	s_clause 0x1
	global_load_dwordx4 v[61:64], v[65:66], off offset:96
	global_load_dwordx4 v[65:68], v[65:66], off offset:112
	global_load_dwordx4 v[69:72], v[69:70], off offset:48
	s_or_b32 s3, vcc_lo, s3
	s_waitcnt vmcnt(9)
	v_fma_f64 v[14:15], v[29:30], v[33:34], v[14:15]
	v_fma_f64 v[11:12], v[31:32], v[33:34], v[12:13]
	v_fma_f64 v[16:17], v[25:26], v[33:34], v[16:17]
	v_fma_f64 v[18:19], v[27:28], v[33:34], v[18:19]
	v_fma_f64 v[13:14], -v[31:32], v[35:36], v[14:15]
	v_fma_f64 v[11:12], v[29:30], v[35:36], v[11:12]
	v_fma_f64 v[15:16], -v[27:28], v[35:36], v[16:17]
	v_fma_f64 v[17:18], v[25:26], v[35:36], v[18:19]
	s_waitcnt vmcnt(6)
	v_fma_f64 v[13:14], v[37:38], v[45:46], v[13:14]
	v_fma_f64 v[11:12], v[39:40], v[45:46], v[11:12]
	v_fma_f64 v[15:16], v[41:42], v[45:46], v[15:16]
	v_fma_f64 v[17:18], v[43:44], v[45:46], v[17:18]
	v_fma_f64 v[13:14], -v[39:40], v[47:48], v[13:14]
	v_fma_f64 v[11:12], v[37:38], v[47:48], v[11:12]
	v_fma_f64 v[15:16], -v[43:44], v[47:48], v[15:16]
	v_fma_f64 v[17:18], v[41:42], v[47:48], v[17:18]
	;; [unrolled: 9-line block ×4, first 2 shown]
	s_andn2_b32 exec_lo, exec_lo, s3
	s_cbranch_execnz .LBB240_7
; %bb.8:
	s_or_b32 exec_lo, exec_lo, s3
.LBB240_9:
	s_or_b32 exec_lo, exec_lo, s1
	s_cbranch_execz .LBB240_11
	s_branch .LBB240_16
.LBB240_10:
                                        ; implicit-def: $vgpr12_vgpr13
                                        ; implicit-def: $vgpr14_vgpr15
                                        ; implicit-def: $vgpr16_vgpr17
                                        ; implicit-def: $vgpr18_vgpr19
.LBB240_11:
	v_mov_b32_e32 v12, 0
	v_mov_b32_e32 v14, 0
	;; [unrolled: 1-line block ×8, first 2 shown]
	s_and_saveexec_b32 s1, s0
	s_cbranch_execz .LBB240_15
; %bb.12:
	v_mov_b32_e32 v12, 0
	v_mov_b32_e32 v14, 0
	;; [unrolled: 1-line block ×4, first 2 shown]
	v_lshlrev_b32_e32 v20, 3, v10
	v_mov_b32_e32 v13, 0
	v_mov_b32_e32 v15, 0
	;; [unrolled: 1-line block ×5, first 2 shown]
	s_mov_b32 s0, 0
.LBB240_13:                             ; =>This Inner Loop Header: Depth=1
	v_ashrrev_i32_e32 v11, 31, v10
	v_mov_b32_e32 v30, v21
	v_lshlrev_b64 v[22:23], 2, v[10:11]
	v_add_nc_u32_e32 v10, 16, v10
	v_add_co_u32 v22, vcc_lo, s10, v22
	v_add_co_ci_u32_e64 v23, null, s11, v23, vcc_lo
	global_load_dword v11, v[22:23], off
	v_lshlrev_b64 v[22:23], 4, v[20:21]
	v_add_nc_u32_e32 v20, 0x80, v20
	v_add_co_u32 v22, vcc_lo, s12, v22
	v_add_co_ci_u32_e64 v23, null, s13, v23, vcc_lo
	global_load_dwordx4 v[25:28], v[22:23], off
	s_waitcnt vmcnt(1)
	v_subrev_nc_u32_e32 v11, s2, v11
	v_lshlrev_b32_e32 v29, 2, v11
	v_lshlrev_b64 v[29:30], 4, v[29:30]
	v_add_co_u32 v69, vcc_lo, s14, v29
	v_add_co_ci_u32_e64 v70, null, s15, v30, vcc_lo
	v_cmp_ge_i32_e32 vcc_lo, v10, v24
	global_load_dwordx4 v[29:32], v[22:23], off offset:64
	global_load_dwordx4 v[33:36], v[69:70], off
	s_clause 0x1
	global_load_dwordx4 v[37:40], v[22:23], off offset:16
	global_load_dwordx4 v[41:44], v[22:23], off offset:80
	global_load_dwordx4 v[45:48], v[69:70], off offset:16
	s_clause 0x1
	global_load_dwordx4 v[49:52], v[22:23], off offset:32
	global_load_dwordx4 v[53:56], v[22:23], off offset:96
	global_load_dwordx4 v[57:60], v[69:70], off offset:32
	s_clause 0x1
	global_load_dwordx4 v[61:64], v[22:23], off offset:48
	global_load_dwordx4 v[65:68], v[22:23], off offset:112
	global_load_dwordx4 v[69:72], v[69:70], off offset:48
	s_or_b32 s0, vcc_lo, s0
	s_waitcnt vmcnt(9)
	v_fma_f64 v[14:15], v[25:26], v[33:34], v[14:15]
	v_fma_f64 v[11:12], v[27:28], v[33:34], v[12:13]
	v_fma_f64 v[16:17], v[29:30], v[33:34], v[16:17]
	v_fma_f64 v[18:19], v[31:32], v[33:34], v[18:19]
	v_fma_f64 v[13:14], -v[27:28], v[35:36], v[14:15]
	v_fma_f64 v[11:12], v[25:26], v[35:36], v[11:12]
	v_fma_f64 v[15:16], -v[31:32], v[35:36], v[16:17]
	v_fma_f64 v[17:18], v[29:30], v[35:36], v[18:19]
	s_waitcnt vmcnt(6)
	v_fma_f64 v[13:14], v[37:38], v[45:46], v[13:14]
	v_fma_f64 v[11:12], v[39:40], v[45:46], v[11:12]
	v_fma_f64 v[15:16], v[41:42], v[45:46], v[15:16]
	v_fma_f64 v[17:18], v[43:44], v[45:46], v[17:18]
	v_fma_f64 v[13:14], -v[39:40], v[47:48], v[13:14]
	v_fma_f64 v[11:12], v[37:38], v[47:48], v[11:12]
	v_fma_f64 v[15:16], -v[43:44], v[47:48], v[15:16]
	v_fma_f64 v[17:18], v[41:42], v[47:48], v[17:18]
	;; [unrolled: 9-line block ×4, first 2 shown]
	s_andn2_b32 exec_lo, exec_lo, s0
	s_cbranch_execnz .LBB240_13
; %bb.14:
	s_or_b32 exec_lo, exec_lo, s0
.LBB240_15:
	s_or_b32 exec_lo, exec_lo, s1
.LBB240_16:
	v_mbcnt_lo_u32_b32 v26, -1, 0
	v_xor_b32_e32 v10, 8, v26
	v_cmp_gt_i32_e32 vcc_lo, 32, v10
	v_cndmask_b32_e32 v10, v26, v10, vcc_lo
	v_lshlrev_b32_e32 v25, 2, v10
	ds_bpermute_b32 v10, v25, v14
	ds_bpermute_b32 v11, v25, v15
	;; [unrolled: 1-line block ×8, first 2 shown]
	s_waitcnt lgkmcnt(6)
	v_add_f64 v[10:11], v[14:15], v[10:11]
	s_waitcnt lgkmcnt(4)
	v_add_f64 v[12:13], v[12:13], v[20:21]
	v_xor_b32_e32 v20, 4, v26
	s_waitcnt lgkmcnt(2)
	v_add_f64 v[14:15], v[16:17], v[22:23]
	s_waitcnt lgkmcnt(0)
	v_add_f64 v[16:17], v[18:19], v[24:25]
	v_cmp_gt_i32_e32 vcc_lo, 32, v20
	v_cndmask_b32_e32 v18, v26, v20, vcc_lo
	v_lshlrev_b32_e32 v25, 2, v18
	ds_bpermute_b32 v18, v25, v10
	ds_bpermute_b32 v19, v25, v11
	;; [unrolled: 1-line block ×8, first 2 shown]
	s_waitcnt lgkmcnt(6)
	v_add_f64 v[10:11], v[10:11], v[18:19]
	s_waitcnt lgkmcnt(4)
	v_add_f64 v[12:13], v[12:13], v[20:21]
	;; [unrolled: 2-line block ×4, first 2 shown]
	v_xor_b32_e32 v16, 2, v26
	v_cmp_gt_i32_e32 vcc_lo, 32, v16
	v_cndmask_b32_e32 v16, v26, v16, vcc_lo
	v_lshlrev_b32_e32 v25, 2, v16
	ds_bpermute_b32 v16, v25, v10
	ds_bpermute_b32 v17, v25, v11
	;; [unrolled: 1-line block ×8, first 2 shown]
	s_waitcnt lgkmcnt(6)
	v_add_f64 v[10:11], v[10:11], v[16:17]
	s_waitcnt lgkmcnt(4)
	v_add_f64 v[16:17], v[12:13], v[20:21]
	;; [unrolled: 2-line block ×4, first 2 shown]
	v_xor_b32_e32 v18, 1, v26
	v_cmp_gt_i32_e32 vcc_lo, 32, v18
	v_cndmask_b32_e32 v18, v26, v18, vcc_lo
	v_cmp_eq_u32_e32 vcc_lo, 15, v0
	v_lshlrev_b32_e32 v21, 2, v18
	ds_bpermute_b32 v24, v21, v10
	ds_bpermute_b32 v25, v21, v11
	ds_bpermute_b32 v22, v21, v16
	ds_bpermute_b32 v23, v21, v17
	ds_bpermute_b32 v18, v21, v12
	ds_bpermute_b32 v19, v21, v13
	ds_bpermute_b32 v20, v21, v14
	ds_bpermute_b32 v21, v21, v15
	s_and_b32 exec_lo, exec_lo, vcc_lo
	s_cbranch_execz .LBB240_21
; %bb.17:
	v_cmp_eq_f64_e32 vcc_lo, 0, v[5:6]
	v_cmp_eq_f64_e64 s0, 0, v[7:8]
	s_waitcnt lgkmcnt(6)
	v_add_f64 v[10:11], v[10:11], v[24:25]
	s_waitcnt lgkmcnt(4)
	v_add_f64 v[16:17], v[16:17], v[22:23]
	;; [unrolled: 2-line block ×4, first 2 shown]
	s_load_dwordx2 s[2:3], s[4:5], 0x48
	s_and_b32 s0, vcc_lo, s0
	s_and_saveexec_b32 s1, s0
	s_xor_b32 s0, exec_lo, s1
	s_cbranch_execz .LBB240_19
; %bb.18:
	v_mul_f64 v[5:6], v[16:17], -v[3:4]
	v_mul_f64 v[7:8], v[1:2], v[16:17]
	v_mul_f64 v[16:17], v[14:15], -v[3:4]
	v_mul_f64 v[14:15], v[1:2], v[14:15]
	v_lshlrev_b32_e32 v9, 1, v9
	v_fma_f64 v[5:6], v[1:2], v[10:11], v[5:6]
	v_fma_f64 v[7:8], v[3:4], v[10:11], v[7:8]
	;; [unrolled: 1-line block ×4, first 2 shown]
	v_ashrrev_i32_e32 v10, 31, v9
                                        ; implicit-def: $vgpr16_vgpr17
                                        ; implicit-def: $vgpr12_vgpr13
                                        ; implicit-def: $vgpr14_vgpr15
	v_lshlrev_b64 v[9:10], 4, v[9:10]
	s_waitcnt lgkmcnt(0)
	v_add_co_u32 v9, vcc_lo, s2, v9
	v_add_co_ci_u32_e64 v10, null, s3, v10, vcc_lo
	global_store_dwordx4 v[9:10], v[5:8], off
	global_store_dwordx4 v[9:10], v[0:3], off offset:16
                                        ; implicit-def: $vgpr9
                                        ; implicit-def: $vgpr10_vgpr11
                                        ; implicit-def: $vgpr7_vgpr8
                                        ; implicit-def: $vgpr3_vgpr4
.LBB240_19:
	s_andn2_saveexec_b32 s0, s0
	s_cbranch_execz .LBB240_21
; %bb.20:
	v_lshlrev_b32_e32 v18, 1, v9
	v_mul_f64 v[28:29], v[16:17], -v[3:4]
	v_mul_f64 v[16:17], v[1:2], v[16:17]
	v_mul_f64 v[30:31], v[14:15], -v[3:4]
	v_mul_f64 v[14:15], v[1:2], v[14:15]
	v_ashrrev_i32_e32 v19, 31, v18
	v_lshlrev_b64 v[18:19], 4, v[18:19]
	s_waitcnt lgkmcnt(0)
	v_add_co_u32 v26, vcc_lo, s2, v18
	v_add_co_ci_u32_e64 v27, null, s3, v19, vcc_lo
	s_clause 0x1
	global_load_dwordx4 v[18:21], v[26:27], off
	global_load_dwordx4 v[22:25], v[26:27], off offset:16
	v_fma_f64 v[28:29], v[1:2], v[10:11], v[28:29]
	v_fma_f64 v[9:10], v[3:4], v[10:11], v[16:17]
	;; [unrolled: 1-line block ×4, first 2 shown]
	s_waitcnt vmcnt(1)
	v_fma_f64 v[11:12], v[5:6], v[18:19], v[28:29]
	v_fma_f64 v[9:10], v[7:8], v[18:19], v[9:10]
	s_waitcnt vmcnt(0)
	v_fma_f64 v[13:14], v[5:6], v[22:23], v[0:1]
	v_fma_f64 v[15:16], v[7:8], v[22:23], v[2:3]
	v_fma_f64 v[0:1], -v[7:8], v[20:21], v[11:12]
	v_fma_f64 v[2:3], v[5:6], v[20:21], v[9:10]
	v_fma_f64 v[7:8], -v[7:8], v[24:25], v[13:14]
	v_fma_f64 v[9:10], v[5:6], v[24:25], v[15:16]
	global_store_dwordx4 v[26:27], v[0:3], off
	global_store_dwordx4 v[26:27], v[7:10], off offset:16
.LBB240_21:
	s_endpgm
	.section	.rodata,"a",@progbits
	.p2align	6, 0x0
	.amdhsa_kernel _ZN9rocsparseL19gebsrmvn_2xn_kernelILj128ELj4ELj16E21rocsparse_complex_numIdEEEvi20rocsparse_direction_NS_24const_host_device_scalarIT2_EEPKiS8_PKS5_SA_S6_PS5_21rocsparse_index_base_b
		.amdhsa_group_segment_fixed_size 0
		.amdhsa_private_segment_fixed_size 0
		.amdhsa_kernarg_size 88
		.amdhsa_user_sgpr_count 6
		.amdhsa_user_sgpr_private_segment_buffer 1
		.amdhsa_user_sgpr_dispatch_ptr 0
		.amdhsa_user_sgpr_queue_ptr 0
		.amdhsa_user_sgpr_kernarg_segment_ptr 1
		.amdhsa_user_sgpr_dispatch_id 0
		.amdhsa_user_sgpr_flat_scratch_init 0
		.amdhsa_user_sgpr_private_segment_size 0
		.amdhsa_wavefront_size32 1
		.amdhsa_uses_dynamic_stack 0
		.amdhsa_system_sgpr_private_segment_wavefront_offset 0
		.amdhsa_system_sgpr_workgroup_id_x 1
		.amdhsa_system_sgpr_workgroup_id_y 0
		.amdhsa_system_sgpr_workgroup_id_z 0
		.amdhsa_system_sgpr_workgroup_info 0
		.amdhsa_system_vgpr_workitem_id 0
		.amdhsa_next_free_vgpr 73
		.amdhsa_next_free_sgpr 16
		.amdhsa_reserve_vcc 1
		.amdhsa_reserve_flat_scratch 0
		.amdhsa_float_round_mode_32 0
		.amdhsa_float_round_mode_16_64 0
		.amdhsa_float_denorm_mode_32 3
		.amdhsa_float_denorm_mode_16_64 3
		.amdhsa_dx10_clamp 1
		.amdhsa_ieee_mode 1
		.amdhsa_fp16_overflow 0
		.amdhsa_workgroup_processor_mode 1
		.amdhsa_memory_ordered 1
		.amdhsa_forward_progress 1
		.amdhsa_shared_vgpr_count 0
		.amdhsa_exception_fp_ieee_invalid_op 0
		.amdhsa_exception_fp_denorm_src 0
		.amdhsa_exception_fp_ieee_div_zero 0
		.amdhsa_exception_fp_ieee_overflow 0
		.amdhsa_exception_fp_ieee_underflow 0
		.amdhsa_exception_fp_ieee_inexact 0
		.amdhsa_exception_int_div_zero 0
	.end_amdhsa_kernel
	.section	.text._ZN9rocsparseL19gebsrmvn_2xn_kernelILj128ELj4ELj16E21rocsparse_complex_numIdEEEvi20rocsparse_direction_NS_24const_host_device_scalarIT2_EEPKiS8_PKS5_SA_S6_PS5_21rocsparse_index_base_b,"axG",@progbits,_ZN9rocsparseL19gebsrmvn_2xn_kernelILj128ELj4ELj16E21rocsparse_complex_numIdEEEvi20rocsparse_direction_NS_24const_host_device_scalarIT2_EEPKiS8_PKS5_SA_S6_PS5_21rocsparse_index_base_b,comdat
.Lfunc_end240:
	.size	_ZN9rocsparseL19gebsrmvn_2xn_kernelILj128ELj4ELj16E21rocsparse_complex_numIdEEEvi20rocsparse_direction_NS_24const_host_device_scalarIT2_EEPKiS8_PKS5_SA_S6_PS5_21rocsparse_index_base_b, .Lfunc_end240-_ZN9rocsparseL19gebsrmvn_2xn_kernelILj128ELj4ELj16E21rocsparse_complex_numIdEEEvi20rocsparse_direction_NS_24const_host_device_scalarIT2_EEPKiS8_PKS5_SA_S6_PS5_21rocsparse_index_base_b
                                        ; -- End function
	.set _ZN9rocsparseL19gebsrmvn_2xn_kernelILj128ELj4ELj16E21rocsparse_complex_numIdEEEvi20rocsparse_direction_NS_24const_host_device_scalarIT2_EEPKiS8_PKS5_SA_S6_PS5_21rocsparse_index_base_b.num_vgpr, 73
	.set _ZN9rocsparseL19gebsrmvn_2xn_kernelILj128ELj4ELj16E21rocsparse_complex_numIdEEEvi20rocsparse_direction_NS_24const_host_device_scalarIT2_EEPKiS8_PKS5_SA_S6_PS5_21rocsparse_index_base_b.num_agpr, 0
	.set _ZN9rocsparseL19gebsrmvn_2xn_kernelILj128ELj4ELj16E21rocsparse_complex_numIdEEEvi20rocsparse_direction_NS_24const_host_device_scalarIT2_EEPKiS8_PKS5_SA_S6_PS5_21rocsparse_index_base_b.numbered_sgpr, 16
	.set _ZN9rocsparseL19gebsrmvn_2xn_kernelILj128ELj4ELj16E21rocsparse_complex_numIdEEEvi20rocsparse_direction_NS_24const_host_device_scalarIT2_EEPKiS8_PKS5_SA_S6_PS5_21rocsparse_index_base_b.num_named_barrier, 0
	.set _ZN9rocsparseL19gebsrmvn_2xn_kernelILj128ELj4ELj16E21rocsparse_complex_numIdEEEvi20rocsparse_direction_NS_24const_host_device_scalarIT2_EEPKiS8_PKS5_SA_S6_PS5_21rocsparse_index_base_b.private_seg_size, 0
	.set _ZN9rocsparseL19gebsrmvn_2xn_kernelILj128ELj4ELj16E21rocsparse_complex_numIdEEEvi20rocsparse_direction_NS_24const_host_device_scalarIT2_EEPKiS8_PKS5_SA_S6_PS5_21rocsparse_index_base_b.uses_vcc, 1
	.set _ZN9rocsparseL19gebsrmvn_2xn_kernelILj128ELj4ELj16E21rocsparse_complex_numIdEEEvi20rocsparse_direction_NS_24const_host_device_scalarIT2_EEPKiS8_PKS5_SA_S6_PS5_21rocsparse_index_base_b.uses_flat_scratch, 0
	.set _ZN9rocsparseL19gebsrmvn_2xn_kernelILj128ELj4ELj16E21rocsparse_complex_numIdEEEvi20rocsparse_direction_NS_24const_host_device_scalarIT2_EEPKiS8_PKS5_SA_S6_PS5_21rocsparse_index_base_b.has_dyn_sized_stack, 0
	.set _ZN9rocsparseL19gebsrmvn_2xn_kernelILj128ELj4ELj16E21rocsparse_complex_numIdEEEvi20rocsparse_direction_NS_24const_host_device_scalarIT2_EEPKiS8_PKS5_SA_S6_PS5_21rocsparse_index_base_b.has_recursion, 0
	.set _ZN9rocsparseL19gebsrmvn_2xn_kernelILj128ELj4ELj16E21rocsparse_complex_numIdEEEvi20rocsparse_direction_NS_24const_host_device_scalarIT2_EEPKiS8_PKS5_SA_S6_PS5_21rocsparse_index_base_b.has_indirect_call, 0
	.section	.AMDGPU.csdata,"",@progbits
; Kernel info:
; codeLenInByte = 2404
; TotalNumSgprs: 18
; NumVgprs: 73
; ScratchSize: 0
; MemoryBound: 1
; FloatMode: 240
; IeeeMode: 1
; LDSByteSize: 0 bytes/workgroup (compile time only)
; SGPRBlocks: 0
; VGPRBlocks: 9
; NumSGPRsForWavesPerEU: 18
; NumVGPRsForWavesPerEU: 73
; Occupancy: 12
; WaveLimiterHint : 1
; COMPUTE_PGM_RSRC2:SCRATCH_EN: 0
; COMPUTE_PGM_RSRC2:USER_SGPR: 6
; COMPUTE_PGM_RSRC2:TRAP_HANDLER: 0
; COMPUTE_PGM_RSRC2:TGID_X_EN: 1
; COMPUTE_PGM_RSRC2:TGID_Y_EN: 0
; COMPUTE_PGM_RSRC2:TGID_Z_EN: 0
; COMPUTE_PGM_RSRC2:TIDIG_COMP_CNT: 0
	.section	.text._ZN9rocsparseL19gebsrmvn_2xn_kernelILj128ELj4ELj32E21rocsparse_complex_numIdEEEvi20rocsparse_direction_NS_24const_host_device_scalarIT2_EEPKiS8_PKS5_SA_S6_PS5_21rocsparse_index_base_b,"axG",@progbits,_ZN9rocsparseL19gebsrmvn_2xn_kernelILj128ELj4ELj32E21rocsparse_complex_numIdEEEvi20rocsparse_direction_NS_24const_host_device_scalarIT2_EEPKiS8_PKS5_SA_S6_PS5_21rocsparse_index_base_b,comdat
	.globl	_ZN9rocsparseL19gebsrmvn_2xn_kernelILj128ELj4ELj32E21rocsparse_complex_numIdEEEvi20rocsparse_direction_NS_24const_host_device_scalarIT2_EEPKiS8_PKS5_SA_S6_PS5_21rocsparse_index_base_b ; -- Begin function _ZN9rocsparseL19gebsrmvn_2xn_kernelILj128ELj4ELj32E21rocsparse_complex_numIdEEEvi20rocsparse_direction_NS_24const_host_device_scalarIT2_EEPKiS8_PKS5_SA_S6_PS5_21rocsparse_index_base_b
	.p2align	8
	.type	_ZN9rocsparseL19gebsrmvn_2xn_kernelILj128ELj4ELj32E21rocsparse_complex_numIdEEEvi20rocsparse_direction_NS_24const_host_device_scalarIT2_EEPKiS8_PKS5_SA_S6_PS5_21rocsparse_index_base_b,@function
_ZN9rocsparseL19gebsrmvn_2xn_kernelILj128ELj4ELj32E21rocsparse_complex_numIdEEEvi20rocsparse_direction_NS_24const_host_device_scalarIT2_EEPKiS8_PKS5_SA_S6_PS5_21rocsparse_index_base_b: ; @_ZN9rocsparseL19gebsrmvn_2xn_kernelILj128ELj4ELj32E21rocsparse_complex_numIdEEEvi20rocsparse_direction_NS_24const_host_device_scalarIT2_EEPKiS8_PKS5_SA_S6_PS5_21rocsparse_index_base_b
; %bb.0:
	s_clause 0x1
	s_load_dwordx2 s[2:3], s[4:5], 0x50
	s_load_dwordx2 s[0:1], s[4:5], 0x8
	s_add_u32 s7, s4, 8
	s_addc_u32 s10, s5, 0
	s_add_u32 s11, s4, 56
	s_addc_u32 s12, s5, 0
	s_load_dwordx2 s[8:9], s[4:5], 0x38
	s_waitcnt lgkmcnt(0)
	s_bitcmp1_b32 s3, 0
	s_cselect_b32 s0, s7, s0
	s_cselect_b32 s1, s10, s1
	v_mov_b32_e32 v1, s0
	v_mov_b32_e32 v2, s1
	s_cselect_b32 s0, s11, s8
	s_cselect_b32 s1, s12, s9
	v_mov_b32_e32 v5, s0
	v_mov_b32_e32 v6, s1
	flat_load_dwordx4 v[1:4], v[1:2]
	flat_load_dwordx4 v[5:8], v[5:6]
	s_waitcnt vmcnt(1) lgkmcnt(1)
	v_cmp_eq_f64_e32 vcc_lo, 0, v[1:2]
	v_cmp_eq_f64_e64 s0, 0, v[3:4]
	s_and_b32 s3, vcc_lo, s0
	s_mov_b32 s0, -1
	s_and_saveexec_b32 s1, s3
	s_cbranch_execz .LBB241_2
; %bb.1:
	s_waitcnt vmcnt(0) lgkmcnt(0)
	v_cmp_neq_f64_e32 vcc_lo, 1.0, v[5:6]
	v_cmp_neq_f64_e64 s0, 0, v[7:8]
	s_or_b32 s0, vcc_lo, s0
	s_orn2_b32 s0, s0, exec_lo
.LBB241_2:
	s_or_b32 exec_lo, exec_lo, s1
	s_and_saveexec_b32 s1, s0
	s_cbranch_execz .LBB241_21
; %bb.3:
	s_load_dwordx2 s[0:1], s[4:5], 0x0
	v_lshrrev_b32_e32 v9, 5, v0
	v_lshl_or_b32 v9, s6, 2, v9
	s_waitcnt lgkmcnt(0)
	v_cmp_gt_i32_e32 vcc_lo, s0, v9
	s_and_b32 exec_lo, exec_lo, vcc_lo
	s_cbranch_execz .LBB241_21
; %bb.4:
	s_load_dwordx8 s[8:15], s[4:5], 0x18
	v_ashrrev_i32_e32 v10, 31, v9
	v_and_b32_e32 v0, 31, v0
	s_cmp_lg_u32 s1, 0
	v_lshlrev_b64 v[10:11], 2, v[9:10]
	s_waitcnt lgkmcnt(0)
	v_add_co_u32 v10, vcc_lo, s8, v10
	v_add_co_ci_u32_e64 v11, null, s9, v11, vcc_lo
	global_load_dwordx2 v[10:11], v[10:11], off
	s_waitcnt vmcnt(0)
	v_subrev_nc_u32_e32 v10, s2, v10
	v_subrev_nc_u32_e32 v24, s2, v11
	v_add_nc_u32_e32 v12, v10, v0
	v_cmp_lt_i32_e64 s0, v12, v24
	s_cbranch_scc0 .LBB241_10
; %bb.5:
	v_mov_b32_e32 v10, 0
	v_mov_b32_e32 v14, 0
	;; [unrolled: 1-line block ×8, first 2 shown]
	s_and_saveexec_b32 s1, s0
	s_cbranch_execz .LBB241_9
; %bb.6:
	v_mov_b32_e32 v10, 0
	v_mov_b32_e32 v14, 0
	;; [unrolled: 1-line block ×4, first 2 shown]
	v_lshlrev_b32_e32 v20, 3, v12
	v_mov_b32_e32 v11, 0
	v_mov_b32_e32 v21, 0
	;; [unrolled: 1-line block ×6, first 2 shown]
	s_mov_b32 s3, 0
.LBB241_7:                              ; =>This Inner Loop Header: Depth=1
	v_ashrrev_i32_e32 v23, 31, v22
	v_mov_b32_e32 v30, v21
	v_lshlrev_b64 v[25:26], 2, v[22:23]
	v_add_nc_u32_e32 v22, 32, v22
	v_add_co_u32 v25, vcc_lo, s10, v25
	v_add_co_ci_u32_e64 v26, null, s11, v26, vcc_lo
	global_load_dword v13, v[25:26], off
	v_lshlrev_b64 v[25:26], 4, v[20:21]
	v_add_nc_u32_e32 v20, 0x100, v20
	v_add_co_u32 v65, vcc_lo, s12, v25
	v_add_co_ci_u32_e64 v66, null, s13, v26, vcc_lo
	global_load_dwordx4 v[25:28], v[65:66], off offset:16
	s_waitcnt vmcnt(1)
	v_subrev_nc_u32_e32 v13, s2, v13
	v_lshlrev_b32_e32 v29, 2, v13
	v_lshlrev_b64 v[29:30], 4, v[29:30]
	v_add_co_u32 v69, vcc_lo, s14, v29
	v_add_co_ci_u32_e64 v70, null, s15, v30, vcc_lo
	v_cmp_ge_i32_e32 vcc_lo, v22, v24
	global_load_dwordx4 v[29:32], v[65:66], off
	global_load_dwordx4 v[33:36], v[69:70], off
	s_clause 0x1
	global_load_dwordx4 v[37:40], v[65:66], off offset:32
	global_load_dwordx4 v[41:44], v[65:66], off offset:48
	global_load_dwordx4 v[45:48], v[69:70], off offset:16
	s_clause 0x1
	global_load_dwordx4 v[49:52], v[65:66], off offset:80
	global_load_dwordx4 v[53:56], v[65:66], off offset:64
	global_load_dwordx4 v[57:60], v[69:70], off offset:32
	;; [unrolled: 4-line block ×3, first 2 shown]
	s_or_b32 s3, vcc_lo, s3
	s_waitcnt vmcnt(9)
	v_fma_f64 v[13:14], v[29:30], v[33:34], v[14:15]
	v_fma_f64 v[10:11], v[31:32], v[33:34], v[10:11]
	v_fma_f64 v[15:16], v[25:26], v[33:34], v[16:17]
	v_fma_f64 v[17:18], v[27:28], v[33:34], v[18:19]
	v_fma_f64 v[13:14], -v[31:32], v[35:36], v[13:14]
	v_fma_f64 v[10:11], v[29:30], v[35:36], v[10:11]
	v_fma_f64 v[15:16], -v[27:28], v[35:36], v[15:16]
	v_fma_f64 v[17:18], v[25:26], v[35:36], v[17:18]
	s_waitcnt vmcnt(6)
	v_fma_f64 v[13:14], v[37:38], v[45:46], v[13:14]
	v_fma_f64 v[10:11], v[39:40], v[45:46], v[10:11]
	v_fma_f64 v[15:16], v[41:42], v[45:46], v[15:16]
	v_fma_f64 v[17:18], v[43:44], v[45:46], v[17:18]
	v_fma_f64 v[13:14], -v[39:40], v[47:48], v[13:14]
	v_fma_f64 v[10:11], v[37:38], v[47:48], v[10:11]
	v_fma_f64 v[15:16], -v[43:44], v[47:48], v[15:16]
	v_fma_f64 v[17:18], v[41:42], v[47:48], v[17:18]
	s_waitcnt vmcnt(3)
	v_fma_f64 v[13:14], v[53:54], v[57:58], v[13:14]
	v_fma_f64 v[10:11], v[55:56], v[57:58], v[10:11]
	v_fma_f64 v[15:16], v[49:50], v[57:58], v[15:16]
	v_fma_f64 v[17:18], v[51:52], v[57:58], v[17:18]
	v_fma_f64 v[13:14], -v[55:56], v[59:60], v[13:14]
	v_fma_f64 v[10:11], v[53:54], v[59:60], v[10:11]
	v_fma_f64 v[15:16], -v[51:52], v[59:60], v[15:16]
	v_fma_f64 v[17:18], v[49:50], v[59:60], v[17:18]
	s_waitcnt vmcnt(0)
	v_fma_f64 v[13:14], v[61:62], v[69:70], v[13:14]
	v_fma_f64 v[10:11], v[63:64], v[69:70], v[10:11]
	v_fma_f64 v[25:26], v[65:66], v[69:70], v[15:16]
	v_fma_f64 v[18:19], v[67:68], v[69:70], v[17:18]
	v_fma_f64 v[14:15], -v[63:64], v[71:72], v[13:14]
	v_fma_f64 v[10:11], v[61:62], v[71:72], v[10:11]
	v_fma_f64 v[16:17], -v[67:68], v[71:72], v[25:26]
	v_fma_f64 v[18:19], v[65:66], v[71:72], v[18:19]
	s_andn2_b32 exec_lo, exec_lo, s3
	s_cbranch_execnz .LBB241_7
; %bb.8:
	s_or_b32 exec_lo, exec_lo, s3
.LBB241_9:
	s_or_b32 exec_lo, exec_lo, s1
	s_cbranch_execz .LBB241_11
	s_branch .LBB241_16
.LBB241_10:
                                        ; implicit-def: $vgpr10_vgpr11
                                        ; implicit-def: $vgpr14_vgpr15
                                        ; implicit-def: $vgpr16_vgpr17
                                        ; implicit-def: $vgpr18_vgpr19
.LBB241_11:
	v_mov_b32_e32 v10, 0
	v_mov_b32_e32 v14, 0
	;; [unrolled: 1-line block ×8, first 2 shown]
	s_and_saveexec_b32 s1, s0
	s_cbranch_execz .LBB241_15
; %bb.12:
	v_mov_b32_e32 v10, 0
	v_mov_b32_e32 v14, 0
	;; [unrolled: 1-line block ×4, first 2 shown]
	v_lshlrev_b32_e32 v20, 3, v12
	v_mov_b32_e32 v11, 0
	v_mov_b32_e32 v15, 0
	;; [unrolled: 1-line block ×5, first 2 shown]
	s_mov_b32 s0, 0
.LBB241_13:                             ; =>This Inner Loop Header: Depth=1
	v_ashrrev_i32_e32 v13, 31, v12
	v_mov_b32_e32 v30, v21
	v_lshlrev_b64 v[22:23], 2, v[12:13]
	v_add_nc_u32_e32 v12, 32, v12
	v_add_co_u32 v22, vcc_lo, s10, v22
	v_add_co_ci_u32_e64 v23, null, s11, v23, vcc_lo
	global_load_dword v13, v[22:23], off
	v_lshlrev_b64 v[22:23], 4, v[20:21]
	v_add_nc_u32_e32 v20, 0x100, v20
	v_add_co_u32 v22, vcc_lo, s12, v22
	v_add_co_ci_u32_e64 v23, null, s13, v23, vcc_lo
	global_load_dwordx4 v[25:28], v[22:23], off
	s_waitcnt vmcnt(1)
	v_subrev_nc_u32_e32 v13, s2, v13
	v_lshlrev_b32_e32 v29, 2, v13
	v_lshlrev_b64 v[29:30], 4, v[29:30]
	v_add_co_u32 v69, vcc_lo, s14, v29
	v_add_co_ci_u32_e64 v70, null, s15, v30, vcc_lo
	v_cmp_ge_i32_e32 vcc_lo, v12, v24
	global_load_dwordx4 v[29:32], v[22:23], off offset:64
	global_load_dwordx4 v[33:36], v[69:70], off
	s_clause 0x1
	global_load_dwordx4 v[37:40], v[22:23], off offset:16
	global_load_dwordx4 v[41:44], v[22:23], off offset:80
	global_load_dwordx4 v[45:48], v[69:70], off offset:16
	s_clause 0x1
	global_load_dwordx4 v[49:52], v[22:23], off offset:32
	global_load_dwordx4 v[53:56], v[22:23], off offset:96
	global_load_dwordx4 v[57:60], v[69:70], off offset:32
	s_clause 0x1
	global_load_dwordx4 v[61:64], v[22:23], off offset:48
	global_load_dwordx4 v[65:68], v[22:23], off offset:112
	global_load_dwordx4 v[69:72], v[69:70], off offset:48
	s_or_b32 s0, vcc_lo, s0
	s_waitcnt vmcnt(9)
	v_fma_f64 v[13:14], v[25:26], v[33:34], v[14:15]
	v_fma_f64 v[10:11], v[27:28], v[33:34], v[10:11]
	v_fma_f64 v[15:16], v[29:30], v[33:34], v[16:17]
	v_fma_f64 v[17:18], v[31:32], v[33:34], v[18:19]
	v_fma_f64 v[13:14], -v[27:28], v[35:36], v[13:14]
	v_fma_f64 v[10:11], v[25:26], v[35:36], v[10:11]
	v_fma_f64 v[15:16], -v[31:32], v[35:36], v[15:16]
	v_fma_f64 v[17:18], v[29:30], v[35:36], v[17:18]
	s_waitcnt vmcnt(6)
	v_fma_f64 v[13:14], v[37:38], v[45:46], v[13:14]
	v_fma_f64 v[10:11], v[39:40], v[45:46], v[10:11]
	v_fma_f64 v[15:16], v[41:42], v[45:46], v[15:16]
	v_fma_f64 v[17:18], v[43:44], v[45:46], v[17:18]
	v_fma_f64 v[13:14], -v[39:40], v[47:48], v[13:14]
	v_fma_f64 v[10:11], v[37:38], v[47:48], v[10:11]
	v_fma_f64 v[15:16], -v[43:44], v[47:48], v[15:16]
	v_fma_f64 v[17:18], v[41:42], v[47:48], v[17:18]
	;; [unrolled: 9-line block ×4, first 2 shown]
	s_andn2_b32 exec_lo, exec_lo, s0
	s_cbranch_execnz .LBB241_13
; %bb.14:
	s_or_b32 exec_lo, exec_lo, s0
.LBB241_15:
	s_or_b32 exec_lo, exec_lo, s1
.LBB241_16:
	v_mbcnt_lo_u32_b32 v26, -1, 0
	v_xor_b32_e32 v12, 16, v26
	v_cmp_gt_i32_e32 vcc_lo, 32, v12
	v_cndmask_b32_e32 v12, v26, v12, vcc_lo
	v_lshlrev_b32_e32 v25, 2, v12
	ds_bpermute_b32 v12, v25, v14
	ds_bpermute_b32 v13, v25, v15
	;; [unrolled: 1-line block ×8, first 2 shown]
	s_waitcnt lgkmcnt(6)
	v_add_f64 v[12:13], v[14:15], v[12:13]
	s_waitcnt lgkmcnt(4)
	v_add_f64 v[10:11], v[10:11], v[20:21]
	v_xor_b32_e32 v20, 8, v26
	s_waitcnt lgkmcnt(2)
	v_add_f64 v[14:15], v[16:17], v[22:23]
	s_waitcnt lgkmcnt(0)
	v_add_f64 v[16:17], v[18:19], v[24:25]
	v_cmp_gt_i32_e32 vcc_lo, 32, v20
	v_cndmask_b32_e32 v18, v26, v20, vcc_lo
	v_lshlrev_b32_e32 v25, 2, v18
	ds_bpermute_b32 v18, v25, v12
	ds_bpermute_b32 v19, v25, v13
	;; [unrolled: 1-line block ×8, first 2 shown]
	s_waitcnt lgkmcnt(6)
	v_add_f64 v[12:13], v[12:13], v[18:19]
	v_xor_b32_e32 v18, 4, v26
	s_waitcnt lgkmcnt(4)
	v_add_f64 v[10:11], v[10:11], v[20:21]
	s_waitcnt lgkmcnt(2)
	v_add_f64 v[14:15], v[14:15], v[22:23]
	;; [unrolled: 2-line block ×3, first 2 shown]
	v_cmp_gt_i32_e32 vcc_lo, 32, v18
	v_cndmask_b32_e32 v18, v26, v18, vcc_lo
	v_lshlrev_b32_e32 v25, 2, v18
	ds_bpermute_b32 v18, v25, v12
	ds_bpermute_b32 v19, v25, v13
	;; [unrolled: 1-line block ×8, first 2 shown]
	s_waitcnt lgkmcnt(6)
	v_add_f64 v[12:13], v[12:13], v[18:19]
	s_waitcnt lgkmcnt(4)
	v_add_f64 v[18:19], v[10:11], v[20:21]
	v_xor_b32_e32 v10, 2, v26
	s_waitcnt lgkmcnt(2)
	v_add_f64 v[14:15], v[14:15], v[22:23]
	s_waitcnt lgkmcnt(0)
	v_add_f64 v[20:21], v[16:17], v[24:25]
	v_cmp_gt_i32_e32 vcc_lo, 32, v10
	v_cndmask_b32_e32 v10, v26, v10, vcc_lo
	v_lshlrev_b32_e32 v25, 2, v10
	ds_bpermute_b32 v10, v25, v12
	ds_bpermute_b32 v11, v25, v13
	;; [unrolled: 1-line block ×8, first 2 shown]
	s_waitcnt lgkmcnt(6)
	v_add_f64 v[10:11], v[12:13], v[10:11]
	s_waitcnt lgkmcnt(4)
	v_add_f64 v[16:17], v[18:19], v[16:17]
	v_xor_b32_e32 v18, 1, v26
	s_waitcnt lgkmcnt(2)
	v_add_f64 v[12:13], v[14:15], v[22:23]
	s_waitcnt lgkmcnt(0)
	v_add_f64 v[14:15], v[20:21], v[24:25]
	v_cmp_gt_i32_e32 vcc_lo, 32, v18
	v_cndmask_b32_e32 v18, v26, v18, vcc_lo
	v_cmp_eq_u32_e32 vcc_lo, 31, v0
	v_lshlrev_b32_e32 v21, 2, v18
	ds_bpermute_b32 v24, v21, v10
	ds_bpermute_b32 v25, v21, v11
	ds_bpermute_b32 v22, v21, v16
	ds_bpermute_b32 v23, v21, v17
	ds_bpermute_b32 v18, v21, v12
	ds_bpermute_b32 v19, v21, v13
	ds_bpermute_b32 v20, v21, v14
	ds_bpermute_b32 v21, v21, v15
	s_and_b32 exec_lo, exec_lo, vcc_lo
	s_cbranch_execz .LBB241_21
; %bb.17:
	v_cmp_eq_f64_e32 vcc_lo, 0, v[5:6]
	v_cmp_eq_f64_e64 s0, 0, v[7:8]
	s_waitcnt lgkmcnt(6)
	v_add_f64 v[10:11], v[10:11], v[24:25]
	s_waitcnt lgkmcnt(4)
	v_add_f64 v[16:17], v[16:17], v[22:23]
	;; [unrolled: 2-line block ×4, first 2 shown]
	s_load_dwordx2 s[2:3], s[4:5], 0x48
	s_and_b32 s0, vcc_lo, s0
	s_and_saveexec_b32 s1, s0
	s_xor_b32 s0, exec_lo, s1
	s_cbranch_execz .LBB241_19
; %bb.18:
	v_mul_f64 v[5:6], v[16:17], -v[3:4]
	v_mul_f64 v[7:8], v[1:2], v[16:17]
	v_mul_f64 v[16:17], v[14:15], -v[3:4]
	v_mul_f64 v[14:15], v[1:2], v[14:15]
	v_lshlrev_b32_e32 v9, 1, v9
	v_fma_f64 v[5:6], v[1:2], v[10:11], v[5:6]
	v_fma_f64 v[7:8], v[3:4], v[10:11], v[7:8]
	;; [unrolled: 1-line block ×4, first 2 shown]
	v_ashrrev_i32_e32 v10, 31, v9
                                        ; implicit-def: $vgpr16_vgpr17
                                        ; implicit-def: $vgpr12_vgpr13
                                        ; implicit-def: $vgpr14_vgpr15
	v_lshlrev_b64 v[9:10], 4, v[9:10]
	s_waitcnt lgkmcnt(0)
	v_add_co_u32 v9, vcc_lo, s2, v9
	v_add_co_ci_u32_e64 v10, null, s3, v10, vcc_lo
	global_store_dwordx4 v[9:10], v[5:8], off
	global_store_dwordx4 v[9:10], v[0:3], off offset:16
                                        ; implicit-def: $vgpr9
                                        ; implicit-def: $vgpr10_vgpr11
                                        ; implicit-def: $vgpr7_vgpr8
                                        ; implicit-def: $vgpr3_vgpr4
.LBB241_19:
	s_andn2_saveexec_b32 s0, s0
	s_cbranch_execz .LBB241_21
; %bb.20:
	v_lshlrev_b32_e32 v18, 1, v9
	v_mul_f64 v[28:29], v[16:17], -v[3:4]
	v_mul_f64 v[16:17], v[1:2], v[16:17]
	v_mul_f64 v[30:31], v[14:15], -v[3:4]
	v_mul_f64 v[14:15], v[1:2], v[14:15]
	v_ashrrev_i32_e32 v19, 31, v18
	v_lshlrev_b64 v[18:19], 4, v[18:19]
	s_waitcnt lgkmcnt(0)
	v_add_co_u32 v26, vcc_lo, s2, v18
	v_add_co_ci_u32_e64 v27, null, s3, v19, vcc_lo
	s_clause 0x1
	global_load_dwordx4 v[18:21], v[26:27], off
	global_load_dwordx4 v[22:25], v[26:27], off offset:16
	v_fma_f64 v[28:29], v[1:2], v[10:11], v[28:29]
	v_fma_f64 v[9:10], v[3:4], v[10:11], v[16:17]
	;; [unrolled: 1-line block ×4, first 2 shown]
	s_waitcnt vmcnt(1)
	v_fma_f64 v[11:12], v[5:6], v[18:19], v[28:29]
	v_fma_f64 v[9:10], v[7:8], v[18:19], v[9:10]
	s_waitcnt vmcnt(0)
	v_fma_f64 v[13:14], v[5:6], v[22:23], v[0:1]
	v_fma_f64 v[15:16], v[7:8], v[22:23], v[2:3]
	v_fma_f64 v[0:1], -v[7:8], v[20:21], v[11:12]
	v_fma_f64 v[2:3], v[5:6], v[20:21], v[9:10]
	v_fma_f64 v[7:8], -v[7:8], v[24:25], v[13:14]
	v_fma_f64 v[9:10], v[5:6], v[24:25], v[15:16]
	global_store_dwordx4 v[26:27], v[0:3], off
	global_store_dwordx4 v[26:27], v[7:10], off offset:16
.LBB241_21:
	s_endpgm
	.section	.rodata,"a",@progbits
	.p2align	6, 0x0
	.amdhsa_kernel _ZN9rocsparseL19gebsrmvn_2xn_kernelILj128ELj4ELj32E21rocsparse_complex_numIdEEEvi20rocsparse_direction_NS_24const_host_device_scalarIT2_EEPKiS8_PKS5_SA_S6_PS5_21rocsparse_index_base_b
		.amdhsa_group_segment_fixed_size 0
		.amdhsa_private_segment_fixed_size 0
		.amdhsa_kernarg_size 88
		.amdhsa_user_sgpr_count 6
		.amdhsa_user_sgpr_private_segment_buffer 1
		.amdhsa_user_sgpr_dispatch_ptr 0
		.amdhsa_user_sgpr_queue_ptr 0
		.amdhsa_user_sgpr_kernarg_segment_ptr 1
		.amdhsa_user_sgpr_dispatch_id 0
		.amdhsa_user_sgpr_flat_scratch_init 0
		.amdhsa_user_sgpr_private_segment_size 0
		.amdhsa_wavefront_size32 1
		.amdhsa_uses_dynamic_stack 0
		.amdhsa_system_sgpr_private_segment_wavefront_offset 0
		.amdhsa_system_sgpr_workgroup_id_x 1
		.amdhsa_system_sgpr_workgroup_id_y 0
		.amdhsa_system_sgpr_workgroup_id_z 0
		.amdhsa_system_sgpr_workgroup_info 0
		.amdhsa_system_vgpr_workitem_id 0
		.amdhsa_next_free_vgpr 73
		.amdhsa_next_free_sgpr 16
		.amdhsa_reserve_vcc 1
		.amdhsa_reserve_flat_scratch 0
		.amdhsa_float_round_mode_32 0
		.amdhsa_float_round_mode_16_64 0
		.amdhsa_float_denorm_mode_32 3
		.amdhsa_float_denorm_mode_16_64 3
		.amdhsa_dx10_clamp 1
		.amdhsa_ieee_mode 1
		.amdhsa_fp16_overflow 0
		.amdhsa_workgroup_processor_mode 1
		.amdhsa_memory_ordered 1
		.amdhsa_forward_progress 1
		.amdhsa_shared_vgpr_count 0
		.amdhsa_exception_fp_ieee_invalid_op 0
		.amdhsa_exception_fp_denorm_src 0
		.amdhsa_exception_fp_ieee_div_zero 0
		.amdhsa_exception_fp_ieee_overflow 0
		.amdhsa_exception_fp_ieee_underflow 0
		.amdhsa_exception_fp_ieee_inexact 0
		.amdhsa_exception_int_div_zero 0
	.end_amdhsa_kernel
	.section	.text._ZN9rocsparseL19gebsrmvn_2xn_kernelILj128ELj4ELj32E21rocsparse_complex_numIdEEEvi20rocsparse_direction_NS_24const_host_device_scalarIT2_EEPKiS8_PKS5_SA_S6_PS5_21rocsparse_index_base_b,"axG",@progbits,_ZN9rocsparseL19gebsrmvn_2xn_kernelILj128ELj4ELj32E21rocsparse_complex_numIdEEEvi20rocsparse_direction_NS_24const_host_device_scalarIT2_EEPKiS8_PKS5_SA_S6_PS5_21rocsparse_index_base_b,comdat
.Lfunc_end241:
	.size	_ZN9rocsparseL19gebsrmvn_2xn_kernelILj128ELj4ELj32E21rocsparse_complex_numIdEEEvi20rocsparse_direction_NS_24const_host_device_scalarIT2_EEPKiS8_PKS5_SA_S6_PS5_21rocsparse_index_base_b, .Lfunc_end241-_ZN9rocsparseL19gebsrmvn_2xn_kernelILj128ELj4ELj32E21rocsparse_complex_numIdEEEvi20rocsparse_direction_NS_24const_host_device_scalarIT2_EEPKiS8_PKS5_SA_S6_PS5_21rocsparse_index_base_b
                                        ; -- End function
	.set _ZN9rocsparseL19gebsrmvn_2xn_kernelILj128ELj4ELj32E21rocsparse_complex_numIdEEEvi20rocsparse_direction_NS_24const_host_device_scalarIT2_EEPKiS8_PKS5_SA_S6_PS5_21rocsparse_index_base_b.num_vgpr, 73
	.set _ZN9rocsparseL19gebsrmvn_2xn_kernelILj128ELj4ELj32E21rocsparse_complex_numIdEEEvi20rocsparse_direction_NS_24const_host_device_scalarIT2_EEPKiS8_PKS5_SA_S6_PS5_21rocsparse_index_base_b.num_agpr, 0
	.set _ZN9rocsparseL19gebsrmvn_2xn_kernelILj128ELj4ELj32E21rocsparse_complex_numIdEEEvi20rocsparse_direction_NS_24const_host_device_scalarIT2_EEPKiS8_PKS5_SA_S6_PS5_21rocsparse_index_base_b.numbered_sgpr, 16
	.set _ZN9rocsparseL19gebsrmvn_2xn_kernelILj128ELj4ELj32E21rocsparse_complex_numIdEEEvi20rocsparse_direction_NS_24const_host_device_scalarIT2_EEPKiS8_PKS5_SA_S6_PS5_21rocsparse_index_base_b.num_named_barrier, 0
	.set _ZN9rocsparseL19gebsrmvn_2xn_kernelILj128ELj4ELj32E21rocsparse_complex_numIdEEEvi20rocsparse_direction_NS_24const_host_device_scalarIT2_EEPKiS8_PKS5_SA_S6_PS5_21rocsparse_index_base_b.private_seg_size, 0
	.set _ZN9rocsparseL19gebsrmvn_2xn_kernelILj128ELj4ELj32E21rocsparse_complex_numIdEEEvi20rocsparse_direction_NS_24const_host_device_scalarIT2_EEPKiS8_PKS5_SA_S6_PS5_21rocsparse_index_base_b.uses_vcc, 1
	.set _ZN9rocsparseL19gebsrmvn_2xn_kernelILj128ELj4ELj32E21rocsparse_complex_numIdEEEvi20rocsparse_direction_NS_24const_host_device_scalarIT2_EEPKiS8_PKS5_SA_S6_PS5_21rocsparse_index_base_b.uses_flat_scratch, 0
	.set _ZN9rocsparseL19gebsrmvn_2xn_kernelILj128ELj4ELj32E21rocsparse_complex_numIdEEEvi20rocsparse_direction_NS_24const_host_device_scalarIT2_EEPKiS8_PKS5_SA_S6_PS5_21rocsparse_index_base_b.has_dyn_sized_stack, 0
	.set _ZN9rocsparseL19gebsrmvn_2xn_kernelILj128ELj4ELj32E21rocsparse_complex_numIdEEEvi20rocsparse_direction_NS_24const_host_device_scalarIT2_EEPKiS8_PKS5_SA_S6_PS5_21rocsparse_index_base_b.has_recursion, 0
	.set _ZN9rocsparseL19gebsrmvn_2xn_kernelILj128ELj4ELj32E21rocsparse_complex_numIdEEEvi20rocsparse_direction_NS_24const_host_device_scalarIT2_EEPKiS8_PKS5_SA_S6_PS5_21rocsparse_index_base_b.has_indirect_call, 0
	.section	.AMDGPU.csdata,"",@progbits
; Kernel info:
; codeLenInByte = 2532
; TotalNumSgprs: 18
; NumVgprs: 73
; ScratchSize: 0
; MemoryBound: 1
; FloatMode: 240
; IeeeMode: 1
; LDSByteSize: 0 bytes/workgroup (compile time only)
; SGPRBlocks: 0
; VGPRBlocks: 9
; NumSGPRsForWavesPerEU: 18
; NumVGPRsForWavesPerEU: 73
; Occupancy: 12
; WaveLimiterHint : 1
; COMPUTE_PGM_RSRC2:SCRATCH_EN: 0
; COMPUTE_PGM_RSRC2:USER_SGPR: 6
; COMPUTE_PGM_RSRC2:TRAP_HANDLER: 0
; COMPUTE_PGM_RSRC2:TGID_X_EN: 1
; COMPUTE_PGM_RSRC2:TGID_Y_EN: 0
; COMPUTE_PGM_RSRC2:TGID_Z_EN: 0
; COMPUTE_PGM_RSRC2:TIDIG_COMP_CNT: 0
	.section	.text._ZN9rocsparseL19gebsrmvn_2xn_kernelILj128ELj4ELj64E21rocsparse_complex_numIdEEEvi20rocsparse_direction_NS_24const_host_device_scalarIT2_EEPKiS8_PKS5_SA_S6_PS5_21rocsparse_index_base_b,"axG",@progbits,_ZN9rocsparseL19gebsrmvn_2xn_kernelILj128ELj4ELj64E21rocsparse_complex_numIdEEEvi20rocsparse_direction_NS_24const_host_device_scalarIT2_EEPKiS8_PKS5_SA_S6_PS5_21rocsparse_index_base_b,comdat
	.globl	_ZN9rocsparseL19gebsrmvn_2xn_kernelILj128ELj4ELj64E21rocsparse_complex_numIdEEEvi20rocsparse_direction_NS_24const_host_device_scalarIT2_EEPKiS8_PKS5_SA_S6_PS5_21rocsparse_index_base_b ; -- Begin function _ZN9rocsparseL19gebsrmvn_2xn_kernelILj128ELj4ELj64E21rocsparse_complex_numIdEEEvi20rocsparse_direction_NS_24const_host_device_scalarIT2_EEPKiS8_PKS5_SA_S6_PS5_21rocsparse_index_base_b
	.p2align	8
	.type	_ZN9rocsparseL19gebsrmvn_2xn_kernelILj128ELj4ELj64E21rocsparse_complex_numIdEEEvi20rocsparse_direction_NS_24const_host_device_scalarIT2_EEPKiS8_PKS5_SA_S6_PS5_21rocsparse_index_base_b,@function
_ZN9rocsparseL19gebsrmvn_2xn_kernelILj128ELj4ELj64E21rocsparse_complex_numIdEEEvi20rocsparse_direction_NS_24const_host_device_scalarIT2_EEPKiS8_PKS5_SA_S6_PS5_21rocsparse_index_base_b: ; @_ZN9rocsparseL19gebsrmvn_2xn_kernelILj128ELj4ELj64E21rocsparse_complex_numIdEEEvi20rocsparse_direction_NS_24const_host_device_scalarIT2_EEPKiS8_PKS5_SA_S6_PS5_21rocsparse_index_base_b
; %bb.0:
	s_clause 0x1
	s_load_dwordx2 s[2:3], s[4:5], 0x50
	s_load_dwordx2 s[0:1], s[4:5], 0x8
	s_add_u32 s7, s4, 8
	s_addc_u32 s10, s5, 0
	s_add_u32 s11, s4, 56
	s_addc_u32 s12, s5, 0
	s_load_dwordx2 s[8:9], s[4:5], 0x38
	s_waitcnt lgkmcnt(0)
	s_bitcmp1_b32 s3, 0
	s_cselect_b32 s0, s7, s0
	s_cselect_b32 s1, s10, s1
	v_mov_b32_e32 v1, s0
	v_mov_b32_e32 v2, s1
	s_cselect_b32 s0, s11, s8
	s_cselect_b32 s1, s12, s9
	v_mov_b32_e32 v5, s0
	v_mov_b32_e32 v6, s1
	flat_load_dwordx4 v[1:4], v[1:2]
	flat_load_dwordx4 v[5:8], v[5:6]
	s_waitcnt vmcnt(1) lgkmcnt(1)
	v_cmp_eq_f64_e32 vcc_lo, 0, v[1:2]
	v_cmp_eq_f64_e64 s0, 0, v[3:4]
	s_and_b32 s3, vcc_lo, s0
	s_mov_b32 s0, -1
	s_and_saveexec_b32 s1, s3
	s_cbranch_execz .LBB242_2
; %bb.1:
	s_waitcnt vmcnt(0) lgkmcnt(0)
	v_cmp_neq_f64_e32 vcc_lo, 1.0, v[5:6]
	v_cmp_neq_f64_e64 s0, 0, v[7:8]
	s_or_b32 s0, vcc_lo, s0
	s_orn2_b32 s0, s0, exec_lo
.LBB242_2:
	s_or_b32 exec_lo, exec_lo, s1
	s_and_saveexec_b32 s1, s0
	s_cbranch_execz .LBB242_21
; %bb.3:
	s_load_dwordx2 s[0:1], s[4:5], 0x0
	v_lshrrev_b32_e32 v9, 6, v0
	v_lshl_or_b32 v9, s6, 1, v9
	s_waitcnt lgkmcnt(0)
	v_cmp_gt_i32_e32 vcc_lo, s0, v9
	s_and_b32 exec_lo, exec_lo, vcc_lo
	s_cbranch_execz .LBB242_21
; %bb.4:
	s_load_dwordx8 s[8:15], s[4:5], 0x18
	v_ashrrev_i32_e32 v10, 31, v9
	v_and_b32_e32 v0, 63, v0
	s_cmp_lg_u32 s1, 0
	v_lshlrev_b64 v[10:11], 2, v[9:10]
	s_waitcnt lgkmcnt(0)
	v_add_co_u32 v10, vcc_lo, s8, v10
	v_add_co_ci_u32_e64 v11, null, s9, v11, vcc_lo
	global_load_dwordx2 v[10:11], v[10:11], off
	s_waitcnt vmcnt(0)
	v_subrev_nc_u32_e32 v10, s2, v10
	v_subrev_nc_u32_e32 v23, s2, v11
	v_add_nc_u32_e32 v18, v10, v0
	v_cmp_lt_i32_e64 s0, v18, v23
	s_cbranch_scc0 .LBB242_10
; %bb.5:
	v_mov_b32_e32 v10, 0
	v_mov_b32_e32 v12, 0
	;; [unrolled: 1-line block ×8, first 2 shown]
	s_and_saveexec_b32 s1, s0
	s_cbranch_execz .LBB242_9
; %bb.6:
	v_mov_b32_e32 v10, 0
	v_mov_b32_e32 v12, 0
	;; [unrolled: 1-line block ×4, first 2 shown]
	v_lshlrev_b32_e32 v19, 3, v18
	v_mov_b32_e32 v11, 0
	v_mov_b32_e32 v20, 0
	;; [unrolled: 1-line block ×6, first 2 shown]
	s_mov_b32 s3, 0
.LBB242_7:                              ; =>This Inner Loop Header: Depth=1
	v_ashrrev_i32_e32 v22, 31, v21
	v_mov_b32_e32 v29, v20
	v_lshlrev_b64 v[24:25], 2, v[21:22]
	v_add_nc_u32_e32 v21, 64, v21
	v_add_co_u32 v24, vcc_lo, s10, v24
	v_add_co_ci_u32_e64 v25, null, s11, v25, vcc_lo
	global_load_dword v22, v[24:25], off
	v_lshlrev_b64 v[24:25], 4, v[19:20]
	v_add_nc_u32_e32 v19, 0x200, v19
	v_add_co_u32 v64, vcc_lo, s12, v24
	v_add_co_ci_u32_e64 v65, null, s13, v25, vcc_lo
	global_load_dwordx4 v[24:27], v[64:65], off offset:16
	s_waitcnt vmcnt(1)
	v_subrev_nc_u32_e32 v22, s2, v22
	v_lshlrev_b32_e32 v28, 2, v22
	v_lshlrev_b64 v[28:29], 4, v[28:29]
	v_add_co_u32 v68, vcc_lo, s14, v28
	v_add_co_ci_u32_e64 v69, null, s15, v29, vcc_lo
	v_cmp_ge_i32_e32 vcc_lo, v21, v23
	global_load_dwordx4 v[28:31], v[64:65], off
	global_load_dwordx4 v[32:35], v[68:69], off
	s_clause 0x1
	global_load_dwordx4 v[36:39], v[64:65], off offset:32
	global_load_dwordx4 v[40:43], v[64:65], off offset:48
	global_load_dwordx4 v[44:47], v[68:69], off offset:16
	s_clause 0x1
	global_load_dwordx4 v[48:51], v[64:65], off offset:80
	global_load_dwordx4 v[52:55], v[64:65], off offset:64
	global_load_dwordx4 v[56:59], v[68:69], off offset:32
	s_clause 0x1
	global_load_dwordx4 v[60:63], v[64:65], off offset:96
	global_load_dwordx4 v[64:67], v[64:65], off offset:112
	global_load_dwordx4 v[68:71], v[68:69], off offset:48
	s_or_b32 s3, vcc_lo, s3
	s_waitcnt vmcnt(9)
	v_fma_f64 v[12:13], v[28:29], v[32:33], v[12:13]
	v_fma_f64 v[10:11], v[30:31], v[32:33], v[10:11]
	v_fma_f64 v[14:15], v[24:25], v[32:33], v[14:15]
	v_fma_f64 v[16:17], v[26:27], v[32:33], v[16:17]
	v_fma_f64 v[12:13], -v[30:31], v[34:35], v[12:13]
	v_fma_f64 v[10:11], v[28:29], v[34:35], v[10:11]
	v_fma_f64 v[14:15], -v[26:27], v[34:35], v[14:15]
	v_fma_f64 v[16:17], v[24:25], v[34:35], v[16:17]
	s_waitcnt vmcnt(6)
	v_fma_f64 v[12:13], v[36:37], v[44:45], v[12:13]
	v_fma_f64 v[10:11], v[38:39], v[44:45], v[10:11]
	v_fma_f64 v[14:15], v[40:41], v[44:45], v[14:15]
	v_fma_f64 v[16:17], v[42:43], v[44:45], v[16:17]
	v_fma_f64 v[12:13], -v[38:39], v[46:47], v[12:13]
	v_fma_f64 v[10:11], v[36:37], v[46:47], v[10:11]
	v_fma_f64 v[14:15], -v[42:43], v[46:47], v[14:15]
	v_fma_f64 v[16:17], v[40:41], v[46:47], v[16:17]
	;; [unrolled: 9-line block ×4, first 2 shown]
	s_andn2_b32 exec_lo, exec_lo, s3
	s_cbranch_execnz .LBB242_7
; %bb.8:
	s_or_b32 exec_lo, exec_lo, s3
.LBB242_9:
	s_or_b32 exec_lo, exec_lo, s1
	s_cbranch_execz .LBB242_11
	s_branch .LBB242_16
.LBB242_10:
                                        ; implicit-def: $vgpr10_vgpr11
                                        ; implicit-def: $vgpr12_vgpr13
                                        ; implicit-def: $vgpr14_vgpr15
                                        ; implicit-def: $vgpr16_vgpr17
.LBB242_11:
	v_mov_b32_e32 v10, 0
	v_mov_b32_e32 v12, 0
	;; [unrolled: 1-line block ×8, first 2 shown]
	s_and_saveexec_b32 s1, s0
	s_cbranch_execz .LBB242_15
; %bb.12:
	v_mov_b32_e32 v10, 0
	v_mov_b32_e32 v12, 0
	;; [unrolled: 1-line block ×4, first 2 shown]
	v_lshlrev_b32_e32 v20, 3, v18
	v_mov_b32_e32 v11, 0
	v_mov_b32_e32 v13, 0
	;; [unrolled: 1-line block ×5, first 2 shown]
	s_mov_b32 s0, 0
.LBB242_13:                             ; =>This Inner Loop Header: Depth=1
	v_ashrrev_i32_e32 v19, 31, v18
	v_mov_b32_e32 v29, v21
	v_lshlrev_b64 v[24:25], 2, v[18:19]
	v_add_nc_u32_e32 v18, 64, v18
	v_add_co_u32 v24, vcc_lo, s10, v24
	v_add_co_ci_u32_e64 v25, null, s11, v25, vcc_lo
	global_load_dword v19, v[24:25], off
	v_lshlrev_b64 v[24:25], 4, v[20:21]
	v_add_nc_u32_e32 v20, 0x200, v20
	v_add_co_u32 v64, vcc_lo, s12, v24
	v_add_co_ci_u32_e64 v65, null, s13, v25, vcc_lo
	global_load_dwordx4 v[24:27], v[64:65], off
	s_waitcnt vmcnt(1)
	v_subrev_nc_u32_e32 v19, s2, v19
	v_lshlrev_b32_e32 v28, 2, v19
	v_lshlrev_b64 v[28:29], 4, v[28:29]
	v_add_co_u32 v68, vcc_lo, s14, v28
	v_add_co_ci_u32_e64 v69, null, s15, v29, vcc_lo
	v_cmp_ge_i32_e32 vcc_lo, v18, v23
	global_load_dwordx4 v[28:31], v[64:65], off offset:64
	global_load_dwordx4 v[32:35], v[68:69], off
	s_clause 0x1
	global_load_dwordx4 v[36:39], v[64:65], off offset:16
	global_load_dwordx4 v[40:43], v[64:65], off offset:80
	global_load_dwordx4 v[44:47], v[68:69], off offset:16
	s_clause 0x1
	global_load_dwordx4 v[48:51], v[64:65], off offset:32
	global_load_dwordx4 v[52:55], v[64:65], off offset:96
	global_load_dwordx4 v[56:59], v[68:69], off offset:32
	;; [unrolled: 4-line block ×3, first 2 shown]
	s_or_b32 s0, vcc_lo, s0
	s_waitcnt vmcnt(9)
	v_fma_f64 v[12:13], v[24:25], v[32:33], v[12:13]
	v_fma_f64 v[10:11], v[26:27], v[32:33], v[10:11]
	v_fma_f64 v[14:15], v[28:29], v[32:33], v[14:15]
	v_fma_f64 v[16:17], v[30:31], v[32:33], v[16:17]
	v_fma_f64 v[12:13], -v[26:27], v[34:35], v[12:13]
	v_fma_f64 v[10:11], v[24:25], v[34:35], v[10:11]
	v_fma_f64 v[14:15], -v[30:31], v[34:35], v[14:15]
	v_fma_f64 v[16:17], v[28:29], v[34:35], v[16:17]
	s_waitcnt vmcnt(6)
	v_fma_f64 v[12:13], v[36:37], v[44:45], v[12:13]
	v_fma_f64 v[10:11], v[38:39], v[44:45], v[10:11]
	v_fma_f64 v[14:15], v[40:41], v[44:45], v[14:15]
	v_fma_f64 v[16:17], v[42:43], v[44:45], v[16:17]
	v_fma_f64 v[12:13], -v[38:39], v[46:47], v[12:13]
	v_fma_f64 v[10:11], v[36:37], v[46:47], v[10:11]
	v_fma_f64 v[14:15], -v[42:43], v[46:47], v[14:15]
	v_fma_f64 v[16:17], v[40:41], v[46:47], v[16:17]
	;; [unrolled: 9-line block ×4, first 2 shown]
	s_andn2_b32 exec_lo, exec_lo, s0
	s_cbranch_execnz .LBB242_13
; %bb.14:
	s_or_b32 exec_lo, exec_lo, s0
.LBB242_15:
	s_or_b32 exec_lo, exec_lo, s1
.LBB242_16:
	v_mbcnt_lo_u32_b32 v26, -1, 0
	v_or_b32_e32 v18, 32, v26
	v_cmp_gt_i32_e32 vcc_lo, 32, v18
	v_cndmask_b32_e32 v18, v26, v18, vcc_lo
	v_lshlrev_b32_e32 v25, 2, v18
	ds_bpermute_b32 v18, v25, v12
	ds_bpermute_b32 v19, v25, v13
	ds_bpermute_b32 v20, v25, v10
	ds_bpermute_b32 v21, v25, v11
	ds_bpermute_b32 v22, v25, v14
	ds_bpermute_b32 v23, v25, v15
	ds_bpermute_b32 v24, v25, v16
	ds_bpermute_b32 v25, v25, v17
	s_waitcnt lgkmcnt(6)
	v_add_f64 v[12:13], v[12:13], v[18:19]
	v_xor_b32_e32 v18, 16, v26
	s_waitcnt lgkmcnt(4)
	v_add_f64 v[10:11], v[10:11], v[20:21]
	s_waitcnt lgkmcnt(2)
	v_add_f64 v[14:15], v[14:15], v[22:23]
	s_waitcnt lgkmcnt(0)
	v_add_f64 v[16:17], v[16:17], v[24:25]
	v_cmp_gt_i32_e32 vcc_lo, 32, v18
	v_cndmask_b32_e32 v18, v26, v18, vcc_lo
	v_lshlrev_b32_e32 v25, 2, v18
	ds_bpermute_b32 v18, v25, v12
	ds_bpermute_b32 v19, v25, v13
	ds_bpermute_b32 v20, v25, v10
	ds_bpermute_b32 v21, v25, v11
	ds_bpermute_b32 v22, v25, v14
	ds_bpermute_b32 v23, v25, v15
	ds_bpermute_b32 v24, v25, v16
	ds_bpermute_b32 v25, v25, v17
	s_waitcnt lgkmcnt(6)
	v_add_f64 v[12:13], v[12:13], v[18:19]
	v_xor_b32_e32 v18, 8, v26
	s_waitcnt lgkmcnt(4)
	v_add_f64 v[10:11], v[10:11], v[20:21]
	s_waitcnt lgkmcnt(2)
	v_add_f64 v[14:15], v[14:15], v[22:23]
	s_waitcnt lgkmcnt(0)
	v_add_f64 v[16:17], v[16:17], v[24:25]
	;; [unrolled: 20-line block ×3, first 2 shown]
	v_cmp_gt_i32_e32 vcc_lo, 32, v18
	v_cndmask_b32_e32 v18, v26, v18, vcc_lo
	v_lshlrev_b32_e32 v25, 2, v18
	ds_bpermute_b32 v18, v25, v12
	ds_bpermute_b32 v19, v25, v13
	;; [unrolled: 1-line block ×8, first 2 shown]
	s_waitcnt lgkmcnt(6)
	v_add_f64 v[12:13], v[12:13], v[18:19]
	s_waitcnt lgkmcnt(4)
	v_add_f64 v[18:19], v[10:11], v[20:21]
	v_xor_b32_e32 v10, 2, v26
	s_waitcnt lgkmcnt(2)
	v_add_f64 v[14:15], v[14:15], v[22:23]
	s_waitcnt lgkmcnt(0)
	v_add_f64 v[20:21], v[16:17], v[24:25]
	v_cmp_gt_i32_e32 vcc_lo, 32, v10
	v_cndmask_b32_e32 v10, v26, v10, vcc_lo
	v_lshlrev_b32_e32 v25, 2, v10
	ds_bpermute_b32 v10, v25, v12
	ds_bpermute_b32 v11, v25, v13
	;; [unrolled: 1-line block ×8, first 2 shown]
	s_waitcnt lgkmcnt(6)
	v_add_f64 v[10:11], v[12:13], v[10:11]
	s_waitcnt lgkmcnt(4)
	v_add_f64 v[16:17], v[18:19], v[16:17]
	v_xor_b32_e32 v18, 1, v26
	s_waitcnt lgkmcnt(2)
	v_add_f64 v[12:13], v[14:15], v[22:23]
	s_waitcnt lgkmcnt(0)
	v_add_f64 v[14:15], v[20:21], v[24:25]
	v_cmp_gt_i32_e32 vcc_lo, 32, v18
	v_cndmask_b32_e32 v18, v26, v18, vcc_lo
	v_cmp_eq_u32_e32 vcc_lo, 63, v0
	v_lshlrev_b32_e32 v21, 2, v18
	ds_bpermute_b32 v24, v21, v10
	ds_bpermute_b32 v25, v21, v11
	;; [unrolled: 1-line block ×8, first 2 shown]
	s_and_b32 exec_lo, exec_lo, vcc_lo
	s_cbranch_execz .LBB242_21
; %bb.17:
	v_cmp_eq_f64_e32 vcc_lo, 0, v[5:6]
	v_cmp_eq_f64_e64 s0, 0, v[7:8]
	s_waitcnt lgkmcnt(6)
	v_add_f64 v[10:11], v[10:11], v[24:25]
	s_waitcnt lgkmcnt(4)
	v_add_f64 v[16:17], v[16:17], v[22:23]
	;; [unrolled: 2-line block ×4, first 2 shown]
	s_load_dwordx2 s[2:3], s[4:5], 0x48
	s_and_b32 s0, vcc_lo, s0
	s_and_saveexec_b32 s1, s0
	s_xor_b32 s0, exec_lo, s1
	s_cbranch_execz .LBB242_19
; %bb.18:
	v_mul_f64 v[5:6], v[16:17], -v[3:4]
	v_mul_f64 v[7:8], v[1:2], v[16:17]
	v_mul_f64 v[16:17], v[14:15], -v[3:4]
	v_mul_f64 v[14:15], v[1:2], v[14:15]
	v_lshlrev_b32_e32 v9, 1, v9
	v_fma_f64 v[5:6], v[1:2], v[10:11], v[5:6]
	v_fma_f64 v[7:8], v[3:4], v[10:11], v[7:8]
	;; [unrolled: 1-line block ×4, first 2 shown]
	v_ashrrev_i32_e32 v10, 31, v9
                                        ; implicit-def: $vgpr16_vgpr17
                                        ; implicit-def: $vgpr12_vgpr13
                                        ; implicit-def: $vgpr14_vgpr15
	v_lshlrev_b64 v[9:10], 4, v[9:10]
	s_waitcnt lgkmcnt(0)
	v_add_co_u32 v9, vcc_lo, s2, v9
	v_add_co_ci_u32_e64 v10, null, s3, v10, vcc_lo
	global_store_dwordx4 v[9:10], v[5:8], off
	global_store_dwordx4 v[9:10], v[0:3], off offset:16
                                        ; implicit-def: $vgpr9
                                        ; implicit-def: $vgpr10_vgpr11
                                        ; implicit-def: $vgpr7_vgpr8
                                        ; implicit-def: $vgpr3_vgpr4
.LBB242_19:
	s_andn2_saveexec_b32 s0, s0
	s_cbranch_execz .LBB242_21
; %bb.20:
	v_lshlrev_b32_e32 v18, 1, v9
	v_mul_f64 v[28:29], v[16:17], -v[3:4]
	v_mul_f64 v[16:17], v[1:2], v[16:17]
	v_mul_f64 v[30:31], v[14:15], -v[3:4]
	v_mul_f64 v[14:15], v[1:2], v[14:15]
	v_ashrrev_i32_e32 v19, 31, v18
	v_lshlrev_b64 v[18:19], 4, v[18:19]
	s_waitcnt lgkmcnt(0)
	v_add_co_u32 v26, vcc_lo, s2, v18
	v_add_co_ci_u32_e64 v27, null, s3, v19, vcc_lo
	s_clause 0x1
	global_load_dwordx4 v[18:21], v[26:27], off
	global_load_dwordx4 v[22:25], v[26:27], off offset:16
	v_fma_f64 v[28:29], v[1:2], v[10:11], v[28:29]
	v_fma_f64 v[9:10], v[3:4], v[10:11], v[16:17]
	;; [unrolled: 1-line block ×4, first 2 shown]
	s_waitcnt vmcnt(1)
	v_fma_f64 v[11:12], v[5:6], v[18:19], v[28:29]
	v_fma_f64 v[9:10], v[7:8], v[18:19], v[9:10]
	s_waitcnt vmcnt(0)
	v_fma_f64 v[13:14], v[5:6], v[22:23], v[0:1]
	v_fma_f64 v[15:16], v[7:8], v[22:23], v[2:3]
	v_fma_f64 v[0:1], -v[7:8], v[20:21], v[11:12]
	v_fma_f64 v[2:3], v[5:6], v[20:21], v[9:10]
	v_fma_f64 v[7:8], -v[7:8], v[24:25], v[13:14]
	v_fma_f64 v[9:10], v[5:6], v[24:25], v[15:16]
	global_store_dwordx4 v[26:27], v[0:3], off
	global_store_dwordx4 v[26:27], v[7:10], off offset:16
.LBB242_21:
	s_endpgm
	.section	.rodata,"a",@progbits
	.p2align	6, 0x0
	.amdhsa_kernel _ZN9rocsparseL19gebsrmvn_2xn_kernelILj128ELj4ELj64E21rocsparse_complex_numIdEEEvi20rocsparse_direction_NS_24const_host_device_scalarIT2_EEPKiS8_PKS5_SA_S6_PS5_21rocsparse_index_base_b
		.amdhsa_group_segment_fixed_size 0
		.amdhsa_private_segment_fixed_size 0
		.amdhsa_kernarg_size 88
		.amdhsa_user_sgpr_count 6
		.amdhsa_user_sgpr_private_segment_buffer 1
		.amdhsa_user_sgpr_dispatch_ptr 0
		.amdhsa_user_sgpr_queue_ptr 0
		.amdhsa_user_sgpr_kernarg_segment_ptr 1
		.amdhsa_user_sgpr_dispatch_id 0
		.amdhsa_user_sgpr_flat_scratch_init 0
		.amdhsa_user_sgpr_private_segment_size 0
		.amdhsa_wavefront_size32 1
		.amdhsa_uses_dynamic_stack 0
		.amdhsa_system_sgpr_private_segment_wavefront_offset 0
		.amdhsa_system_sgpr_workgroup_id_x 1
		.amdhsa_system_sgpr_workgroup_id_y 0
		.amdhsa_system_sgpr_workgroup_id_z 0
		.amdhsa_system_sgpr_workgroup_info 0
		.amdhsa_system_vgpr_workitem_id 0
		.amdhsa_next_free_vgpr 72
		.amdhsa_next_free_sgpr 16
		.amdhsa_reserve_vcc 1
		.amdhsa_reserve_flat_scratch 0
		.amdhsa_float_round_mode_32 0
		.amdhsa_float_round_mode_16_64 0
		.amdhsa_float_denorm_mode_32 3
		.amdhsa_float_denorm_mode_16_64 3
		.amdhsa_dx10_clamp 1
		.amdhsa_ieee_mode 1
		.amdhsa_fp16_overflow 0
		.amdhsa_workgroup_processor_mode 1
		.amdhsa_memory_ordered 1
		.amdhsa_forward_progress 1
		.amdhsa_shared_vgpr_count 0
		.amdhsa_exception_fp_ieee_invalid_op 0
		.amdhsa_exception_fp_denorm_src 0
		.amdhsa_exception_fp_ieee_div_zero 0
		.amdhsa_exception_fp_ieee_overflow 0
		.amdhsa_exception_fp_ieee_underflow 0
		.amdhsa_exception_fp_ieee_inexact 0
		.amdhsa_exception_int_div_zero 0
	.end_amdhsa_kernel
	.section	.text._ZN9rocsparseL19gebsrmvn_2xn_kernelILj128ELj4ELj64E21rocsparse_complex_numIdEEEvi20rocsparse_direction_NS_24const_host_device_scalarIT2_EEPKiS8_PKS5_SA_S6_PS5_21rocsparse_index_base_b,"axG",@progbits,_ZN9rocsparseL19gebsrmvn_2xn_kernelILj128ELj4ELj64E21rocsparse_complex_numIdEEEvi20rocsparse_direction_NS_24const_host_device_scalarIT2_EEPKiS8_PKS5_SA_S6_PS5_21rocsparse_index_base_b,comdat
.Lfunc_end242:
	.size	_ZN9rocsparseL19gebsrmvn_2xn_kernelILj128ELj4ELj64E21rocsparse_complex_numIdEEEvi20rocsparse_direction_NS_24const_host_device_scalarIT2_EEPKiS8_PKS5_SA_S6_PS5_21rocsparse_index_base_b, .Lfunc_end242-_ZN9rocsparseL19gebsrmvn_2xn_kernelILj128ELj4ELj64E21rocsparse_complex_numIdEEEvi20rocsparse_direction_NS_24const_host_device_scalarIT2_EEPKiS8_PKS5_SA_S6_PS5_21rocsparse_index_base_b
                                        ; -- End function
	.set _ZN9rocsparseL19gebsrmvn_2xn_kernelILj128ELj4ELj64E21rocsparse_complex_numIdEEEvi20rocsparse_direction_NS_24const_host_device_scalarIT2_EEPKiS8_PKS5_SA_S6_PS5_21rocsparse_index_base_b.num_vgpr, 72
	.set _ZN9rocsparseL19gebsrmvn_2xn_kernelILj128ELj4ELj64E21rocsparse_complex_numIdEEEvi20rocsparse_direction_NS_24const_host_device_scalarIT2_EEPKiS8_PKS5_SA_S6_PS5_21rocsparse_index_base_b.num_agpr, 0
	.set _ZN9rocsparseL19gebsrmvn_2xn_kernelILj128ELj4ELj64E21rocsparse_complex_numIdEEEvi20rocsparse_direction_NS_24const_host_device_scalarIT2_EEPKiS8_PKS5_SA_S6_PS5_21rocsparse_index_base_b.numbered_sgpr, 16
	.set _ZN9rocsparseL19gebsrmvn_2xn_kernelILj128ELj4ELj64E21rocsparse_complex_numIdEEEvi20rocsparse_direction_NS_24const_host_device_scalarIT2_EEPKiS8_PKS5_SA_S6_PS5_21rocsparse_index_base_b.num_named_barrier, 0
	.set _ZN9rocsparseL19gebsrmvn_2xn_kernelILj128ELj4ELj64E21rocsparse_complex_numIdEEEvi20rocsparse_direction_NS_24const_host_device_scalarIT2_EEPKiS8_PKS5_SA_S6_PS5_21rocsparse_index_base_b.private_seg_size, 0
	.set _ZN9rocsparseL19gebsrmvn_2xn_kernelILj128ELj4ELj64E21rocsparse_complex_numIdEEEvi20rocsparse_direction_NS_24const_host_device_scalarIT2_EEPKiS8_PKS5_SA_S6_PS5_21rocsparse_index_base_b.uses_vcc, 1
	.set _ZN9rocsparseL19gebsrmvn_2xn_kernelILj128ELj4ELj64E21rocsparse_complex_numIdEEEvi20rocsparse_direction_NS_24const_host_device_scalarIT2_EEPKiS8_PKS5_SA_S6_PS5_21rocsparse_index_base_b.uses_flat_scratch, 0
	.set _ZN9rocsparseL19gebsrmvn_2xn_kernelILj128ELj4ELj64E21rocsparse_complex_numIdEEEvi20rocsparse_direction_NS_24const_host_device_scalarIT2_EEPKiS8_PKS5_SA_S6_PS5_21rocsparse_index_base_b.has_dyn_sized_stack, 0
	.set _ZN9rocsparseL19gebsrmvn_2xn_kernelILj128ELj4ELj64E21rocsparse_complex_numIdEEEvi20rocsparse_direction_NS_24const_host_device_scalarIT2_EEPKiS8_PKS5_SA_S6_PS5_21rocsparse_index_base_b.has_recursion, 0
	.set _ZN9rocsparseL19gebsrmvn_2xn_kernelILj128ELj4ELj64E21rocsparse_complex_numIdEEEvi20rocsparse_direction_NS_24const_host_device_scalarIT2_EEPKiS8_PKS5_SA_S6_PS5_21rocsparse_index_base_b.has_indirect_call, 0
	.section	.AMDGPU.csdata,"",@progbits
; Kernel info:
; codeLenInByte = 2660
; TotalNumSgprs: 18
; NumVgprs: 72
; ScratchSize: 0
; MemoryBound: 1
; FloatMode: 240
; IeeeMode: 1
; LDSByteSize: 0 bytes/workgroup (compile time only)
; SGPRBlocks: 0
; VGPRBlocks: 8
; NumSGPRsForWavesPerEU: 18
; NumVGPRsForWavesPerEU: 72
; Occupancy: 12
; WaveLimiterHint : 1
; COMPUTE_PGM_RSRC2:SCRATCH_EN: 0
; COMPUTE_PGM_RSRC2:USER_SGPR: 6
; COMPUTE_PGM_RSRC2:TRAP_HANDLER: 0
; COMPUTE_PGM_RSRC2:TGID_X_EN: 1
; COMPUTE_PGM_RSRC2:TGID_Y_EN: 0
; COMPUTE_PGM_RSRC2:TGID_Z_EN: 0
; COMPUTE_PGM_RSRC2:TIDIG_COMP_CNT: 0
	.section	.text._ZN9rocsparseL19gebsrmvn_2xn_kernelILj128ELj5ELj4E21rocsparse_complex_numIdEEEvi20rocsparse_direction_NS_24const_host_device_scalarIT2_EEPKiS8_PKS5_SA_S6_PS5_21rocsparse_index_base_b,"axG",@progbits,_ZN9rocsparseL19gebsrmvn_2xn_kernelILj128ELj5ELj4E21rocsparse_complex_numIdEEEvi20rocsparse_direction_NS_24const_host_device_scalarIT2_EEPKiS8_PKS5_SA_S6_PS5_21rocsparse_index_base_b,comdat
	.globl	_ZN9rocsparseL19gebsrmvn_2xn_kernelILj128ELj5ELj4E21rocsparse_complex_numIdEEEvi20rocsparse_direction_NS_24const_host_device_scalarIT2_EEPKiS8_PKS5_SA_S6_PS5_21rocsparse_index_base_b ; -- Begin function _ZN9rocsparseL19gebsrmvn_2xn_kernelILj128ELj5ELj4E21rocsparse_complex_numIdEEEvi20rocsparse_direction_NS_24const_host_device_scalarIT2_EEPKiS8_PKS5_SA_S6_PS5_21rocsparse_index_base_b
	.p2align	8
	.type	_ZN9rocsparseL19gebsrmvn_2xn_kernelILj128ELj5ELj4E21rocsparse_complex_numIdEEEvi20rocsparse_direction_NS_24const_host_device_scalarIT2_EEPKiS8_PKS5_SA_S6_PS5_21rocsparse_index_base_b,@function
_ZN9rocsparseL19gebsrmvn_2xn_kernelILj128ELj5ELj4E21rocsparse_complex_numIdEEEvi20rocsparse_direction_NS_24const_host_device_scalarIT2_EEPKiS8_PKS5_SA_S6_PS5_21rocsparse_index_base_b: ; @_ZN9rocsparseL19gebsrmvn_2xn_kernelILj128ELj5ELj4E21rocsparse_complex_numIdEEEvi20rocsparse_direction_NS_24const_host_device_scalarIT2_EEPKiS8_PKS5_SA_S6_PS5_21rocsparse_index_base_b
; %bb.0:
	s_clause 0x1
	s_load_dwordx2 s[2:3], s[4:5], 0x50
	s_load_dwordx2 s[0:1], s[4:5], 0x8
	s_add_u32 s7, s4, 8
	s_addc_u32 s10, s5, 0
	s_add_u32 s11, s4, 56
	s_addc_u32 s12, s5, 0
	s_load_dwordx2 s[8:9], s[4:5], 0x38
	s_waitcnt lgkmcnt(0)
	s_bitcmp1_b32 s3, 0
	s_cselect_b32 s0, s7, s0
	s_cselect_b32 s1, s10, s1
	v_mov_b32_e32 v1, s0
	v_mov_b32_e32 v2, s1
	s_cselect_b32 s0, s11, s8
	s_cselect_b32 s1, s12, s9
	v_mov_b32_e32 v5, s0
	v_mov_b32_e32 v6, s1
	flat_load_dwordx4 v[1:4], v[1:2]
	flat_load_dwordx4 v[5:8], v[5:6]
	s_waitcnt vmcnt(1) lgkmcnt(1)
	v_cmp_eq_f64_e32 vcc_lo, 0, v[1:2]
	v_cmp_eq_f64_e64 s0, 0, v[3:4]
	s_and_b32 s3, vcc_lo, s0
	s_mov_b32 s0, -1
	s_and_saveexec_b32 s1, s3
	s_cbranch_execz .LBB243_2
; %bb.1:
	s_waitcnt vmcnt(0) lgkmcnt(0)
	v_cmp_neq_f64_e32 vcc_lo, 1.0, v[5:6]
	v_cmp_neq_f64_e64 s0, 0, v[7:8]
	s_or_b32 s0, vcc_lo, s0
	s_orn2_b32 s0, s0, exec_lo
.LBB243_2:
	s_or_b32 exec_lo, exec_lo, s1
	s_and_saveexec_b32 s1, s0
	s_cbranch_execz .LBB243_21
; %bb.3:
	s_load_dwordx2 s[0:1], s[4:5], 0x0
	v_lshrrev_b32_e32 v9, 2, v0
	v_lshl_or_b32 v9, s6, 5, v9
	s_waitcnt lgkmcnt(0)
	v_cmp_gt_i32_e32 vcc_lo, s0, v9
	s_and_b32 exec_lo, exec_lo, vcc_lo
	s_cbranch_execz .LBB243_21
; %bb.4:
	s_load_dwordx8 s[8:15], s[4:5], 0x18
	v_ashrrev_i32_e32 v10, 31, v9
	v_and_b32_e32 v0, 3, v0
	s_cmp_lg_u32 s1, 0
	v_lshlrev_b64 v[10:11], 2, v[9:10]
	s_waitcnt lgkmcnt(0)
	v_add_co_u32 v10, vcc_lo, s8, v10
	v_add_co_ci_u32_e64 v11, null, s9, v11, vcc_lo
	global_load_dwordx2 v[10:11], v[10:11], off
	s_waitcnt vmcnt(0)
	v_subrev_nc_u32_e32 v10, s2, v10
	v_subrev_nc_u32_e32 v25, s2, v11
	v_add_nc_u32_e32 v10, v10, v0
	v_cmp_lt_i32_e64 s0, v10, v25
	s_cbranch_scc0 .LBB243_10
; %bb.5:
	v_mov_b32_e32 v12, 0
	v_mov_b32_e32 v14, 0
	;; [unrolled: 1-line block ×8, first 2 shown]
	s_and_saveexec_b32 s1, s0
	s_cbranch_execz .LBB243_9
; %bb.6:
	v_mad_u64_u32 v[20:21], null, v10, 10, 8
	v_mov_b32_e32 v12, 0
	v_mov_b32_e32 v14, 0
	;; [unrolled: 1-line block ×10, first 2 shown]
	s_mov_b32 s3, 0
.LBB243_7:                              ; =>This Inner Loop Header: Depth=1
	v_ashrrev_i32_e32 v24, 31, v23
	v_add_nc_u32_e32 v21, -8, v20
	v_mov_b32_e32 v79, v22
	v_lshlrev_b64 v[26:27], 2, v[23:24]
	v_add_nc_u32_e32 v23, 4, v23
	v_add_co_u32 v26, vcc_lo, s10, v26
	v_add_co_ci_u32_e64 v27, null, s11, v27, vcc_lo
	global_load_dword v11, v[26:27], off
	v_lshlrev_b64 v[26:27], 4, v[21:22]
	v_add_nc_u32_e32 v21, -6, v20
	v_lshlrev_b64 v[38:39], 4, v[21:22]
	v_add_co_u32 v30, vcc_lo, s12, v26
	v_add_co_ci_u32_e64 v31, null, s13, v27, vcc_lo
	global_load_dwordx4 v[26:29], v[30:31], off offset:16
	s_waitcnt vmcnt(1)
	v_subrev_nc_u32_e32 v11, s2, v11
	v_lshl_add_u32 v78, v11, 2, v11
	v_lshlrev_b64 v[32:33], 4, v[78:79]
	v_add_nc_u32_e32 v21, 1, v78
	v_lshlrev_b64 v[44:45], 4, v[21:22]
	v_add_co_u32 v34, vcc_lo, s14, v32
	v_add_co_ci_u32_e64 v35, null, s15, v33, vcc_lo
	v_add_co_u32 v42, vcc_lo, s12, v38
	global_load_dwordx4 v[30:33], v[30:31], off
	global_load_dwordx4 v[34:37], v[34:35], off
	v_add_co_ci_u32_e64 v43, null, s13, v39, vcc_lo
	v_add_co_u32 v46, vcc_lo, s14, v44
	v_add_co_ci_u32_e64 v47, null, s15, v45, vcc_lo
	s_clause 0x1
	global_load_dwordx4 v[38:41], v[42:43], off offset:16
	global_load_dwordx4 v[42:45], v[42:43], off
	global_load_dwordx4 v[46:49], v[46:47], off
	v_add_nc_u32_e32 v21, -4, v20
	v_lshlrev_b64 v[50:51], 4, v[21:22]
	v_add_nc_u32_e32 v21, 2, v78
	v_lshlrev_b64 v[52:53], 4, v[21:22]
	v_add_co_u32 v54, vcc_lo, s12, v50
	v_add_co_ci_u32_e64 v55, null, s13, v51, vcc_lo
	v_add_nc_u32_e32 v21, -2, v20
	v_add_co_u32 v58, vcc_lo, s14, v52
	v_add_co_ci_u32_e64 v59, null, s15, v53, vcc_lo
	s_clause 0x1
	global_load_dwordx4 v[50:53], v[54:55], off offset:16
	global_load_dwordx4 v[54:57], v[54:55], off
	global_load_dwordx4 v[58:61], v[58:59], off
	v_lshlrev_b64 v[62:63], 4, v[21:22]
	v_add_nc_u32_e32 v21, 3, v78
	v_lshlrev_b64 v[64:65], 4, v[21:22]
	v_add_co_u32 v66, vcc_lo, s12, v62
	v_add_co_ci_u32_e64 v67, null, s13, v63, vcc_lo
	v_mov_b32_e32 v21, v22
	v_add_co_u32 v70, vcc_lo, s14, v64
	v_add_co_ci_u32_e64 v71, null, s15, v65, vcc_lo
	s_clause 0x1
	global_load_dwordx4 v[62:65], v[66:67], off offset:16
	global_load_dwordx4 v[66:69], v[66:67], off
	global_load_dwordx4 v[70:73], v[70:71], off
	v_lshlrev_b64 v[74:75], 4, v[20:21]
	v_add_nc_u32_e32 v21, 4, v78
	v_add_nc_u32_e32 v20, 40, v20
	v_lshlrev_b64 v[81:82], 4, v[21:22]
	v_add_co_u32 v79, vcc_lo, s12, v74
	v_add_co_ci_u32_e64 v80, null, s13, v75, vcc_lo
	v_add_co_u32 v83, vcc_lo, s14, v81
	v_add_co_ci_u32_e64 v84, null, s15, v82, vcc_lo
	s_clause 0x1
	global_load_dwordx4 v[74:77], v[79:80], off offset:16
	global_load_dwordx4 v[78:81], v[79:80], off
	global_load_dwordx4 v[82:85], v[83:84], off
	v_cmp_ge_i32_e32 vcc_lo, v23, v25
	s_or_b32 s3, vcc_lo, s3
	s_waitcnt vmcnt(12)
	v_fma_f64 v[14:15], v[30:31], v[34:35], v[14:15]
	v_fma_f64 v[11:12], v[32:33], v[34:35], v[12:13]
	v_fma_f64 v[16:17], v[26:27], v[34:35], v[16:17]
	v_fma_f64 v[18:19], v[28:29], v[34:35], v[18:19]
	v_fma_f64 v[13:14], -v[32:33], v[36:37], v[14:15]
	v_fma_f64 v[11:12], v[30:31], v[36:37], v[11:12]
	v_fma_f64 v[15:16], -v[28:29], v[36:37], v[16:17]
	v_fma_f64 v[17:18], v[26:27], v[36:37], v[18:19]
	s_waitcnt vmcnt(9)
	v_fma_f64 v[13:14], v[42:43], v[46:47], v[13:14]
	v_fma_f64 v[11:12], v[44:45], v[46:47], v[11:12]
	v_fma_f64 v[15:16], v[38:39], v[46:47], v[15:16]
	v_fma_f64 v[17:18], v[40:41], v[46:47], v[17:18]
	v_fma_f64 v[13:14], -v[44:45], v[48:49], v[13:14]
	v_fma_f64 v[11:12], v[42:43], v[48:49], v[11:12]
	v_fma_f64 v[15:16], -v[40:41], v[48:49], v[15:16]
	v_fma_f64 v[17:18], v[38:39], v[48:49], v[17:18]
	;; [unrolled: 9-line block ×5, first 2 shown]
	s_andn2_b32 exec_lo, exec_lo, s3
	s_cbranch_execnz .LBB243_7
; %bb.8:
	s_or_b32 exec_lo, exec_lo, s3
.LBB243_9:
	s_or_b32 exec_lo, exec_lo, s1
	s_cbranch_execz .LBB243_11
	s_branch .LBB243_16
.LBB243_10:
                                        ; implicit-def: $vgpr12_vgpr13
                                        ; implicit-def: $vgpr14_vgpr15
                                        ; implicit-def: $vgpr16_vgpr17
                                        ; implicit-def: $vgpr18_vgpr19
.LBB243_11:
	v_mov_b32_e32 v12, 0
	v_mov_b32_e32 v14, 0
	;; [unrolled: 1-line block ×8, first 2 shown]
	s_and_saveexec_b32 s1, s0
	s_cbranch_execz .LBB243_15
; %bb.12:
	v_mad_u64_u32 v[20:21], null, v10, 10, 9
	v_mov_b32_e32 v12, 0
	v_mov_b32_e32 v14, 0
	v_mov_b32_e32 v16, 0
	v_mov_b32_e32 v18, 0
	v_mov_b32_e32 v13, 0
	v_mov_b32_e32 v15, 0
	v_mov_b32_e32 v17, 0
	v_mov_b32_e32 v19, 0
	v_mov_b32_e32 v22, 0
	s_mov_b32 s0, 0
.LBB243_13:                             ; =>This Inner Loop Header: Depth=1
	v_ashrrev_i32_e32 v11, 31, v10
	v_add_nc_u32_e32 v21, -9, v20
	v_mov_b32_e32 v79, v22
	v_lshlrev_b64 v[23:24], 2, v[10:11]
	v_lshlrev_b64 v[26:27], 4, v[21:22]
	v_add_nc_u32_e32 v10, 4, v10
	v_add_co_u32 v23, vcc_lo, s10, v23
	v_add_co_ci_u32_e64 v24, null, s11, v24, vcc_lo
	v_add_co_u32 v30, vcc_lo, s12, v26
	v_add_co_ci_u32_e64 v31, null, s13, v27, vcc_lo
	global_load_dword v11, v[23:24], off
	v_add_nc_u32_e32 v23, -4, v20
	v_mov_b32_e32 v24, v22
	s_clause 0x1
	global_load_dwordx4 v[26:29], v[30:31], off offset:16
	global_load_dwordx4 v[30:33], v[30:31], off
	v_lshlrev_b64 v[23:24], 4, v[23:24]
	v_add_co_u32 v23, vcc_lo, s12, v23
	v_add_co_ci_u32_e64 v24, null, s13, v24, vcc_lo
	s_waitcnt vmcnt(2)
	v_subrev_nc_u32_e32 v11, s2, v11
	v_lshl_add_u32 v78, v11, 2, v11
	v_lshlrev_b64 v[34:35], 4, v[78:79]
	v_add_nc_u32_e32 v21, 1, v78
	v_add_co_u32 v38, vcc_lo, s14, v34
	v_add_co_ci_u32_e64 v39, null, s15, v35, vcc_lo
	global_load_dwordx4 v[34:37], v[23:24], off
	global_load_dwordx4 v[38:41], v[38:39], off
	v_lshlrev_b64 v[23:24], 4, v[21:22]
	v_add_nc_u32_e32 v21, -3, v20
	v_lshlrev_b64 v[42:43], 4, v[21:22]
	v_add_co_u32 v23, vcc_lo, s14, v23
	v_add_co_ci_u32_e64 v24, null, s15, v24, vcc_lo
	v_add_nc_u32_e32 v21, -7, v20
	v_add_co_u32 v46, vcc_lo, s12, v42
	v_add_co_ci_u32_e64 v47, null, s13, v43, vcc_lo
	global_load_dwordx4 v[42:45], v[23:24], off
	global_load_dwordx4 v[46:49], v[46:47], off
	v_lshlrev_b64 v[23:24], 4, v[21:22]
	v_add_nc_u32_e32 v21, 2, v78
	v_lshlrev_b64 v[50:51], 4, v[21:22]
	v_add_nc_u32_e32 v21, -2, v20
	v_add_co_u32 v23, vcc_lo, s12, v23
	v_add_co_ci_u32_e64 v24, null, s13, v24, vcc_lo
	v_lshlrev_b64 v[52:53], 4, v[21:22]
	v_add_co_u32 v54, vcc_lo, s14, v50
	v_add_co_ci_u32_e64 v55, null, s15, v51, vcc_lo
	v_add_nc_u32_e32 v21, -6, v20
	v_add_co_u32 v58, vcc_lo, s12, v52
	v_add_co_ci_u32_e64 v59, null, s13, v53, vcc_lo
	global_load_dwordx4 v[50:53], v[23:24], off
	global_load_dwordx4 v[54:57], v[54:55], off
	;; [unrolled: 1-line block ×3, first 2 shown]
	v_lshlrev_b64 v[23:24], 4, v[21:22]
	v_add_nc_u32_e32 v21, 3, v78
	v_lshlrev_b64 v[62:63], 4, v[21:22]
	v_add_nc_u32_e32 v21, -1, v20
	v_add_co_u32 v23, vcc_lo, s12, v23
	v_add_co_ci_u32_e64 v24, null, s13, v24, vcc_lo
	v_lshlrev_b64 v[66:67], 4, v[21:22]
	v_add_co_u32 v68, vcc_lo, s14, v62
	v_add_co_ci_u32_e64 v69, null, s15, v63, vcc_lo
	global_load_dwordx4 v[62:65], v[23:24], off
	v_add_co_u32 v23, vcc_lo, s12, v66
	v_add_co_ci_u32_e64 v24, null, s13, v67, vcc_lo
	global_load_dwordx4 v[66:69], v[68:69], off
	global_load_dwordx4 v[70:73], v[23:24], off
	v_mov_b32_e32 v21, v22
	v_lshlrev_b64 v[23:24], 4, v[20:21]
	v_add_nc_u32_e32 v21, -5, v20
	v_add_nc_u32_e32 v20, 40, v20
	v_add_co_u32 v23, vcc_lo, s12, v23
	v_add_co_ci_u32_e64 v24, null, s13, v24, vcc_lo
	global_load_dwordx4 v[74:77], v[23:24], off
	v_lshlrev_b64 v[23:24], 4, v[21:22]
	v_add_nc_u32_e32 v21, 4, v78
	v_lshlrev_b64 v[78:79], 4, v[21:22]
	v_add_co_u32 v23, vcc_lo, s12, v23
	v_add_co_ci_u32_e64 v24, null, s13, v24, vcc_lo
	v_add_co_u32 v82, vcc_lo, s14, v78
	v_add_co_ci_u32_e64 v83, null, s15, v79, vcc_lo
	global_load_dwordx4 v[78:81], v[23:24], off
	global_load_dwordx4 v[82:85], v[82:83], off
	v_cmp_ge_i32_e32 vcc_lo, v10, v25
	s_or_b32 s0, vcc_lo, s0
	s_waitcnt vmcnt(11)
	v_fma_f64 v[14:15], v[30:31], v[38:39], v[14:15]
	v_fma_f64 v[11:12], v[32:33], v[38:39], v[12:13]
	;; [unrolled: 1-line block ×4, first 2 shown]
	v_fma_f64 v[13:14], -v[32:33], v[40:41], v[14:15]
	v_fma_f64 v[11:12], v[30:31], v[40:41], v[11:12]
	v_fma_f64 v[15:16], -v[36:37], v[40:41], v[16:17]
	v_fma_f64 v[17:18], v[34:35], v[40:41], v[18:19]
	s_waitcnt vmcnt(10)
	v_fma_f64 v[13:14], v[26:27], v[42:43], v[13:14]
	v_fma_f64 v[11:12], v[28:29], v[42:43], v[11:12]
	s_waitcnt vmcnt(9)
	v_fma_f64 v[15:16], v[46:47], v[42:43], v[15:16]
	v_fma_f64 v[17:18], v[48:49], v[42:43], v[17:18]
	v_fma_f64 v[13:14], -v[28:29], v[44:45], v[13:14]
	v_fma_f64 v[11:12], v[26:27], v[44:45], v[11:12]
	v_fma_f64 v[15:16], -v[48:49], v[44:45], v[15:16]
	v_fma_f64 v[17:18], v[46:47], v[44:45], v[17:18]
	s_waitcnt vmcnt(7)
	v_fma_f64 v[13:14], v[50:51], v[54:55], v[13:14]
	v_fma_f64 v[11:12], v[52:53], v[54:55], v[11:12]
	s_waitcnt vmcnt(6)
	v_fma_f64 v[15:16], v[58:59], v[54:55], v[15:16]
	v_fma_f64 v[17:18], v[60:61], v[54:55], v[17:18]
	;; [unrolled: 10-line block ×3, first 2 shown]
	v_fma_f64 v[13:14], -v[64:65], v[68:69], v[13:14]
	v_fma_f64 v[11:12], v[62:63], v[68:69], v[11:12]
	v_fma_f64 v[15:16], -v[72:73], v[68:69], v[15:16]
	v_fma_f64 v[17:18], v[70:71], v[68:69], v[17:18]
	s_waitcnt vmcnt(0)
	v_fma_f64 v[13:14], v[78:79], v[82:83], v[13:14]
	v_fma_f64 v[11:12], v[80:81], v[82:83], v[11:12]
	;; [unrolled: 1-line block ×4, first 2 shown]
	v_fma_f64 v[14:15], -v[80:81], v[84:85], v[13:14]
	v_fma_f64 v[12:13], v[78:79], v[84:85], v[11:12]
	v_fma_f64 v[16:17], -v[76:77], v[84:85], v[23:24]
	v_fma_f64 v[18:19], v[74:75], v[84:85], v[18:19]
	s_andn2_b32 exec_lo, exec_lo, s0
	s_cbranch_execnz .LBB243_13
; %bb.14:
	s_or_b32 exec_lo, exec_lo, s0
.LBB243_15:
	s_or_b32 exec_lo, exec_lo, s1
.LBB243_16:
	v_mbcnt_lo_u32_b32 v26, -1, 0
	v_xor_b32_e32 v10, 2, v26
	v_cmp_gt_i32_e32 vcc_lo, 32, v10
	v_cndmask_b32_e32 v10, v26, v10, vcc_lo
	v_lshlrev_b32_e32 v25, 2, v10
	ds_bpermute_b32 v10, v25, v14
	ds_bpermute_b32 v11, v25, v15
	;; [unrolled: 1-line block ×8, first 2 shown]
	s_waitcnt lgkmcnt(6)
	v_add_f64 v[10:11], v[14:15], v[10:11]
	s_waitcnt lgkmcnt(4)
	v_add_f64 v[20:21], v[12:13], v[20:21]
	;; [unrolled: 2-line block ×3, first 2 shown]
	v_xor_b32_e32 v16, 1, v26
	s_waitcnt lgkmcnt(0)
	v_add_f64 v[14:15], v[18:19], v[24:25]
	v_cmp_gt_i32_e32 vcc_lo, 32, v16
	v_cndmask_b32_e32 v16, v26, v16, vcc_lo
	v_cmp_eq_u32_e32 vcc_lo, 3, v0
	v_lshlrev_b32_e32 v23, 2, v16
	ds_bpermute_b32 v24, v23, v10
	ds_bpermute_b32 v25, v23, v11
	;; [unrolled: 1-line block ×8, first 2 shown]
	s_and_b32 exec_lo, exec_lo, vcc_lo
	s_cbranch_execz .LBB243_21
; %bb.17:
	v_cmp_eq_f64_e32 vcc_lo, 0, v[5:6]
	v_cmp_eq_f64_e64 s0, 0, v[7:8]
	s_waitcnt lgkmcnt(6)
	v_add_f64 v[10:11], v[10:11], v[24:25]
	s_waitcnt lgkmcnt(4)
	v_add_f64 v[16:17], v[20:21], v[16:17]
	;; [unrolled: 2-line block ×4, first 2 shown]
	s_load_dwordx2 s[2:3], s[4:5], 0x48
	s_and_b32 s0, vcc_lo, s0
	s_and_saveexec_b32 s1, s0
	s_xor_b32 s0, exec_lo, s1
	s_cbranch_execz .LBB243_19
; %bb.18:
	v_mul_f64 v[5:6], v[16:17], -v[3:4]
	v_mul_f64 v[7:8], v[1:2], v[16:17]
	v_mul_f64 v[16:17], v[14:15], -v[3:4]
	v_mul_f64 v[14:15], v[1:2], v[14:15]
	v_lshlrev_b32_e32 v9, 1, v9
	v_fma_f64 v[5:6], v[1:2], v[10:11], v[5:6]
	v_fma_f64 v[7:8], v[3:4], v[10:11], v[7:8]
	v_fma_f64 v[0:1], v[1:2], v[12:13], v[16:17]
	v_fma_f64 v[2:3], v[3:4], v[12:13], v[14:15]
	v_ashrrev_i32_e32 v10, 31, v9
                                        ; implicit-def: $vgpr16_vgpr17
                                        ; implicit-def: $vgpr12_vgpr13
                                        ; implicit-def: $vgpr14_vgpr15
	v_lshlrev_b64 v[9:10], 4, v[9:10]
	s_waitcnt lgkmcnt(0)
	v_add_co_u32 v9, vcc_lo, s2, v9
	v_add_co_ci_u32_e64 v10, null, s3, v10, vcc_lo
	global_store_dwordx4 v[9:10], v[5:8], off
	global_store_dwordx4 v[9:10], v[0:3], off offset:16
                                        ; implicit-def: $vgpr9
                                        ; implicit-def: $vgpr10_vgpr11
                                        ; implicit-def: $vgpr7_vgpr8
                                        ; implicit-def: $vgpr3_vgpr4
.LBB243_19:
	s_andn2_saveexec_b32 s0, s0
	s_cbranch_execz .LBB243_21
; %bb.20:
	v_lshlrev_b32_e32 v18, 1, v9
	v_mul_f64 v[28:29], v[16:17], -v[3:4]
	v_mul_f64 v[16:17], v[1:2], v[16:17]
	v_mul_f64 v[30:31], v[14:15], -v[3:4]
	v_mul_f64 v[14:15], v[1:2], v[14:15]
	v_ashrrev_i32_e32 v19, 31, v18
	v_lshlrev_b64 v[18:19], 4, v[18:19]
	s_waitcnt lgkmcnt(0)
	v_add_co_u32 v26, vcc_lo, s2, v18
	v_add_co_ci_u32_e64 v27, null, s3, v19, vcc_lo
	s_clause 0x1
	global_load_dwordx4 v[18:21], v[26:27], off
	global_load_dwordx4 v[22:25], v[26:27], off offset:16
	v_fma_f64 v[28:29], v[1:2], v[10:11], v[28:29]
	v_fma_f64 v[9:10], v[3:4], v[10:11], v[16:17]
	;; [unrolled: 1-line block ×4, first 2 shown]
	s_waitcnt vmcnt(1)
	v_fma_f64 v[11:12], v[5:6], v[18:19], v[28:29]
	v_fma_f64 v[9:10], v[7:8], v[18:19], v[9:10]
	s_waitcnt vmcnt(0)
	v_fma_f64 v[13:14], v[5:6], v[22:23], v[0:1]
	v_fma_f64 v[15:16], v[7:8], v[22:23], v[2:3]
	v_fma_f64 v[0:1], -v[7:8], v[20:21], v[11:12]
	v_fma_f64 v[2:3], v[5:6], v[20:21], v[9:10]
	v_fma_f64 v[7:8], -v[7:8], v[24:25], v[13:14]
	v_fma_f64 v[9:10], v[5:6], v[24:25], v[15:16]
	global_store_dwordx4 v[26:27], v[0:3], off
	global_store_dwordx4 v[26:27], v[7:10], off offset:16
.LBB243_21:
	s_endpgm
	.section	.rodata,"a",@progbits
	.p2align	6, 0x0
	.amdhsa_kernel _ZN9rocsparseL19gebsrmvn_2xn_kernelILj128ELj5ELj4E21rocsparse_complex_numIdEEEvi20rocsparse_direction_NS_24const_host_device_scalarIT2_EEPKiS8_PKS5_SA_S6_PS5_21rocsparse_index_base_b
		.amdhsa_group_segment_fixed_size 0
		.amdhsa_private_segment_fixed_size 0
		.amdhsa_kernarg_size 88
		.amdhsa_user_sgpr_count 6
		.amdhsa_user_sgpr_private_segment_buffer 1
		.amdhsa_user_sgpr_dispatch_ptr 0
		.amdhsa_user_sgpr_queue_ptr 0
		.amdhsa_user_sgpr_kernarg_segment_ptr 1
		.amdhsa_user_sgpr_dispatch_id 0
		.amdhsa_user_sgpr_flat_scratch_init 0
		.amdhsa_user_sgpr_private_segment_size 0
		.amdhsa_wavefront_size32 1
		.amdhsa_uses_dynamic_stack 0
		.amdhsa_system_sgpr_private_segment_wavefront_offset 0
		.amdhsa_system_sgpr_workgroup_id_x 1
		.amdhsa_system_sgpr_workgroup_id_y 0
		.amdhsa_system_sgpr_workgroup_id_z 0
		.amdhsa_system_sgpr_workgroup_info 0
		.amdhsa_system_vgpr_workitem_id 0
		.amdhsa_next_free_vgpr 86
		.amdhsa_next_free_sgpr 16
		.amdhsa_reserve_vcc 1
		.amdhsa_reserve_flat_scratch 0
		.amdhsa_float_round_mode_32 0
		.amdhsa_float_round_mode_16_64 0
		.amdhsa_float_denorm_mode_32 3
		.amdhsa_float_denorm_mode_16_64 3
		.amdhsa_dx10_clamp 1
		.amdhsa_ieee_mode 1
		.amdhsa_fp16_overflow 0
		.amdhsa_workgroup_processor_mode 1
		.amdhsa_memory_ordered 1
		.amdhsa_forward_progress 1
		.amdhsa_shared_vgpr_count 0
		.amdhsa_exception_fp_ieee_invalid_op 0
		.amdhsa_exception_fp_denorm_src 0
		.amdhsa_exception_fp_ieee_div_zero 0
		.amdhsa_exception_fp_ieee_overflow 0
		.amdhsa_exception_fp_ieee_underflow 0
		.amdhsa_exception_fp_ieee_inexact 0
		.amdhsa_exception_int_div_zero 0
	.end_amdhsa_kernel
	.section	.text._ZN9rocsparseL19gebsrmvn_2xn_kernelILj128ELj5ELj4E21rocsparse_complex_numIdEEEvi20rocsparse_direction_NS_24const_host_device_scalarIT2_EEPKiS8_PKS5_SA_S6_PS5_21rocsparse_index_base_b,"axG",@progbits,_ZN9rocsparseL19gebsrmvn_2xn_kernelILj128ELj5ELj4E21rocsparse_complex_numIdEEEvi20rocsparse_direction_NS_24const_host_device_scalarIT2_EEPKiS8_PKS5_SA_S6_PS5_21rocsparse_index_base_b,comdat
.Lfunc_end243:
	.size	_ZN9rocsparseL19gebsrmvn_2xn_kernelILj128ELj5ELj4E21rocsparse_complex_numIdEEEvi20rocsparse_direction_NS_24const_host_device_scalarIT2_EEPKiS8_PKS5_SA_S6_PS5_21rocsparse_index_base_b, .Lfunc_end243-_ZN9rocsparseL19gebsrmvn_2xn_kernelILj128ELj5ELj4E21rocsparse_complex_numIdEEEvi20rocsparse_direction_NS_24const_host_device_scalarIT2_EEPKiS8_PKS5_SA_S6_PS5_21rocsparse_index_base_b
                                        ; -- End function
	.set _ZN9rocsparseL19gebsrmvn_2xn_kernelILj128ELj5ELj4E21rocsparse_complex_numIdEEEvi20rocsparse_direction_NS_24const_host_device_scalarIT2_EEPKiS8_PKS5_SA_S6_PS5_21rocsparse_index_base_b.num_vgpr, 86
	.set _ZN9rocsparseL19gebsrmvn_2xn_kernelILj128ELj5ELj4E21rocsparse_complex_numIdEEEvi20rocsparse_direction_NS_24const_host_device_scalarIT2_EEPKiS8_PKS5_SA_S6_PS5_21rocsparse_index_base_b.num_agpr, 0
	.set _ZN9rocsparseL19gebsrmvn_2xn_kernelILj128ELj5ELj4E21rocsparse_complex_numIdEEEvi20rocsparse_direction_NS_24const_host_device_scalarIT2_EEPKiS8_PKS5_SA_S6_PS5_21rocsparse_index_base_b.numbered_sgpr, 16
	.set _ZN9rocsparseL19gebsrmvn_2xn_kernelILj128ELj5ELj4E21rocsparse_complex_numIdEEEvi20rocsparse_direction_NS_24const_host_device_scalarIT2_EEPKiS8_PKS5_SA_S6_PS5_21rocsparse_index_base_b.num_named_barrier, 0
	.set _ZN9rocsparseL19gebsrmvn_2xn_kernelILj128ELj5ELj4E21rocsparse_complex_numIdEEEvi20rocsparse_direction_NS_24const_host_device_scalarIT2_EEPKiS8_PKS5_SA_S6_PS5_21rocsparse_index_base_b.private_seg_size, 0
	.set _ZN9rocsparseL19gebsrmvn_2xn_kernelILj128ELj5ELj4E21rocsparse_complex_numIdEEEvi20rocsparse_direction_NS_24const_host_device_scalarIT2_EEPKiS8_PKS5_SA_S6_PS5_21rocsparse_index_base_b.uses_vcc, 1
	.set _ZN9rocsparseL19gebsrmvn_2xn_kernelILj128ELj5ELj4E21rocsparse_complex_numIdEEEvi20rocsparse_direction_NS_24const_host_device_scalarIT2_EEPKiS8_PKS5_SA_S6_PS5_21rocsparse_index_base_b.uses_flat_scratch, 0
	.set _ZN9rocsparseL19gebsrmvn_2xn_kernelILj128ELj5ELj4E21rocsparse_complex_numIdEEEvi20rocsparse_direction_NS_24const_host_device_scalarIT2_EEPKiS8_PKS5_SA_S6_PS5_21rocsparse_index_base_b.has_dyn_sized_stack, 0
	.set _ZN9rocsparseL19gebsrmvn_2xn_kernelILj128ELj5ELj4E21rocsparse_complex_numIdEEEvi20rocsparse_direction_NS_24const_host_device_scalarIT2_EEPKiS8_PKS5_SA_S6_PS5_21rocsparse_index_base_b.has_recursion, 0
	.set _ZN9rocsparseL19gebsrmvn_2xn_kernelILj128ELj5ELj4E21rocsparse_complex_numIdEEEvi20rocsparse_direction_NS_24const_host_device_scalarIT2_EEPKiS8_PKS5_SA_S6_PS5_21rocsparse_index_base_b.has_indirect_call, 0
	.section	.AMDGPU.csdata,"",@progbits
; Kernel info:
; codeLenInByte = 2920
; TotalNumSgprs: 18
; NumVgprs: 86
; ScratchSize: 0
; MemoryBound: 0
; FloatMode: 240
; IeeeMode: 1
; LDSByteSize: 0 bytes/workgroup (compile time only)
; SGPRBlocks: 0
; VGPRBlocks: 10
; NumSGPRsForWavesPerEU: 18
; NumVGPRsForWavesPerEU: 86
; Occupancy: 10
; WaveLimiterHint : 1
; COMPUTE_PGM_RSRC2:SCRATCH_EN: 0
; COMPUTE_PGM_RSRC2:USER_SGPR: 6
; COMPUTE_PGM_RSRC2:TRAP_HANDLER: 0
; COMPUTE_PGM_RSRC2:TGID_X_EN: 1
; COMPUTE_PGM_RSRC2:TGID_Y_EN: 0
; COMPUTE_PGM_RSRC2:TGID_Z_EN: 0
; COMPUTE_PGM_RSRC2:TIDIG_COMP_CNT: 0
	.section	.text._ZN9rocsparseL19gebsrmvn_2xn_kernelILj128ELj5ELj8E21rocsparse_complex_numIdEEEvi20rocsparse_direction_NS_24const_host_device_scalarIT2_EEPKiS8_PKS5_SA_S6_PS5_21rocsparse_index_base_b,"axG",@progbits,_ZN9rocsparseL19gebsrmvn_2xn_kernelILj128ELj5ELj8E21rocsparse_complex_numIdEEEvi20rocsparse_direction_NS_24const_host_device_scalarIT2_EEPKiS8_PKS5_SA_S6_PS5_21rocsparse_index_base_b,comdat
	.globl	_ZN9rocsparseL19gebsrmvn_2xn_kernelILj128ELj5ELj8E21rocsparse_complex_numIdEEEvi20rocsparse_direction_NS_24const_host_device_scalarIT2_EEPKiS8_PKS5_SA_S6_PS5_21rocsparse_index_base_b ; -- Begin function _ZN9rocsparseL19gebsrmvn_2xn_kernelILj128ELj5ELj8E21rocsparse_complex_numIdEEEvi20rocsparse_direction_NS_24const_host_device_scalarIT2_EEPKiS8_PKS5_SA_S6_PS5_21rocsparse_index_base_b
	.p2align	8
	.type	_ZN9rocsparseL19gebsrmvn_2xn_kernelILj128ELj5ELj8E21rocsparse_complex_numIdEEEvi20rocsparse_direction_NS_24const_host_device_scalarIT2_EEPKiS8_PKS5_SA_S6_PS5_21rocsparse_index_base_b,@function
_ZN9rocsparseL19gebsrmvn_2xn_kernelILj128ELj5ELj8E21rocsparse_complex_numIdEEEvi20rocsparse_direction_NS_24const_host_device_scalarIT2_EEPKiS8_PKS5_SA_S6_PS5_21rocsparse_index_base_b: ; @_ZN9rocsparseL19gebsrmvn_2xn_kernelILj128ELj5ELj8E21rocsparse_complex_numIdEEEvi20rocsparse_direction_NS_24const_host_device_scalarIT2_EEPKiS8_PKS5_SA_S6_PS5_21rocsparse_index_base_b
; %bb.0:
	s_clause 0x1
	s_load_dwordx2 s[2:3], s[4:5], 0x50
	s_load_dwordx2 s[0:1], s[4:5], 0x8
	s_add_u32 s7, s4, 8
	s_addc_u32 s10, s5, 0
	s_add_u32 s11, s4, 56
	s_addc_u32 s12, s5, 0
	s_load_dwordx2 s[8:9], s[4:5], 0x38
	s_waitcnt lgkmcnt(0)
	s_bitcmp1_b32 s3, 0
	s_cselect_b32 s0, s7, s0
	s_cselect_b32 s1, s10, s1
	v_mov_b32_e32 v1, s0
	v_mov_b32_e32 v2, s1
	s_cselect_b32 s0, s11, s8
	s_cselect_b32 s1, s12, s9
	v_mov_b32_e32 v5, s0
	v_mov_b32_e32 v6, s1
	flat_load_dwordx4 v[1:4], v[1:2]
	flat_load_dwordx4 v[5:8], v[5:6]
	s_waitcnt vmcnt(1) lgkmcnt(1)
	v_cmp_eq_f64_e32 vcc_lo, 0, v[1:2]
	v_cmp_eq_f64_e64 s0, 0, v[3:4]
	s_and_b32 s3, vcc_lo, s0
	s_mov_b32 s0, -1
	s_and_saveexec_b32 s1, s3
	s_cbranch_execz .LBB244_2
; %bb.1:
	s_waitcnt vmcnt(0) lgkmcnt(0)
	v_cmp_neq_f64_e32 vcc_lo, 1.0, v[5:6]
	v_cmp_neq_f64_e64 s0, 0, v[7:8]
	s_or_b32 s0, vcc_lo, s0
	s_orn2_b32 s0, s0, exec_lo
.LBB244_2:
	s_or_b32 exec_lo, exec_lo, s1
	s_and_saveexec_b32 s1, s0
	s_cbranch_execz .LBB244_21
; %bb.3:
	s_load_dwordx2 s[0:1], s[4:5], 0x0
	v_lshrrev_b32_e32 v9, 3, v0
	v_lshl_or_b32 v9, s6, 4, v9
	s_waitcnt lgkmcnt(0)
	v_cmp_gt_i32_e32 vcc_lo, s0, v9
	s_and_b32 exec_lo, exec_lo, vcc_lo
	s_cbranch_execz .LBB244_21
; %bb.4:
	s_load_dwordx8 s[8:15], s[4:5], 0x18
	v_ashrrev_i32_e32 v10, 31, v9
	v_and_b32_e32 v0, 7, v0
	s_cmp_lg_u32 s1, 0
	v_lshlrev_b64 v[10:11], 2, v[9:10]
	s_waitcnt lgkmcnt(0)
	v_add_co_u32 v10, vcc_lo, s8, v10
	v_add_co_ci_u32_e64 v11, null, s9, v11, vcc_lo
	global_load_dwordx2 v[10:11], v[10:11], off
	s_waitcnt vmcnt(0)
	v_subrev_nc_u32_e32 v10, s2, v10
	v_subrev_nc_u32_e32 v25, s2, v11
	v_add_nc_u32_e32 v10, v10, v0
	v_cmp_lt_i32_e64 s0, v10, v25
	s_cbranch_scc0 .LBB244_10
; %bb.5:
	v_mov_b32_e32 v12, 0
	v_mov_b32_e32 v14, 0
	;; [unrolled: 1-line block ×8, first 2 shown]
	s_and_saveexec_b32 s1, s0
	s_cbranch_execz .LBB244_9
; %bb.6:
	v_mad_u64_u32 v[20:21], null, v10, 10, 8
	v_mov_b32_e32 v12, 0
	v_mov_b32_e32 v14, 0
	;; [unrolled: 1-line block ×10, first 2 shown]
	s_mov_b32 s3, 0
.LBB244_7:                              ; =>This Inner Loop Header: Depth=1
	v_ashrrev_i32_e32 v24, 31, v23
	v_add_nc_u32_e32 v21, -8, v20
	v_mov_b32_e32 v79, v22
	v_lshlrev_b64 v[26:27], 2, v[23:24]
	v_add_nc_u32_e32 v23, 8, v23
	v_add_co_u32 v26, vcc_lo, s10, v26
	v_add_co_ci_u32_e64 v27, null, s11, v27, vcc_lo
	global_load_dword v11, v[26:27], off
	v_lshlrev_b64 v[26:27], 4, v[21:22]
	v_add_nc_u32_e32 v21, -6, v20
	v_lshlrev_b64 v[38:39], 4, v[21:22]
	v_add_co_u32 v30, vcc_lo, s12, v26
	v_add_co_ci_u32_e64 v31, null, s13, v27, vcc_lo
	global_load_dwordx4 v[26:29], v[30:31], off offset:16
	s_waitcnt vmcnt(1)
	v_subrev_nc_u32_e32 v11, s2, v11
	v_lshl_add_u32 v78, v11, 2, v11
	v_lshlrev_b64 v[32:33], 4, v[78:79]
	v_add_nc_u32_e32 v21, 1, v78
	v_lshlrev_b64 v[44:45], 4, v[21:22]
	v_add_co_u32 v34, vcc_lo, s14, v32
	v_add_co_ci_u32_e64 v35, null, s15, v33, vcc_lo
	v_add_co_u32 v42, vcc_lo, s12, v38
	global_load_dwordx4 v[30:33], v[30:31], off
	global_load_dwordx4 v[34:37], v[34:35], off
	v_add_co_ci_u32_e64 v43, null, s13, v39, vcc_lo
	v_add_co_u32 v46, vcc_lo, s14, v44
	v_add_co_ci_u32_e64 v47, null, s15, v45, vcc_lo
	s_clause 0x1
	global_load_dwordx4 v[38:41], v[42:43], off offset:16
	global_load_dwordx4 v[42:45], v[42:43], off
	global_load_dwordx4 v[46:49], v[46:47], off
	v_add_nc_u32_e32 v21, -4, v20
	v_lshlrev_b64 v[50:51], 4, v[21:22]
	v_add_nc_u32_e32 v21, 2, v78
	v_lshlrev_b64 v[52:53], 4, v[21:22]
	v_add_co_u32 v54, vcc_lo, s12, v50
	v_add_co_ci_u32_e64 v55, null, s13, v51, vcc_lo
	v_add_nc_u32_e32 v21, -2, v20
	v_add_co_u32 v58, vcc_lo, s14, v52
	v_add_co_ci_u32_e64 v59, null, s15, v53, vcc_lo
	s_clause 0x1
	global_load_dwordx4 v[50:53], v[54:55], off offset:16
	global_load_dwordx4 v[54:57], v[54:55], off
	global_load_dwordx4 v[58:61], v[58:59], off
	v_lshlrev_b64 v[62:63], 4, v[21:22]
	v_add_nc_u32_e32 v21, 3, v78
	v_lshlrev_b64 v[64:65], 4, v[21:22]
	v_add_co_u32 v66, vcc_lo, s12, v62
	v_add_co_ci_u32_e64 v67, null, s13, v63, vcc_lo
	v_mov_b32_e32 v21, v22
	v_add_co_u32 v70, vcc_lo, s14, v64
	v_add_co_ci_u32_e64 v71, null, s15, v65, vcc_lo
	s_clause 0x1
	global_load_dwordx4 v[62:65], v[66:67], off offset:16
	global_load_dwordx4 v[66:69], v[66:67], off
	global_load_dwordx4 v[70:73], v[70:71], off
	v_lshlrev_b64 v[74:75], 4, v[20:21]
	v_add_nc_u32_e32 v21, 4, v78
	v_add_nc_u32_e32 v20, 0x50, v20
	v_lshlrev_b64 v[81:82], 4, v[21:22]
	v_add_co_u32 v79, vcc_lo, s12, v74
	v_add_co_ci_u32_e64 v80, null, s13, v75, vcc_lo
	v_add_co_u32 v83, vcc_lo, s14, v81
	v_add_co_ci_u32_e64 v84, null, s15, v82, vcc_lo
	s_clause 0x1
	global_load_dwordx4 v[74:77], v[79:80], off offset:16
	global_load_dwordx4 v[78:81], v[79:80], off
	global_load_dwordx4 v[82:85], v[83:84], off
	v_cmp_ge_i32_e32 vcc_lo, v23, v25
	s_or_b32 s3, vcc_lo, s3
	s_waitcnt vmcnt(12)
	v_fma_f64 v[14:15], v[30:31], v[34:35], v[14:15]
	v_fma_f64 v[11:12], v[32:33], v[34:35], v[12:13]
	v_fma_f64 v[16:17], v[26:27], v[34:35], v[16:17]
	v_fma_f64 v[18:19], v[28:29], v[34:35], v[18:19]
	v_fma_f64 v[13:14], -v[32:33], v[36:37], v[14:15]
	v_fma_f64 v[11:12], v[30:31], v[36:37], v[11:12]
	v_fma_f64 v[15:16], -v[28:29], v[36:37], v[16:17]
	v_fma_f64 v[17:18], v[26:27], v[36:37], v[18:19]
	s_waitcnt vmcnt(9)
	v_fma_f64 v[13:14], v[42:43], v[46:47], v[13:14]
	v_fma_f64 v[11:12], v[44:45], v[46:47], v[11:12]
	v_fma_f64 v[15:16], v[38:39], v[46:47], v[15:16]
	v_fma_f64 v[17:18], v[40:41], v[46:47], v[17:18]
	v_fma_f64 v[13:14], -v[44:45], v[48:49], v[13:14]
	v_fma_f64 v[11:12], v[42:43], v[48:49], v[11:12]
	v_fma_f64 v[15:16], -v[40:41], v[48:49], v[15:16]
	v_fma_f64 v[17:18], v[38:39], v[48:49], v[17:18]
	s_waitcnt vmcnt(6)
	v_fma_f64 v[13:14], v[54:55], v[58:59], v[13:14]
	v_fma_f64 v[11:12], v[56:57], v[58:59], v[11:12]
	v_fma_f64 v[15:16], v[50:51], v[58:59], v[15:16]
	v_fma_f64 v[17:18], v[52:53], v[58:59], v[17:18]
	v_fma_f64 v[13:14], -v[56:57], v[60:61], v[13:14]
	v_fma_f64 v[11:12], v[54:55], v[60:61], v[11:12]
	v_fma_f64 v[15:16], -v[52:53], v[60:61], v[15:16]
	v_fma_f64 v[17:18], v[50:51], v[60:61], v[17:18]
	s_waitcnt vmcnt(3)
	v_fma_f64 v[13:14], v[66:67], v[70:71], v[13:14]
	v_fma_f64 v[11:12], v[68:69], v[70:71], v[11:12]
	v_fma_f64 v[15:16], v[62:63], v[70:71], v[15:16]
	v_fma_f64 v[17:18], v[64:65], v[70:71], v[17:18]
	v_fma_f64 v[13:14], -v[68:69], v[72:73], v[13:14]
	v_fma_f64 v[11:12], v[66:67], v[72:73], v[11:12]
	v_fma_f64 v[15:16], -v[64:65], v[72:73], v[15:16]
	v_fma_f64 v[17:18], v[62:63], v[72:73], v[17:18]
	s_waitcnt vmcnt(0)
	v_fma_f64 v[13:14], v[78:79], v[82:83], v[13:14]
	v_fma_f64 v[11:12], v[80:81], v[82:83], v[11:12]
	v_fma_f64 v[26:27], v[74:75], v[82:83], v[15:16]
	v_fma_f64 v[18:19], v[76:77], v[82:83], v[17:18]
	v_fma_f64 v[14:15], -v[80:81], v[84:85], v[13:14]
	v_fma_f64 v[12:13], v[78:79], v[84:85], v[11:12]
	v_fma_f64 v[16:17], -v[76:77], v[84:85], v[26:27]
	v_fma_f64 v[18:19], v[74:75], v[84:85], v[18:19]
	s_andn2_b32 exec_lo, exec_lo, s3
	s_cbranch_execnz .LBB244_7
; %bb.8:
	s_or_b32 exec_lo, exec_lo, s3
.LBB244_9:
	s_or_b32 exec_lo, exec_lo, s1
	s_cbranch_execz .LBB244_11
	s_branch .LBB244_16
.LBB244_10:
                                        ; implicit-def: $vgpr12_vgpr13
                                        ; implicit-def: $vgpr14_vgpr15
                                        ; implicit-def: $vgpr16_vgpr17
                                        ; implicit-def: $vgpr18_vgpr19
.LBB244_11:
	v_mov_b32_e32 v12, 0
	v_mov_b32_e32 v14, 0
	v_mov_b32_e32 v16, 0
	v_mov_b32_e32 v18, 0
	v_mov_b32_e32 v13, 0
	v_mov_b32_e32 v15, 0
	v_mov_b32_e32 v17, 0
	v_mov_b32_e32 v19, 0
	s_and_saveexec_b32 s1, s0
	s_cbranch_execz .LBB244_15
; %bb.12:
	v_mad_u64_u32 v[20:21], null, v10, 10, 9
	v_mov_b32_e32 v12, 0
	v_mov_b32_e32 v14, 0
	;; [unrolled: 1-line block ×9, first 2 shown]
	s_mov_b32 s0, 0
.LBB244_13:                             ; =>This Inner Loop Header: Depth=1
	v_ashrrev_i32_e32 v11, 31, v10
	v_add_nc_u32_e32 v21, -9, v20
	v_mov_b32_e32 v79, v22
	v_lshlrev_b64 v[23:24], 2, v[10:11]
	v_lshlrev_b64 v[26:27], 4, v[21:22]
	v_add_nc_u32_e32 v10, 8, v10
	v_add_co_u32 v23, vcc_lo, s10, v23
	v_add_co_ci_u32_e64 v24, null, s11, v24, vcc_lo
	v_add_co_u32 v30, vcc_lo, s12, v26
	v_add_co_ci_u32_e64 v31, null, s13, v27, vcc_lo
	global_load_dword v11, v[23:24], off
	v_add_nc_u32_e32 v23, -4, v20
	v_mov_b32_e32 v24, v22
	s_clause 0x1
	global_load_dwordx4 v[26:29], v[30:31], off offset:16
	global_load_dwordx4 v[30:33], v[30:31], off
	v_lshlrev_b64 v[23:24], 4, v[23:24]
	v_add_co_u32 v23, vcc_lo, s12, v23
	v_add_co_ci_u32_e64 v24, null, s13, v24, vcc_lo
	s_waitcnt vmcnt(2)
	v_subrev_nc_u32_e32 v11, s2, v11
	v_lshl_add_u32 v78, v11, 2, v11
	v_lshlrev_b64 v[34:35], 4, v[78:79]
	v_add_nc_u32_e32 v21, 1, v78
	v_add_co_u32 v38, vcc_lo, s14, v34
	v_add_co_ci_u32_e64 v39, null, s15, v35, vcc_lo
	global_load_dwordx4 v[34:37], v[23:24], off
	global_load_dwordx4 v[38:41], v[38:39], off
	v_lshlrev_b64 v[23:24], 4, v[21:22]
	v_add_nc_u32_e32 v21, -3, v20
	v_lshlrev_b64 v[42:43], 4, v[21:22]
	v_add_co_u32 v23, vcc_lo, s14, v23
	v_add_co_ci_u32_e64 v24, null, s15, v24, vcc_lo
	v_add_nc_u32_e32 v21, -7, v20
	v_add_co_u32 v46, vcc_lo, s12, v42
	v_add_co_ci_u32_e64 v47, null, s13, v43, vcc_lo
	global_load_dwordx4 v[42:45], v[23:24], off
	global_load_dwordx4 v[46:49], v[46:47], off
	v_lshlrev_b64 v[23:24], 4, v[21:22]
	v_add_nc_u32_e32 v21, 2, v78
	v_lshlrev_b64 v[50:51], 4, v[21:22]
	v_add_nc_u32_e32 v21, -2, v20
	v_add_co_u32 v23, vcc_lo, s12, v23
	v_add_co_ci_u32_e64 v24, null, s13, v24, vcc_lo
	v_lshlrev_b64 v[52:53], 4, v[21:22]
	v_add_co_u32 v54, vcc_lo, s14, v50
	v_add_co_ci_u32_e64 v55, null, s15, v51, vcc_lo
	v_add_nc_u32_e32 v21, -6, v20
	v_add_co_u32 v58, vcc_lo, s12, v52
	v_add_co_ci_u32_e64 v59, null, s13, v53, vcc_lo
	global_load_dwordx4 v[50:53], v[23:24], off
	global_load_dwordx4 v[54:57], v[54:55], off
	;; [unrolled: 1-line block ×3, first 2 shown]
	v_lshlrev_b64 v[23:24], 4, v[21:22]
	v_add_nc_u32_e32 v21, 3, v78
	v_lshlrev_b64 v[62:63], 4, v[21:22]
	v_add_nc_u32_e32 v21, -1, v20
	v_add_co_u32 v23, vcc_lo, s12, v23
	v_add_co_ci_u32_e64 v24, null, s13, v24, vcc_lo
	v_lshlrev_b64 v[66:67], 4, v[21:22]
	v_add_co_u32 v68, vcc_lo, s14, v62
	v_add_co_ci_u32_e64 v69, null, s15, v63, vcc_lo
	global_load_dwordx4 v[62:65], v[23:24], off
	v_add_co_u32 v23, vcc_lo, s12, v66
	v_add_co_ci_u32_e64 v24, null, s13, v67, vcc_lo
	global_load_dwordx4 v[66:69], v[68:69], off
	global_load_dwordx4 v[70:73], v[23:24], off
	v_mov_b32_e32 v21, v22
	v_lshlrev_b64 v[23:24], 4, v[20:21]
	v_add_nc_u32_e32 v21, -5, v20
	v_add_nc_u32_e32 v20, 0x50, v20
	v_add_co_u32 v23, vcc_lo, s12, v23
	v_add_co_ci_u32_e64 v24, null, s13, v24, vcc_lo
	global_load_dwordx4 v[74:77], v[23:24], off
	v_lshlrev_b64 v[23:24], 4, v[21:22]
	v_add_nc_u32_e32 v21, 4, v78
	v_lshlrev_b64 v[78:79], 4, v[21:22]
	v_add_co_u32 v23, vcc_lo, s12, v23
	v_add_co_ci_u32_e64 v24, null, s13, v24, vcc_lo
	v_add_co_u32 v82, vcc_lo, s14, v78
	v_add_co_ci_u32_e64 v83, null, s15, v79, vcc_lo
	global_load_dwordx4 v[78:81], v[23:24], off
	global_load_dwordx4 v[82:85], v[82:83], off
	v_cmp_ge_i32_e32 vcc_lo, v10, v25
	s_or_b32 s0, vcc_lo, s0
	s_waitcnt vmcnt(11)
	v_fma_f64 v[14:15], v[30:31], v[38:39], v[14:15]
	v_fma_f64 v[11:12], v[32:33], v[38:39], v[12:13]
	;; [unrolled: 1-line block ×4, first 2 shown]
	v_fma_f64 v[13:14], -v[32:33], v[40:41], v[14:15]
	v_fma_f64 v[11:12], v[30:31], v[40:41], v[11:12]
	v_fma_f64 v[15:16], -v[36:37], v[40:41], v[16:17]
	v_fma_f64 v[17:18], v[34:35], v[40:41], v[18:19]
	s_waitcnt vmcnt(10)
	v_fma_f64 v[13:14], v[26:27], v[42:43], v[13:14]
	v_fma_f64 v[11:12], v[28:29], v[42:43], v[11:12]
	s_waitcnt vmcnt(9)
	v_fma_f64 v[15:16], v[46:47], v[42:43], v[15:16]
	v_fma_f64 v[17:18], v[48:49], v[42:43], v[17:18]
	v_fma_f64 v[13:14], -v[28:29], v[44:45], v[13:14]
	v_fma_f64 v[11:12], v[26:27], v[44:45], v[11:12]
	v_fma_f64 v[15:16], -v[48:49], v[44:45], v[15:16]
	v_fma_f64 v[17:18], v[46:47], v[44:45], v[17:18]
	s_waitcnt vmcnt(7)
	v_fma_f64 v[13:14], v[50:51], v[54:55], v[13:14]
	v_fma_f64 v[11:12], v[52:53], v[54:55], v[11:12]
	s_waitcnt vmcnt(6)
	v_fma_f64 v[15:16], v[58:59], v[54:55], v[15:16]
	v_fma_f64 v[17:18], v[60:61], v[54:55], v[17:18]
	;; [unrolled: 10-line block ×3, first 2 shown]
	v_fma_f64 v[13:14], -v[64:65], v[68:69], v[13:14]
	v_fma_f64 v[11:12], v[62:63], v[68:69], v[11:12]
	v_fma_f64 v[15:16], -v[72:73], v[68:69], v[15:16]
	v_fma_f64 v[17:18], v[70:71], v[68:69], v[17:18]
	s_waitcnt vmcnt(0)
	v_fma_f64 v[13:14], v[78:79], v[82:83], v[13:14]
	v_fma_f64 v[11:12], v[80:81], v[82:83], v[11:12]
	;; [unrolled: 1-line block ×4, first 2 shown]
	v_fma_f64 v[14:15], -v[80:81], v[84:85], v[13:14]
	v_fma_f64 v[12:13], v[78:79], v[84:85], v[11:12]
	v_fma_f64 v[16:17], -v[76:77], v[84:85], v[23:24]
	v_fma_f64 v[18:19], v[74:75], v[84:85], v[18:19]
	s_andn2_b32 exec_lo, exec_lo, s0
	s_cbranch_execnz .LBB244_13
; %bb.14:
	s_or_b32 exec_lo, exec_lo, s0
.LBB244_15:
	s_or_b32 exec_lo, exec_lo, s1
.LBB244_16:
	v_mbcnt_lo_u32_b32 v26, -1, 0
	v_xor_b32_e32 v10, 4, v26
	v_cmp_gt_i32_e32 vcc_lo, 32, v10
	v_cndmask_b32_e32 v10, v26, v10, vcc_lo
	v_lshlrev_b32_e32 v25, 2, v10
	ds_bpermute_b32 v10, v25, v14
	ds_bpermute_b32 v11, v25, v15
	;; [unrolled: 1-line block ×8, first 2 shown]
	s_waitcnt lgkmcnt(6)
	v_add_f64 v[10:11], v[14:15], v[10:11]
	s_waitcnt lgkmcnt(4)
	v_add_f64 v[12:13], v[12:13], v[20:21]
	;; [unrolled: 2-line block ×3, first 2 shown]
	v_xor_b32_e32 v16, 2, v26
	s_waitcnt lgkmcnt(0)
	v_add_f64 v[18:19], v[18:19], v[24:25]
	v_cmp_gt_i32_e32 vcc_lo, 32, v16
	v_cndmask_b32_e32 v16, v26, v16, vcc_lo
	v_lshlrev_b32_e32 v25, 2, v16
	ds_bpermute_b32 v16, v25, v10
	ds_bpermute_b32 v17, v25, v11
	;; [unrolled: 1-line block ×8, first 2 shown]
	s_waitcnt lgkmcnt(6)
	v_add_f64 v[10:11], v[10:11], v[16:17]
	s_waitcnt lgkmcnt(4)
	v_add_f64 v[16:17], v[12:13], v[20:21]
	;; [unrolled: 2-line block ×4, first 2 shown]
	v_xor_b32_e32 v18, 1, v26
	v_cmp_gt_i32_e32 vcc_lo, 32, v18
	v_cndmask_b32_e32 v18, v26, v18, vcc_lo
	v_cmp_eq_u32_e32 vcc_lo, 7, v0
	v_lshlrev_b32_e32 v21, 2, v18
	ds_bpermute_b32 v24, v21, v10
	ds_bpermute_b32 v25, v21, v11
	;; [unrolled: 1-line block ×8, first 2 shown]
	s_and_b32 exec_lo, exec_lo, vcc_lo
	s_cbranch_execz .LBB244_21
; %bb.17:
	v_cmp_eq_f64_e32 vcc_lo, 0, v[5:6]
	v_cmp_eq_f64_e64 s0, 0, v[7:8]
	s_waitcnt lgkmcnt(6)
	v_add_f64 v[10:11], v[10:11], v[24:25]
	s_waitcnt lgkmcnt(4)
	v_add_f64 v[16:17], v[16:17], v[22:23]
	;; [unrolled: 2-line block ×4, first 2 shown]
	s_load_dwordx2 s[2:3], s[4:5], 0x48
	s_and_b32 s0, vcc_lo, s0
	s_and_saveexec_b32 s1, s0
	s_xor_b32 s0, exec_lo, s1
	s_cbranch_execz .LBB244_19
; %bb.18:
	v_mul_f64 v[5:6], v[16:17], -v[3:4]
	v_mul_f64 v[7:8], v[1:2], v[16:17]
	v_mul_f64 v[16:17], v[14:15], -v[3:4]
	v_mul_f64 v[14:15], v[1:2], v[14:15]
	v_lshlrev_b32_e32 v9, 1, v9
	v_fma_f64 v[5:6], v[1:2], v[10:11], v[5:6]
	v_fma_f64 v[7:8], v[3:4], v[10:11], v[7:8]
	;; [unrolled: 1-line block ×4, first 2 shown]
	v_ashrrev_i32_e32 v10, 31, v9
                                        ; implicit-def: $vgpr16_vgpr17
                                        ; implicit-def: $vgpr12_vgpr13
                                        ; implicit-def: $vgpr14_vgpr15
	v_lshlrev_b64 v[9:10], 4, v[9:10]
	s_waitcnt lgkmcnt(0)
	v_add_co_u32 v9, vcc_lo, s2, v9
	v_add_co_ci_u32_e64 v10, null, s3, v10, vcc_lo
	global_store_dwordx4 v[9:10], v[5:8], off
	global_store_dwordx4 v[9:10], v[0:3], off offset:16
                                        ; implicit-def: $vgpr9
                                        ; implicit-def: $vgpr10_vgpr11
                                        ; implicit-def: $vgpr7_vgpr8
                                        ; implicit-def: $vgpr3_vgpr4
.LBB244_19:
	s_andn2_saveexec_b32 s0, s0
	s_cbranch_execz .LBB244_21
; %bb.20:
	v_lshlrev_b32_e32 v18, 1, v9
	v_mul_f64 v[28:29], v[16:17], -v[3:4]
	v_mul_f64 v[16:17], v[1:2], v[16:17]
	v_mul_f64 v[30:31], v[14:15], -v[3:4]
	v_mul_f64 v[14:15], v[1:2], v[14:15]
	v_ashrrev_i32_e32 v19, 31, v18
	v_lshlrev_b64 v[18:19], 4, v[18:19]
	s_waitcnt lgkmcnt(0)
	v_add_co_u32 v26, vcc_lo, s2, v18
	v_add_co_ci_u32_e64 v27, null, s3, v19, vcc_lo
	s_clause 0x1
	global_load_dwordx4 v[18:21], v[26:27], off
	global_load_dwordx4 v[22:25], v[26:27], off offset:16
	v_fma_f64 v[28:29], v[1:2], v[10:11], v[28:29]
	v_fma_f64 v[9:10], v[3:4], v[10:11], v[16:17]
	;; [unrolled: 1-line block ×4, first 2 shown]
	s_waitcnt vmcnt(1)
	v_fma_f64 v[11:12], v[5:6], v[18:19], v[28:29]
	v_fma_f64 v[9:10], v[7:8], v[18:19], v[9:10]
	s_waitcnt vmcnt(0)
	v_fma_f64 v[13:14], v[5:6], v[22:23], v[0:1]
	v_fma_f64 v[15:16], v[7:8], v[22:23], v[2:3]
	v_fma_f64 v[0:1], -v[7:8], v[20:21], v[11:12]
	v_fma_f64 v[2:3], v[5:6], v[20:21], v[9:10]
	v_fma_f64 v[7:8], -v[7:8], v[24:25], v[13:14]
	v_fma_f64 v[9:10], v[5:6], v[24:25], v[15:16]
	global_store_dwordx4 v[26:27], v[0:3], off
	global_store_dwordx4 v[26:27], v[7:10], off offset:16
.LBB244_21:
	s_endpgm
	.section	.rodata,"a",@progbits
	.p2align	6, 0x0
	.amdhsa_kernel _ZN9rocsparseL19gebsrmvn_2xn_kernelILj128ELj5ELj8E21rocsparse_complex_numIdEEEvi20rocsparse_direction_NS_24const_host_device_scalarIT2_EEPKiS8_PKS5_SA_S6_PS5_21rocsparse_index_base_b
		.amdhsa_group_segment_fixed_size 0
		.amdhsa_private_segment_fixed_size 0
		.amdhsa_kernarg_size 88
		.amdhsa_user_sgpr_count 6
		.amdhsa_user_sgpr_private_segment_buffer 1
		.amdhsa_user_sgpr_dispatch_ptr 0
		.amdhsa_user_sgpr_queue_ptr 0
		.amdhsa_user_sgpr_kernarg_segment_ptr 1
		.amdhsa_user_sgpr_dispatch_id 0
		.amdhsa_user_sgpr_flat_scratch_init 0
		.amdhsa_user_sgpr_private_segment_size 0
		.amdhsa_wavefront_size32 1
		.amdhsa_uses_dynamic_stack 0
		.amdhsa_system_sgpr_private_segment_wavefront_offset 0
		.amdhsa_system_sgpr_workgroup_id_x 1
		.amdhsa_system_sgpr_workgroup_id_y 0
		.amdhsa_system_sgpr_workgroup_id_z 0
		.amdhsa_system_sgpr_workgroup_info 0
		.amdhsa_system_vgpr_workitem_id 0
		.amdhsa_next_free_vgpr 86
		.amdhsa_next_free_sgpr 16
		.amdhsa_reserve_vcc 1
		.amdhsa_reserve_flat_scratch 0
		.amdhsa_float_round_mode_32 0
		.amdhsa_float_round_mode_16_64 0
		.amdhsa_float_denorm_mode_32 3
		.amdhsa_float_denorm_mode_16_64 3
		.amdhsa_dx10_clamp 1
		.amdhsa_ieee_mode 1
		.amdhsa_fp16_overflow 0
		.amdhsa_workgroup_processor_mode 1
		.amdhsa_memory_ordered 1
		.amdhsa_forward_progress 1
		.amdhsa_shared_vgpr_count 0
		.amdhsa_exception_fp_ieee_invalid_op 0
		.amdhsa_exception_fp_denorm_src 0
		.amdhsa_exception_fp_ieee_div_zero 0
		.amdhsa_exception_fp_ieee_overflow 0
		.amdhsa_exception_fp_ieee_underflow 0
		.amdhsa_exception_fp_ieee_inexact 0
		.amdhsa_exception_int_div_zero 0
	.end_amdhsa_kernel
	.section	.text._ZN9rocsparseL19gebsrmvn_2xn_kernelILj128ELj5ELj8E21rocsparse_complex_numIdEEEvi20rocsparse_direction_NS_24const_host_device_scalarIT2_EEPKiS8_PKS5_SA_S6_PS5_21rocsparse_index_base_b,"axG",@progbits,_ZN9rocsparseL19gebsrmvn_2xn_kernelILj128ELj5ELj8E21rocsparse_complex_numIdEEEvi20rocsparse_direction_NS_24const_host_device_scalarIT2_EEPKiS8_PKS5_SA_S6_PS5_21rocsparse_index_base_b,comdat
.Lfunc_end244:
	.size	_ZN9rocsparseL19gebsrmvn_2xn_kernelILj128ELj5ELj8E21rocsparse_complex_numIdEEEvi20rocsparse_direction_NS_24const_host_device_scalarIT2_EEPKiS8_PKS5_SA_S6_PS5_21rocsparse_index_base_b, .Lfunc_end244-_ZN9rocsparseL19gebsrmvn_2xn_kernelILj128ELj5ELj8E21rocsparse_complex_numIdEEEvi20rocsparse_direction_NS_24const_host_device_scalarIT2_EEPKiS8_PKS5_SA_S6_PS5_21rocsparse_index_base_b
                                        ; -- End function
	.set _ZN9rocsparseL19gebsrmvn_2xn_kernelILj128ELj5ELj8E21rocsparse_complex_numIdEEEvi20rocsparse_direction_NS_24const_host_device_scalarIT2_EEPKiS8_PKS5_SA_S6_PS5_21rocsparse_index_base_b.num_vgpr, 86
	.set _ZN9rocsparseL19gebsrmvn_2xn_kernelILj128ELj5ELj8E21rocsparse_complex_numIdEEEvi20rocsparse_direction_NS_24const_host_device_scalarIT2_EEPKiS8_PKS5_SA_S6_PS5_21rocsparse_index_base_b.num_agpr, 0
	.set _ZN9rocsparseL19gebsrmvn_2xn_kernelILj128ELj5ELj8E21rocsparse_complex_numIdEEEvi20rocsparse_direction_NS_24const_host_device_scalarIT2_EEPKiS8_PKS5_SA_S6_PS5_21rocsparse_index_base_b.numbered_sgpr, 16
	.set _ZN9rocsparseL19gebsrmvn_2xn_kernelILj128ELj5ELj8E21rocsparse_complex_numIdEEEvi20rocsparse_direction_NS_24const_host_device_scalarIT2_EEPKiS8_PKS5_SA_S6_PS5_21rocsparse_index_base_b.num_named_barrier, 0
	.set _ZN9rocsparseL19gebsrmvn_2xn_kernelILj128ELj5ELj8E21rocsparse_complex_numIdEEEvi20rocsparse_direction_NS_24const_host_device_scalarIT2_EEPKiS8_PKS5_SA_S6_PS5_21rocsparse_index_base_b.private_seg_size, 0
	.set _ZN9rocsparseL19gebsrmvn_2xn_kernelILj128ELj5ELj8E21rocsparse_complex_numIdEEEvi20rocsparse_direction_NS_24const_host_device_scalarIT2_EEPKiS8_PKS5_SA_S6_PS5_21rocsparse_index_base_b.uses_vcc, 1
	.set _ZN9rocsparseL19gebsrmvn_2xn_kernelILj128ELj5ELj8E21rocsparse_complex_numIdEEEvi20rocsparse_direction_NS_24const_host_device_scalarIT2_EEPKiS8_PKS5_SA_S6_PS5_21rocsparse_index_base_b.uses_flat_scratch, 0
	.set _ZN9rocsparseL19gebsrmvn_2xn_kernelILj128ELj5ELj8E21rocsparse_complex_numIdEEEvi20rocsparse_direction_NS_24const_host_device_scalarIT2_EEPKiS8_PKS5_SA_S6_PS5_21rocsparse_index_base_b.has_dyn_sized_stack, 0
	.set _ZN9rocsparseL19gebsrmvn_2xn_kernelILj128ELj5ELj8E21rocsparse_complex_numIdEEEvi20rocsparse_direction_NS_24const_host_device_scalarIT2_EEPKiS8_PKS5_SA_S6_PS5_21rocsparse_index_base_b.has_recursion, 0
	.set _ZN9rocsparseL19gebsrmvn_2xn_kernelILj128ELj5ELj8E21rocsparse_complex_numIdEEEvi20rocsparse_direction_NS_24const_host_device_scalarIT2_EEPKiS8_PKS5_SA_S6_PS5_21rocsparse_index_base_b.has_indirect_call, 0
	.section	.AMDGPU.csdata,"",@progbits
; Kernel info:
; codeLenInByte = 3056
; TotalNumSgprs: 18
; NumVgprs: 86
; ScratchSize: 0
; MemoryBound: 0
; FloatMode: 240
; IeeeMode: 1
; LDSByteSize: 0 bytes/workgroup (compile time only)
; SGPRBlocks: 0
; VGPRBlocks: 10
; NumSGPRsForWavesPerEU: 18
; NumVGPRsForWavesPerEU: 86
; Occupancy: 10
; WaveLimiterHint : 1
; COMPUTE_PGM_RSRC2:SCRATCH_EN: 0
; COMPUTE_PGM_RSRC2:USER_SGPR: 6
; COMPUTE_PGM_RSRC2:TRAP_HANDLER: 0
; COMPUTE_PGM_RSRC2:TGID_X_EN: 1
; COMPUTE_PGM_RSRC2:TGID_Y_EN: 0
; COMPUTE_PGM_RSRC2:TGID_Z_EN: 0
; COMPUTE_PGM_RSRC2:TIDIG_COMP_CNT: 0
	.section	.text._ZN9rocsparseL19gebsrmvn_2xn_kernelILj128ELj5ELj16E21rocsparse_complex_numIdEEEvi20rocsparse_direction_NS_24const_host_device_scalarIT2_EEPKiS8_PKS5_SA_S6_PS5_21rocsparse_index_base_b,"axG",@progbits,_ZN9rocsparseL19gebsrmvn_2xn_kernelILj128ELj5ELj16E21rocsparse_complex_numIdEEEvi20rocsparse_direction_NS_24const_host_device_scalarIT2_EEPKiS8_PKS5_SA_S6_PS5_21rocsparse_index_base_b,comdat
	.globl	_ZN9rocsparseL19gebsrmvn_2xn_kernelILj128ELj5ELj16E21rocsparse_complex_numIdEEEvi20rocsparse_direction_NS_24const_host_device_scalarIT2_EEPKiS8_PKS5_SA_S6_PS5_21rocsparse_index_base_b ; -- Begin function _ZN9rocsparseL19gebsrmvn_2xn_kernelILj128ELj5ELj16E21rocsparse_complex_numIdEEEvi20rocsparse_direction_NS_24const_host_device_scalarIT2_EEPKiS8_PKS5_SA_S6_PS5_21rocsparse_index_base_b
	.p2align	8
	.type	_ZN9rocsparseL19gebsrmvn_2xn_kernelILj128ELj5ELj16E21rocsparse_complex_numIdEEEvi20rocsparse_direction_NS_24const_host_device_scalarIT2_EEPKiS8_PKS5_SA_S6_PS5_21rocsparse_index_base_b,@function
_ZN9rocsparseL19gebsrmvn_2xn_kernelILj128ELj5ELj16E21rocsparse_complex_numIdEEEvi20rocsparse_direction_NS_24const_host_device_scalarIT2_EEPKiS8_PKS5_SA_S6_PS5_21rocsparse_index_base_b: ; @_ZN9rocsparseL19gebsrmvn_2xn_kernelILj128ELj5ELj16E21rocsparse_complex_numIdEEEvi20rocsparse_direction_NS_24const_host_device_scalarIT2_EEPKiS8_PKS5_SA_S6_PS5_21rocsparse_index_base_b
; %bb.0:
	s_clause 0x1
	s_load_dwordx2 s[2:3], s[4:5], 0x50
	s_load_dwordx2 s[0:1], s[4:5], 0x8
	s_add_u32 s7, s4, 8
	s_addc_u32 s10, s5, 0
	s_add_u32 s11, s4, 56
	s_addc_u32 s12, s5, 0
	s_load_dwordx2 s[8:9], s[4:5], 0x38
	s_waitcnt lgkmcnt(0)
	s_bitcmp1_b32 s3, 0
	s_cselect_b32 s0, s7, s0
	s_cselect_b32 s1, s10, s1
	v_mov_b32_e32 v1, s0
	v_mov_b32_e32 v2, s1
	s_cselect_b32 s0, s11, s8
	s_cselect_b32 s1, s12, s9
	v_mov_b32_e32 v5, s0
	v_mov_b32_e32 v6, s1
	flat_load_dwordx4 v[1:4], v[1:2]
	flat_load_dwordx4 v[5:8], v[5:6]
	s_waitcnt vmcnt(1) lgkmcnt(1)
	v_cmp_eq_f64_e32 vcc_lo, 0, v[1:2]
	v_cmp_eq_f64_e64 s0, 0, v[3:4]
	s_and_b32 s3, vcc_lo, s0
	s_mov_b32 s0, -1
	s_and_saveexec_b32 s1, s3
	s_cbranch_execz .LBB245_2
; %bb.1:
	s_waitcnt vmcnt(0) lgkmcnt(0)
	v_cmp_neq_f64_e32 vcc_lo, 1.0, v[5:6]
	v_cmp_neq_f64_e64 s0, 0, v[7:8]
	s_or_b32 s0, vcc_lo, s0
	s_orn2_b32 s0, s0, exec_lo
.LBB245_2:
	s_or_b32 exec_lo, exec_lo, s1
	s_and_saveexec_b32 s1, s0
	s_cbranch_execz .LBB245_21
; %bb.3:
	s_load_dwordx2 s[0:1], s[4:5], 0x0
	v_lshrrev_b32_e32 v9, 4, v0
	v_lshl_or_b32 v9, s6, 3, v9
	s_waitcnt lgkmcnt(0)
	v_cmp_gt_i32_e32 vcc_lo, s0, v9
	s_and_b32 exec_lo, exec_lo, vcc_lo
	s_cbranch_execz .LBB245_21
; %bb.4:
	s_load_dwordx8 s[8:15], s[4:5], 0x18
	v_ashrrev_i32_e32 v10, 31, v9
	v_and_b32_e32 v0, 15, v0
	s_cmp_lg_u32 s1, 0
	v_lshlrev_b64 v[10:11], 2, v[9:10]
	s_waitcnt lgkmcnt(0)
	v_add_co_u32 v10, vcc_lo, s8, v10
	v_add_co_ci_u32_e64 v11, null, s9, v11, vcc_lo
	global_load_dwordx2 v[10:11], v[10:11], off
	s_waitcnt vmcnt(0)
	v_subrev_nc_u32_e32 v10, s2, v10
	v_subrev_nc_u32_e32 v25, s2, v11
	v_add_nc_u32_e32 v10, v10, v0
	v_cmp_lt_i32_e64 s0, v10, v25
	s_cbranch_scc0 .LBB245_10
; %bb.5:
	v_mov_b32_e32 v12, 0
	v_mov_b32_e32 v14, 0
	v_mov_b32_e32 v16, 0
	v_mov_b32_e32 v18, 0
	v_mov_b32_e32 v13, 0
	v_mov_b32_e32 v15, 0
	v_mov_b32_e32 v17, 0
	v_mov_b32_e32 v19, 0
	s_and_saveexec_b32 s1, s0
	s_cbranch_execz .LBB245_9
; %bb.6:
	v_mad_u64_u32 v[20:21], null, v10, 10, 8
	v_mov_b32_e32 v12, 0
	v_mov_b32_e32 v14, 0
	;; [unrolled: 1-line block ×10, first 2 shown]
	s_mov_b32 s3, 0
.LBB245_7:                              ; =>This Inner Loop Header: Depth=1
	v_ashrrev_i32_e32 v24, 31, v23
	v_add_nc_u32_e32 v21, -8, v20
	v_mov_b32_e32 v79, v22
	v_lshlrev_b64 v[26:27], 2, v[23:24]
	v_add_nc_u32_e32 v23, 16, v23
	v_add_co_u32 v26, vcc_lo, s10, v26
	v_add_co_ci_u32_e64 v27, null, s11, v27, vcc_lo
	global_load_dword v11, v[26:27], off
	v_lshlrev_b64 v[26:27], 4, v[21:22]
	v_add_nc_u32_e32 v21, -6, v20
	v_lshlrev_b64 v[38:39], 4, v[21:22]
	v_add_co_u32 v30, vcc_lo, s12, v26
	v_add_co_ci_u32_e64 v31, null, s13, v27, vcc_lo
	global_load_dwordx4 v[26:29], v[30:31], off offset:16
	s_waitcnt vmcnt(1)
	v_subrev_nc_u32_e32 v11, s2, v11
	v_lshl_add_u32 v78, v11, 2, v11
	v_lshlrev_b64 v[32:33], 4, v[78:79]
	v_add_nc_u32_e32 v21, 1, v78
	v_lshlrev_b64 v[44:45], 4, v[21:22]
	v_add_co_u32 v34, vcc_lo, s14, v32
	v_add_co_ci_u32_e64 v35, null, s15, v33, vcc_lo
	v_add_co_u32 v42, vcc_lo, s12, v38
	global_load_dwordx4 v[30:33], v[30:31], off
	global_load_dwordx4 v[34:37], v[34:35], off
	v_add_co_ci_u32_e64 v43, null, s13, v39, vcc_lo
	v_add_co_u32 v46, vcc_lo, s14, v44
	v_add_co_ci_u32_e64 v47, null, s15, v45, vcc_lo
	s_clause 0x1
	global_load_dwordx4 v[38:41], v[42:43], off offset:16
	global_load_dwordx4 v[42:45], v[42:43], off
	global_load_dwordx4 v[46:49], v[46:47], off
	v_add_nc_u32_e32 v21, -4, v20
	v_lshlrev_b64 v[50:51], 4, v[21:22]
	v_add_nc_u32_e32 v21, 2, v78
	v_lshlrev_b64 v[52:53], 4, v[21:22]
	v_add_co_u32 v54, vcc_lo, s12, v50
	v_add_co_ci_u32_e64 v55, null, s13, v51, vcc_lo
	v_add_nc_u32_e32 v21, -2, v20
	v_add_co_u32 v58, vcc_lo, s14, v52
	v_add_co_ci_u32_e64 v59, null, s15, v53, vcc_lo
	s_clause 0x1
	global_load_dwordx4 v[50:53], v[54:55], off offset:16
	global_load_dwordx4 v[54:57], v[54:55], off
	global_load_dwordx4 v[58:61], v[58:59], off
	v_lshlrev_b64 v[62:63], 4, v[21:22]
	v_add_nc_u32_e32 v21, 3, v78
	v_lshlrev_b64 v[64:65], 4, v[21:22]
	v_add_co_u32 v66, vcc_lo, s12, v62
	v_add_co_ci_u32_e64 v67, null, s13, v63, vcc_lo
	v_mov_b32_e32 v21, v22
	v_add_co_u32 v70, vcc_lo, s14, v64
	v_add_co_ci_u32_e64 v71, null, s15, v65, vcc_lo
	s_clause 0x1
	global_load_dwordx4 v[62:65], v[66:67], off offset:16
	global_load_dwordx4 v[66:69], v[66:67], off
	global_load_dwordx4 v[70:73], v[70:71], off
	v_lshlrev_b64 v[74:75], 4, v[20:21]
	v_add_nc_u32_e32 v21, 4, v78
	v_add_nc_u32_e32 v20, 0xa0, v20
	v_lshlrev_b64 v[81:82], 4, v[21:22]
	v_add_co_u32 v79, vcc_lo, s12, v74
	v_add_co_ci_u32_e64 v80, null, s13, v75, vcc_lo
	v_add_co_u32 v83, vcc_lo, s14, v81
	v_add_co_ci_u32_e64 v84, null, s15, v82, vcc_lo
	s_clause 0x1
	global_load_dwordx4 v[74:77], v[79:80], off offset:16
	global_load_dwordx4 v[78:81], v[79:80], off
	global_load_dwordx4 v[82:85], v[83:84], off
	v_cmp_ge_i32_e32 vcc_lo, v23, v25
	s_or_b32 s3, vcc_lo, s3
	s_waitcnt vmcnt(12)
	v_fma_f64 v[14:15], v[30:31], v[34:35], v[14:15]
	v_fma_f64 v[11:12], v[32:33], v[34:35], v[12:13]
	v_fma_f64 v[16:17], v[26:27], v[34:35], v[16:17]
	v_fma_f64 v[18:19], v[28:29], v[34:35], v[18:19]
	v_fma_f64 v[13:14], -v[32:33], v[36:37], v[14:15]
	v_fma_f64 v[11:12], v[30:31], v[36:37], v[11:12]
	v_fma_f64 v[15:16], -v[28:29], v[36:37], v[16:17]
	v_fma_f64 v[17:18], v[26:27], v[36:37], v[18:19]
	s_waitcnt vmcnt(9)
	v_fma_f64 v[13:14], v[42:43], v[46:47], v[13:14]
	v_fma_f64 v[11:12], v[44:45], v[46:47], v[11:12]
	v_fma_f64 v[15:16], v[38:39], v[46:47], v[15:16]
	v_fma_f64 v[17:18], v[40:41], v[46:47], v[17:18]
	v_fma_f64 v[13:14], -v[44:45], v[48:49], v[13:14]
	v_fma_f64 v[11:12], v[42:43], v[48:49], v[11:12]
	v_fma_f64 v[15:16], -v[40:41], v[48:49], v[15:16]
	v_fma_f64 v[17:18], v[38:39], v[48:49], v[17:18]
	;; [unrolled: 9-line block ×5, first 2 shown]
	s_andn2_b32 exec_lo, exec_lo, s3
	s_cbranch_execnz .LBB245_7
; %bb.8:
	s_or_b32 exec_lo, exec_lo, s3
.LBB245_9:
	s_or_b32 exec_lo, exec_lo, s1
	s_cbranch_execz .LBB245_11
	s_branch .LBB245_16
.LBB245_10:
                                        ; implicit-def: $vgpr12_vgpr13
                                        ; implicit-def: $vgpr14_vgpr15
                                        ; implicit-def: $vgpr16_vgpr17
                                        ; implicit-def: $vgpr18_vgpr19
.LBB245_11:
	v_mov_b32_e32 v12, 0
	v_mov_b32_e32 v14, 0
	;; [unrolled: 1-line block ×8, first 2 shown]
	s_and_saveexec_b32 s1, s0
	s_cbranch_execz .LBB245_15
; %bb.12:
	v_mad_u64_u32 v[20:21], null, v10, 10, 9
	v_mov_b32_e32 v12, 0
	v_mov_b32_e32 v14, 0
	;; [unrolled: 1-line block ×9, first 2 shown]
	s_mov_b32 s0, 0
.LBB245_13:                             ; =>This Inner Loop Header: Depth=1
	v_ashrrev_i32_e32 v11, 31, v10
	v_add_nc_u32_e32 v21, -9, v20
	v_mov_b32_e32 v79, v22
	v_lshlrev_b64 v[23:24], 2, v[10:11]
	v_lshlrev_b64 v[26:27], 4, v[21:22]
	v_add_nc_u32_e32 v10, 16, v10
	v_add_co_u32 v23, vcc_lo, s10, v23
	v_add_co_ci_u32_e64 v24, null, s11, v24, vcc_lo
	v_add_co_u32 v30, vcc_lo, s12, v26
	v_add_co_ci_u32_e64 v31, null, s13, v27, vcc_lo
	global_load_dword v11, v[23:24], off
	v_add_nc_u32_e32 v23, -4, v20
	v_mov_b32_e32 v24, v22
	s_clause 0x1
	global_load_dwordx4 v[26:29], v[30:31], off offset:16
	global_load_dwordx4 v[30:33], v[30:31], off
	v_lshlrev_b64 v[23:24], 4, v[23:24]
	v_add_co_u32 v23, vcc_lo, s12, v23
	v_add_co_ci_u32_e64 v24, null, s13, v24, vcc_lo
	s_waitcnt vmcnt(2)
	v_subrev_nc_u32_e32 v11, s2, v11
	v_lshl_add_u32 v78, v11, 2, v11
	v_lshlrev_b64 v[34:35], 4, v[78:79]
	v_add_nc_u32_e32 v21, 1, v78
	v_add_co_u32 v38, vcc_lo, s14, v34
	v_add_co_ci_u32_e64 v39, null, s15, v35, vcc_lo
	global_load_dwordx4 v[34:37], v[23:24], off
	global_load_dwordx4 v[38:41], v[38:39], off
	v_lshlrev_b64 v[23:24], 4, v[21:22]
	v_add_nc_u32_e32 v21, -3, v20
	v_lshlrev_b64 v[42:43], 4, v[21:22]
	v_add_co_u32 v23, vcc_lo, s14, v23
	v_add_co_ci_u32_e64 v24, null, s15, v24, vcc_lo
	v_add_nc_u32_e32 v21, -7, v20
	v_add_co_u32 v46, vcc_lo, s12, v42
	v_add_co_ci_u32_e64 v47, null, s13, v43, vcc_lo
	global_load_dwordx4 v[42:45], v[23:24], off
	global_load_dwordx4 v[46:49], v[46:47], off
	v_lshlrev_b64 v[23:24], 4, v[21:22]
	v_add_nc_u32_e32 v21, 2, v78
	v_lshlrev_b64 v[50:51], 4, v[21:22]
	v_add_nc_u32_e32 v21, -2, v20
	v_add_co_u32 v23, vcc_lo, s12, v23
	v_add_co_ci_u32_e64 v24, null, s13, v24, vcc_lo
	v_lshlrev_b64 v[52:53], 4, v[21:22]
	v_add_co_u32 v54, vcc_lo, s14, v50
	v_add_co_ci_u32_e64 v55, null, s15, v51, vcc_lo
	v_add_nc_u32_e32 v21, -6, v20
	v_add_co_u32 v58, vcc_lo, s12, v52
	v_add_co_ci_u32_e64 v59, null, s13, v53, vcc_lo
	global_load_dwordx4 v[50:53], v[23:24], off
	global_load_dwordx4 v[54:57], v[54:55], off
	;; [unrolled: 1-line block ×3, first 2 shown]
	v_lshlrev_b64 v[23:24], 4, v[21:22]
	v_add_nc_u32_e32 v21, 3, v78
	v_lshlrev_b64 v[62:63], 4, v[21:22]
	v_add_nc_u32_e32 v21, -1, v20
	v_add_co_u32 v23, vcc_lo, s12, v23
	v_add_co_ci_u32_e64 v24, null, s13, v24, vcc_lo
	v_lshlrev_b64 v[66:67], 4, v[21:22]
	v_add_co_u32 v68, vcc_lo, s14, v62
	v_add_co_ci_u32_e64 v69, null, s15, v63, vcc_lo
	global_load_dwordx4 v[62:65], v[23:24], off
	v_add_co_u32 v23, vcc_lo, s12, v66
	v_add_co_ci_u32_e64 v24, null, s13, v67, vcc_lo
	global_load_dwordx4 v[66:69], v[68:69], off
	global_load_dwordx4 v[70:73], v[23:24], off
	v_mov_b32_e32 v21, v22
	v_lshlrev_b64 v[23:24], 4, v[20:21]
	v_add_nc_u32_e32 v21, -5, v20
	v_add_nc_u32_e32 v20, 0xa0, v20
	v_add_co_u32 v23, vcc_lo, s12, v23
	v_add_co_ci_u32_e64 v24, null, s13, v24, vcc_lo
	global_load_dwordx4 v[74:77], v[23:24], off
	v_lshlrev_b64 v[23:24], 4, v[21:22]
	v_add_nc_u32_e32 v21, 4, v78
	v_lshlrev_b64 v[78:79], 4, v[21:22]
	v_add_co_u32 v23, vcc_lo, s12, v23
	v_add_co_ci_u32_e64 v24, null, s13, v24, vcc_lo
	v_add_co_u32 v82, vcc_lo, s14, v78
	v_add_co_ci_u32_e64 v83, null, s15, v79, vcc_lo
	global_load_dwordx4 v[78:81], v[23:24], off
	global_load_dwordx4 v[82:85], v[82:83], off
	v_cmp_ge_i32_e32 vcc_lo, v10, v25
	s_or_b32 s0, vcc_lo, s0
	s_waitcnt vmcnt(11)
	v_fma_f64 v[14:15], v[30:31], v[38:39], v[14:15]
	v_fma_f64 v[11:12], v[32:33], v[38:39], v[12:13]
	;; [unrolled: 1-line block ×4, first 2 shown]
	v_fma_f64 v[13:14], -v[32:33], v[40:41], v[14:15]
	v_fma_f64 v[11:12], v[30:31], v[40:41], v[11:12]
	v_fma_f64 v[15:16], -v[36:37], v[40:41], v[16:17]
	v_fma_f64 v[17:18], v[34:35], v[40:41], v[18:19]
	s_waitcnt vmcnt(10)
	v_fma_f64 v[13:14], v[26:27], v[42:43], v[13:14]
	v_fma_f64 v[11:12], v[28:29], v[42:43], v[11:12]
	s_waitcnt vmcnt(9)
	v_fma_f64 v[15:16], v[46:47], v[42:43], v[15:16]
	v_fma_f64 v[17:18], v[48:49], v[42:43], v[17:18]
	v_fma_f64 v[13:14], -v[28:29], v[44:45], v[13:14]
	v_fma_f64 v[11:12], v[26:27], v[44:45], v[11:12]
	v_fma_f64 v[15:16], -v[48:49], v[44:45], v[15:16]
	v_fma_f64 v[17:18], v[46:47], v[44:45], v[17:18]
	s_waitcnt vmcnt(7)
	v_fma_f64 v[13:14], v[50:51], v[54:55], v[13:14]
	v_fma_f64 v[11:12], v[52:53], v[54:55], v[11:12]
	s_waitcnt vmcnt(6)
	v_fma_f64 v[15:16], v[58:59], v[54:55], v[15:16]
	v_fma_f64 v[17:18], v[60:61], v[54:55], v[17:18]
	;; [unrolled: 10-line block ×3, first 2 shown]
	v_fma_f64 v[13:14], -v[64:65], v[68:69], v[13:14]
	v_fma_f64 v[11:12], v[62:63], v[68:69], v[11:12]
	v_fma_f64 v[15:16], -v[72:73], v[68:69], v[15:16]
	v_fma_f64 v[17:18], v[70:71], v[68:69], v[17:18]
	s_waitcnt vmcnt(0)
	v_fma_f64 v[13:14], v[78:79], v[82:83], v[13:14]
	v_fma_f64 v[11:12], v[80:81], v[82:83], v[11:12]
	;; [unrolled: 1-line block ×4, first 2 shown]
	v_fma_f64 v[14:15], -v[80:81], v[84:85], v[13:14]
	v_fma_f64 v[12:13], v[78:79], v[84:85], v[11:12]
	v_fma_f64 v[16:17], -v[76:77], v[84:85], v[23:24]
	v_fma_f64 v[18:19], v[74:75], v[84:85], v[18:19]
	s_andn2_b32 exec_lo, exec_lo, s0
	s_cbranch_execnz .LBB245_13
; %bb.14:
	s_or_b32 exec_lo, exec_lo, s0
.LBB245_15:
	s_or_b32 exec_lo, exec_lo, s1
.LBB245_16:
	v_mbcnt_lo_u32_b32 v26, -1, 0
	v_xor_b32_e32 v10, 8, v26
	v_cmp_gt_i32_e32 vcc_lo, 32, v10
	v_cndmask_b32_e32 v10, v26, v10, vcc_lo
	v_lshlrev_b32_e32 v25, 2, v10
	ds_bpermute_b32 v10, v25, v14
	ds_bpermute_b32 v11, v25, v15
	;; [unrolled: 1-line block ×8, first 2 shown]
	s_waitcnt lgkmcnt(6)
	v_add_f64 v[10:11], v[14:15], v[10:11]
	s_waitcnt lgkmcnt(4)
	v_add_f64 v[12:13], v[12:13], v[20:21]
	v_xor_b32_e32 v20, 4, v26
	s_waitcnt lgkmcnt(2)
	v_add_f64 v[14:15], v[16:17], v[22:23]
	s_waitcnt lgkmcnt(0)
	v_add_f64 v[16:17], v[18:19], v[24:25]
	v_cmp_gt_i32_e32 vcc_lo, 32, v20
	v_cndmask_b32_e32 v18, v26, v20, vcc_lo
	v_lshlrev_b32_e32 v25, 2, v18
	ds_bpermute_b32 v18, v25, v10
	ds_bpermute_b32 v19, v25, v11
	;; [unrolled: 1-line block ×8, first 2 shown]
	s_waitcnt lgkmcnt(6)
	v_add_f64 v[10:11], v[10:11], v[18:19]
	s_waitcnt lgkmcnt(4)
	v_add_f64 v[12:13], v[12:13], v[20:21]
	;; [unrolled: 2-line block ×4, first 2 shown]
	v_xor_b32_e32 v16, 2, v26
	v_cmp_gt_i32_e32 vcc_lo, 32, v16
	v_cndmask_b32_e32 v16, v26, v16, vcc_lo
	v_lshlrev_b32_e32 v25, 2, v16
	ds_bpermute_b32 v16, v25, v10
	ds_bpermute_b32 v17, v25, v11
	;; [unrolled: 1-line block ×8, first 2 shown]
	s_waitcnt lgkmcnt(6)
	v_add_f64 v[10:11], v[10:11], v[16:17]
	s_waitcnt lgkmcnt(4)
	v_add_f64 v[16:17], v[12:13], v[20:21]
	s_waitcnt lgkmcnt(2)
	v_add_f64 v[12:13], v[14:15], v[22:23]
	s_waitcnt lgkmcnt(0)
	v_add_f64 v[14:15], v[18:19], v[24:25]
	v_xor_b32_e32 v18, 1, v26
	v_cmp_gt_i32_e32 vcc_lo, 32, v18
	v_cndmask_b32_e32 v18, v26, v18, vcc_lo
	v_cmp_eq_u32_e32 vcc_lo, 15, v0
	v_lshlrev_b32_e32 v21, 2, v18
	ds_bpermute_b32 v24, v21, v10
	ds_bpermute_b32 v25, v21, v11
	;; [unrolled: 1-line block ×8, first 2 shown]
	s_and_b32 exec_lo, exec_lo, vcc_lo
	s_cbranch_execz .LBB245_21
; %bb.17:
	v_cmp_eq_f64_e32 vcc_lo, 0, v[5:6]
	v_cmp_eq_f64_e64 s0, 0, v[7:8]
	s_waitcnt lgkmcnt(6)
	v_add_f64 v[10:11], v[10:11], v[24:25]
	s_waitcnt lgkmcnt(4)
	v_add_f64 v[16:17], v[16:17], v[22:23]
	;; [unrolled: 2-line block ×4, first 2 shown]
	s_load_dwordx2 s[2:3], s[4:5], 0x48
	s_and_b32 s0, vcc_lo, s0
	s_and_saveexec_b32 s1, s0
	s_xor_b32 s0, exec_lo, s1
	s_cbranch_execz .LBB245_19
; %bb.18:
	v_mul_f64 v[5:6], v[16:17], -v[3:4]
	v_mul_f64 v[7:8], v[1:2], v[16:17]
	v_mul_f64 v[16:17], v[14:15], -v[3:4]
	v_mul_f64 v[14:15], v[1:2], v[14:15]
	v_lshlrev_b32_e32 v9, 1, v9
	v_fma_f64 v[5:6], v[1:2], v[10:11], v[5:6]
	v_fma_f64 v[7:8], v[3:4], v[10:11], v[7:8]
	;; [unrolled: 1-line block ×4, first 2 shown]
	v_ashrrev_i32_e32 v10, 31, v9
                                        ; implicit-def: $vgpr16_vgpr17
                                        ; implicit-def: $vgpr12_vgpr13
                                        ; implicit-def: $vgpr14_vgpr15
	v_lshlrev_b64 v[9:10], 4, v[9:10]
	s_waitcnt lgkmcnt(0)
	v_add_co_u32 v9, vcc_lo, s2, v9
	v_add_co_ci_u32_e64 v10, null, s3, v10, vcc_lo
	global_store_dwordx4 v[9:10], v[5:8], off
	global_store_dwordx4 v[9:10], v[0:3], off offset:16
                                        ; implicit-def: $vgpr9
                                        ; implicit-def: $vgpr10_vgpr11
                                        ; implicit-def: $vgpr7_vgpr8
                                        ; implicit-def: $vgpr3_vgpr4
.LBB245_19:
	s_andn2_saveexec_b32 s0, s0
	s_cbranch_execz .LBB245_21
; %bb.20:
	v_lshlrev_b32_e32 v18, 1, v9
	v_mul_f64 v[28:29], v[16:17], -v[3:4]
	v_mul_f64 v[16:17], v[1:2], v[16:17]
	v_mul_f64 v[30:31], v[14:15], -v[3:4]
	v_mul_f64 v[14:15], v[1:2], v[14:15]
	v_ashrrev_i32_e32 v19, 31, v18
	v_lshlrev_b64 v[18:19], 4, v[18:19]
	s_waitcnt lgkmcnt(0)
	v_add_co_u32 v26, vcc_lo, s2, v18
	v_add_co_ci_u32_e64 v27, null, s3, v19, vcc_lo
	s_clause 0x1
	global_load_dwordx4 v[18:21], v[26:27], off
	global_load_dwordx4 v[22:25], v[26:27], off offset:16
	v_fma_f64 v[28:29], v[1:2], v[10:11], v[28:29]
	v_fma_f64 v[9:10], v[3:4], v[10:11], v[16:17]
	;; [unrolled: 1-line block ×4, first 2 shown]
	s_waitcnt vmcnt(1)
	v_fma_f64 v[11:12], v[5:6], v[18:19], v[28:29]
	v_fma_f64 v[9:10], v[7:8], v[18:19], v[9:10]
	s_waitcnt vmcnt(0)
	v_fma_f64 v[13:14], v[5:6], v[22:23], v[0:1]
	v_fma_f64 v[15:16], v[7:8], v[22:23], v[2:3]
	v_fma_f64 v[0:1], -v[7:8], v[20:21], v[11:12]
	v_fma_f64 v[2:3], v[5:6], v[20:21], v[9:10]
	v_fma_f64 v[7:8], -v[7:8], v[24:25], v[13:14]
	v_fma_f64 v[9:10], v[5:6], v[24:25], v[15:16]
	global_store_dwordx4 v[26:27], v[0:3], off
	global_store_dwordx4 v[26:27], v[7:10], off offset:16
.LBB245_21:
	s_endpgm
	.section	.rodata,"a",@progbits
	.p2align	6, 0x0
	.amdhsa_kernel _ZN9rocsparseL19gebsrmvn_2xn_kernelILj128ELj5ELj16E21rocsparse_complex_numIdEEEvi20rocsparse_direction_NS_24const_host_device_scalarIT2_EEPKiS8_PKS5_SA_S6_PS5_21rocsparse_index_base_b
		.amdhsa_group_segment_fixed_size 0
		.amdhsa_private_segment_fixed_size 0
		.amdhsa_kernarg_size 88
		.amdhsa_user_sgpr_count 6
		.amdhsa_user_sgpr_private_segment_buffer 1
		.amdhsa_user_sgpr_dispatch_ptr 0
		.amdhsa_user_sgpr_queue_ptr 0
		.amdhsa_user_sgpr_kernarg_segment_ptr 1
		.amdhsa_user_sgpr_dispatch_id 0
		.amdhsa_user_sgpr_flat_scratch_init 0
		.amdhsa_user_sgpr_private_segment_size 0
		.amdhsa_wavefront_size32 1
		.amdhsa_uses_dynamic_stack 0
		.amdhsa_system_sgpr_private_segment_wavefront_offset 0
		.amdhsa_system_sgpr_workgroup_id_x 1
		.amdhsa_system_sgpr_workgroup_id_y 0
		.amdhsa_system_sgpr_workgroup_id_z 0
		.amdhsa_system_sgpr_workgroup_info 0
		.amdhsa_system_vgpr_workitem_id 0
		.amdhsa_next_free_vgpr 86
		.amdhsa_next_free_sgpr 16
		.amdhsa_reserve_vcc 1
		.amdhsa_reserve_flat_scratch 0
		.amdhsa_float_round_mode_32 0
		.amdhsa_float_round_mode_16_64 0
		.amdhsa_float_denorm_mode_32 3
		.amdhsa_float_denorm_mode_16_64 3
		.amdhsa_dx10_clamp 1
		.amdhsa_ieee_mode 1
		.amdhsa_fp16_overflow 0
		.amdhsa_workgroup_processor_mode 1
		.amdhsa_memory_ordered 1
		.amdhsa_forward_progress 1
		.amdhsa_shared_vgpr_count 0
		.amdhsa_exception_fp_ieee_invalid_op 0
		.amdhsa_exception_fp_denorm_src 0
		.amdhsa_exception_fp_ieee_div_zero 0
		.amdhsa_exception_fp_ieee_overflow 0
		.amdhsa_exception_fp_ieee_underflow 0
		.amdhsa_exception_fp_ieee_inexact 0
		.amdhsa_exception_int_div_zero 0
	.end_amdhsa_kernel
	.section	.text._ZN9rocsparseL19gebsrmvn_2xn_kernelILj128ELj5ELj16E21rocsparse_complex_numIdEEEvi20rocsparse_direction_NS_24const_host_device_scalarIT2_EEPKiS8_PKS5_SA_S6_PS5_21rocsparse_index_base_b,"axG",@progbits,_ZN9rocsparseL19gebsrmvn_2xn_kernelILj128ELj5ELj16E21rocsparse_complex_numIdEEEvi20rocsparse_direction_NS_24const_host_device_scalarIT2_EEPKiS8_PKS5_SA_S6_PS5_21rocsparse_index_base_b,comdat
.Lfunc_end245:
	.size	_ZN9rocsparseL19gebsrmvn_2xn_kernelILj128ELj5ELj16E21rocsparse_complex_numIdEEEvi20rocsparse_direction_NS_24const_host_device_scalarIT2_EEPKiS8_PKS5_SA_S6_PS5_21rocsparse_index_base_b, .Lfunc_end245-_ZN9rocsparseL19gebsrmvn_2xn_kernelILj128ELj5ELj16E21rocsparse_complex_numIdEEEvi20rocsparse_direction_NS_24const_host_device_scalarIT2_EEPKiS8_PKS5_SA_S6_PS5_21rocsparse_index_base_b
                                        ; -- End function
	.set _ZN9rocsparseL19gebsrmvn_2xn_kernelILj128ELj5ELj16E21rocsparse_complex_numIdEEEvi20rocsparse_direction_NS_24const_host_device_scalarIT2_EEPKiS8_PKS5_SA_S6_PS5_21rocsparse_index_base_b.num_vgpr, 86
	.set _ZN9rocsparseL19gebsrmvn_2xn_kernelILj128ELj5ELj16E21rocsparse_complex_numIdEEEvi20rocsparse_direction_NS_24const_host_device_scalarIT2_EEPKiS8_PKS5_SA_S6_PS5_21rocsparse_index_base_b.num_agpr, 0
	.set _ZN9rocsparseL19gebsrmvn_2xn_kernelILj128ELj5ELj16E21rocsparse_complex_numIdEEEvi20rocsparse_direction_NS_24const_host_device_scalarIT2_EEPKiS8_PKS5_SA_S6_PS5_21rocsparse_index_base_b.numbered_sgpr, 16
	.set _ZN9rocsparseL19gebsrmvn_2xn_kernelILj128ELj5ELj16E21rocsparse_complex_numIdEEEvi20rocsparse_direction_NS_24const_host_device_scalarIT2_EEPKiS8_PKS5_SA_S6_PS5_21rocsparse_index_base_b.num_named_barrier, 0
	.set _ZN9rocsparseL19gebsrmvn_2xn_kernelILj128ELj5ELj16E21rocsparse_complex_numIdEEEvi20rocsparse_direction_NS_24const_host_device_scalarIT2_EEPKiS8_PKS5_SA_S6_PS5_21rocsparse_index_base_b.private_seg_size, 0
	.set _ZN9rocsparseL19gebsrmvn_2xn_kernelILj128ELj5ELj16E21rocsparse_complex_numIdEEEvi20rocsparse_direction_NS_24const_host_device_scalarIT2_EEPKiS8_PKS5_SA_S6_PS5_21rocsparse_index_base_b.uses_vcc, 1
	.set _ZN9rocsparseL19gebsrmvn_2xn_kernelILj128ELj5ELj16E21rocsparse_complex_numIdEEEvi20rocsparse_direction_NS_24const_host_device_scalarIT2_EEPKiS8_PKS5_SA_S6_PS5_21rocsparse_index_base_b.uses_flat_scratch, 0
	.set _ZN9rocsparseL19gebsrmvn_2xn_kernelILj128ELj5ELj16E21rocsparse_complex_numIdEEEvi20rocsparse_direction_NS_24const_host_device_scalarIT2_EEPKiS8_PKS5_SA_S6_PS5_21rocsparse_index_base_b.has_dyn_sized_stack, 0
	.set _ZN9rocsparseL19gebsrmvn_2xn_kernelILj128ELj5ELj16E21rocsparse_complex_numIdEEEvi20rocsparse_direction_NS_24const_host_device_scalarIT2_EEPKiS8_PKS5_SA_S6_PS5_21rocsparse_index_base_b.has_recursion, 0
	.set _ZN9rocsparseL19gebsrmvn_2xn_kernelILj128ELj5ELj16E21rocsparse_complex_numIdEEEvi20rocsparse_direction_NS_24const_host_device_scalarIT2_EEPKiS8_PKS5_SA_S6_PS5_21rocsparse_index_base_b.has_indirect_call, 0
	.section	.AMDGPU.csdata,"",@progbits
; Kernel info:
; codeLenInByte = 3184
; TotalNumSgprs: 18
; NumVgprs: 86
; ScratchSize: 0
; MemoryBound: 0
; FloatMode: 240
; IeeeMode: 1
; LDSByteSize: 0 bytes/workgroup (compile time only)
; SGPRBlocks: 0
; VGPRBlocks: 10
; NumSGPRsForWavesPerEU: 18
; NumVGPRsForWavesPerEU: 86
; Occupancy: 10
; WaveLimiterHint : 1
; COMPUTE_PGM_RSRC2:SCRATCH_EN: 0
; COMPUTE_PGM_RSRC2:USER_SGPR: 6
; COMPUTE_PGM_RSRC2:TRAP_HANDLER: 0
; COMPUTE_PGM_RSRC2:TGID_X_EN: 1
; COMPUTE_PGM_RSRC2:TGID_Y_EN: 0
; COMPUTE_PGM_RSRC2:TGID_Z_EN: 0
; COMPUTE_PGM_RSRC2:TIDIG_COMP_CNT: 0
	.section	.text._ZN9rocsparseL19gebsrmvn_2xn_kernelILj128ELj5ELj32E21rocsparse_complex_numIdEEEvi20rocsparse_direction_NS_24const_host_device_scalarIT2_EEPKiS8_PKS5_SA_S6_PS5_21rocsparse_index_base_b,"axG",@progbits,_ZN9rocsparseL19gebsrmvn_2xn_kernelILj128ELj5ELj32E21rocsparse_complex_numIdEEEvi20rocsparse_direction_NS_24const_host_device_scalarIT2_EEPKiS8_PKS5_SA_S6_PS5_21rocsparse_index_base_b,comdat
	.globl	_ZN9rocsparseL19gebsrmvn_2xn_kernelILj128ELj5ELj32E21rocsparse_complex_numIdEEEvi20rocsparse_direction_NS_24const_host_device_scalarIT2_EEPKiS8_PKS5_SA_S6_PS5_21rocsparse_index_base_b ; -- Begin function _ZN9rocsparseL19gebsrmvn_2xn_kernelILj128ELj5ELj32E21rocsparse_complex_numIdEEEvi20rocsparse_direction_NS_24const_host_device_scalarIT2_EEPKiS8_PKS5_SA_S6_PS5_21rocsparse_index_base_b
	.p2align	8
	.type	_ZN9rocsparseL19gebsrmvn_2xn_kernelILj128ELj5ELj32E21rocsparse_complex_numIdEEEvi20rocsparse_direction_NS_24const_host_device_scalarIT2_EEPKiS8_PKS5_SA_S6_PS5_21rocsparse_index_base_b,@function
_ZN9rocsparseL19gebsrmvn_2xn_kernelILj128ELj5ELj32E21rocsparse_complex_numIdEEEvi20rocsparse_direction_NS_24const_host_device_scalarIT2_EEPKiS8_PKS5_SA_S6_PS5_21rocsparse_index_base_b: ; @_ZN9rocsparseL19gebsrmvn_2xn_kernelILj128ELj5ELj32E21rocsparse_complex_numIdEEEvi20rocsparse_direction_NS_24const_host_device_scalarIT2_EEPKiS8_PKS5_SA_S6_PS5_21rocsparse_index_base_b
; %bb.0:
	s_clause 0x1
	s_load_dwordx2 s[2:3], s[4:5], 0x50
	s_load_dwordx2 s[0:1], s[4:5], 0x8
	s_add_u32 s7, s4, 8
	s_addc_u32 s10, s5, 0
	s_add_u32 s11, s4, 56
	s_addc_u32 s12, s5, 0
	s_load_dwordx2 s[8:9], s[4:5], 0x38
	s_waitcnt lgkmcnt(0)
	s_bitcmp1_b32 s3, 0
	s_cselect_b32 s0, s7, s0
	s_cselect_b32 s1, s10, s1
	v_mov_b32_e32 v1, s0
	v_mov_b32_e32 v2, s1
	s_cselect_b32 s0, s11, s8
	s_cselect_b32 s1, s12, s9
	v_mov_b32_e32 v5, s0
	v_mov_b32_e32 v6, s1
	flat_load_dwordx4 v[1:4], v[1:2]
	flat_load_dwordx4 v[5:8], v[5:6]
	s_waitcnt vmcnt(1) lgkmcnt(1)
	v_cmp_eq_f64_e32 vcc_lo, 0, v[1:2]
	v_cmp_eq_f64_e64 s0, 0, v[3:4]
	s_and_b32 s3, vcc_lo, s0
	s_mov_b32 s0, -1
	s_and_saveexec_b32 s1, s3
	s_cbranch_execz .LBB246_2
; %bb.1:
	s_waitcnt vmcnt(0) lgkmcnt(0)
	v_cmp_neq_f64_e32 vcc_lo, 1.0, v[5:6]
	v_cmp_neq_f64_e64 s0, 0, v[7:8]
	s_or_b32 s0, vcc_lo, s0
	s_orn2_b32 s0, s0, exec_lo
.LBB246_2:
	s_or_b32 exec_lo, exec_lo, s1
	s_and_saveexec_b32 s1, s0
	s_cbranch_execz .LBB246_21
; %bb.3:
	s_load_dwordx2 s[0:1], s[4:5], 0x0
	v_lshrrev_b32_e32 v9, 5, v0
	v_lshl_or_b32 v9, s6, 2, v9
	s_waitcnt lgkmcnt(0)
	v_cmp_gt_i32_e32 vcc_lo, s0, v9
	s_and_b32 exec_lo, exec_lo, vcc_lo
	s_cbranch_execz .LBB246_21
; %bb.4:
	s_load_dwordx8 s[8:15], s[4:5], 0x18
	v_ashrrev_i32_e32 v10, 31, v9
	v_and_b32_e32 v0, 31, v0
	s_cmp_lg_u32 s1, 0
	v_lshlrev_b64 v[10:11], 2, v[9:10]
	s_waitcnt lgkmcnt(0)
	v_add_co_u32 v10, vcc_lo, s8, v10
	v_add_co_ci_u32_e64 v11, null, s9, v11, vcc_lo
	global_load_dwordx2 v[10:11], v[10:11], off
	s_waitcnt vmcnt(0)
	v_subrev_nc_u32_e32 v10, s2, v10
	v_subrev_nc_u32_e32 v25, s2, v11
	v_add_nc_u32_e32 v12, v10, v0
	v_cmp_lt_i32_e64 s0, v12, v25
	s_cbranch_scc0 .LBB246_10
; %bb.5:
	v_mov_b32_e32 v10, 0
	v_mov_b32_e32 v14, 0
	;; [unrolled: 1-line block ×8, first 2 shown]
	s_and_saveexec_b32 s1, s0
	s_cbranch_execz .LBB246_9
; %bb.6:
	v_mad_u64_u32 v[20:21], null, v12, 10, 8
	v_mov_b32_e32 v10, 0
	v_mov_b32_e32 v14, 0
	;; [unrolled: 1-line block ×10, first 2 shown]
	s_mov_b32 s3, 0
.LBB246_7:                              ; =>This Inner Loop Header: Depth=1
	v_ashrrev_i32_e32 v24, 31, v23
	v_add_nc_u32_e32 v21, -8, v20
	v_mov_b32_e32 v79, v22
	v_lshlrev_b64 v[26:27], 2, v[23:24]
	v_add_nc_u32_e32 v23, 32, v23
	v_add_co_u32 v26, vcc_lo, s10, v26
	v_add_co_ci_u32_e64 v27, null, s11, v27, vcc_lo
	global_load_dword v13, v[26:27], off
	v_lshlrev_b64 v[26:27], 4, v[21:22]
	v_add_nc_u32_e32 v21, -6, v20
	v_lshlrev_b64 v[38:39], 4, v[21:22]
	v_add_co_u32 v30, vcc_lo, s12, v26
	v_add_co_ci_u32_e64 v31, null, s13, v27, vcc_lo
	global_load_dwordx4 v[26:29], v[30:31], off offset:16
	s_waitcnt vmcnt(1)
	v_subrev_nc_u32_e32 v13, s2, v13
	v_lshl_add_u32 v78, v13, 2, v13
	v_lshlrev_b64 v[32:33], 4, v[78:79]
	v_add_nc_u32_e32 v21, 1, v78
	v_lshlrev_b64 v[44:45], 4, v[21:22]
	v_add_co_u32 v34, vcc_lo, s14, v32
	v_add_co_ci_u32_e64 v35, null, s15, v33, vcc_lo
	v_add_co_u32 v42, vcc_lo, s12, v38
	global_load_dwordx4 v[30:33], v[30:31], off
	global_load_dwordx4 v[34:37], v[34:35], off
	v_add_co_ci_u32_e64 v43, null, s13, v39, vcc_lo
	v_add_co_u32 v46, vcc_lo, s14, v44
	v_add_co_ci_u32_e64 v47, null, s15, v45, vcc_lo
	s_clause 0x1
	global_load_dwordx4 v[38:41], v[42:43], off offset:16
	global_load_dwordx4 v[42:45], v[42:43], off
	global_load_dwordx4 v[46:49], v[46:47], off
	v_add_nc_u32_e32 v21, -4, v20
	v_lshlrev_b64 v[50:51], 4, v[21:22]
	v_add_nc_u32_e32 v21, 2, v78
	v_lshlrev_b64 v[52:53], 4, v[21:22]
	v_add_co_u32 v54, vcc_lo, s12, v50
	v_add_co_ci_u32_e64 v55, null, s13, v51, vcc_lo
	v_add_nc_u32_e32 v21, -2, v20
	v_add_co_u32 v58, vcc_lo, s14, v52
	v_add_co_ci_u32_e64 v59, null, s15, v53, vcc_lo
	s_clause 0x1
	global_load_dwordx4 v[50:53], v[54:55], off offset:16
	global_load_dwordx4 v[54:57], v[54:55], off
	global_load_dwordx4 v[58:61], v[58:59], off
	v_lshlrev_b64 v[62:63], 4, v[21:22]
	v_add_nc_u32_e32 v21, 3, v78
	v_lshlrev_b64 v[64:65], 4, v[21:22]
	v_add_co_u32 v66, vcc_lo, s12, v62
	v_add_co_ci_u32_e64 v67, null, s13, v63, vcc_lo
	v_mov_b32_e32 v21, v22
	v_add_co_u32 v70, vcc_lo, s14, v64
	v_add_co_ci_u32_e64 v71, null, s15, v65, vcc_lo
	s_clause 0x1
	global_load_dwordx4 v[62:65], v[66:67], off offset:16
	global_load_dwordx4 v[66:69], v[66:67], off
	global_load_dwordx4 v[70:73], v[70:71], off
	v_lshlrev_b64 v[74:75], 4, v[20:21]
	v_add_nc_u32_e32 v21, 4, v78
	v_add_nc_u32_e32 v20, 0x140, v20
	v_lshlrev_b64 v[81:82], 4, v[21:22]
	v_add_co_u32 v79, vcc_lo, s12, v74
	v_add_co_ci_u32_e64 v80, null, s13, v75, vcc_lo
	v_add_co_u32 v83, vcc_lo, s14, v81
	v_add_co_ci_u32_e64 v84, null, s15, v82, vcc_lo
	s_clause 0x1
	global_load_dwordx4 v[74:77], v[79:80], off offset:16
	global_load_dwordx4 v[78:81], v[79:80], off
	global_load_dwordx4 v[82:85], v[83:84], off
	v_cmp_ge_i32_e32 vcc_lo, v23, v25
	s_or_b32 s3, vcc_lo, s3
	s_waitcnt vmcnt(12)
	v_fma_f64 v[13:14], v[30:31], v[34:35], v[14:15]
	v_fma_f64 v[10:11], v[32:33], v[34:35], v[10:11]
	v_fma_f64 v[15:16], v[26:27], v[34:35], v[16:17]
	v_fma_f64 v[17:18], v[28:29], v[34:35], v[18:19]
	v_fma_f64 v[13:14], -v[32:33], v[36:37], v[13:14]
	v_fma_f64 v[10:11], v[30:31], v[36:37], v[10:11]
	v_fma_f64 v[15:16], -v[28:29], v[36:37], v[15:16]
	v_fma_f64 v[17:18], v[26:27], v[36:37], v[17:18]
	s_waitcnt vmcnt(9)
	v_fma_f64 v[13:14], v[42:43], v[46:47], v[13:14]
	v_fma_f64 v[10:11], v[44:45], v[46:47], v[10:11]
	v_fma_f64 v[15:16], v[38:39], v[46:47], v[15:16]
	v_fma_f64 v[17:18], v[40:41], v[46:47], v[17:18]
	v_fma_f64 v[13:14], -v[44:45], v[48:49], v[13:14]
	v_fma_f64 v[10:11], v[42:43], v[48:49], v[10:11]
	v_fma_f64 v[15:16], -v[40:41], v[48:49], v[15:16]
	v_fma_f64 v[17:18], v[38:39], v[48:49], v[17:18]
	s_waitcnt vmcnt(6)
	v_fma_f64 v[13:14], v[54:55], v[58:59], v[13:14]
	v_fma_f64 v[10:11], v[56:57], v[58:59], v[10:11]
	v_fma_f64 v[15:16], v[50:51], v[58:59], v[15:16]
	v_fma_f64 v[17:18], v[52:53], v[58:59], v[17:18]
	v_fma_f64 v[13:14], -v[56:57], v[60:61], v[13:14]
	v_fma_f64 v[10:11], v[54:55], v[60:61], v[10:11]
	v_fma_f64 v[15:16], -v[52:53], v[60:61], v[15:16]
	v_fma_f64 v[17:18], v[50:51], v[60:61], v[17:18]
	s_waitcnt vmcnt(3)
	v_fma_f64 v[13:14], v[66:67], v[70:71], v[13:14]
	v_fma_f64 v[10:11], v[68:69], v[70:71], v[10:11]
	v_fma_f64 v[15:16], v[62:63], v[70:71], v[15:16]
	v_fma_f64 v[17:18], v[64:65], v[70:71], v[17:18]
	v_fma_f64 v[13:14], -v[68:69], v[72:73], v[13:14]
	v_fma_f64 v[10:11], v[66:67], v[72:73], v[10:11]
	v_fma_f64 v[15:16], -v[64:65], v[72:73], v[15:16]
	v_fma_f64 v[17:18], v[62:63], v[72:73], v[17:18]
	s_waitcnt vmcnt(0)
	v_fma_f64 v[13:14], v[78:79], v[82:83], v[13:14]
	v_fma_f64 v[10:11], v[80:81], v[82:83], v[10:11]
	v_fma_f64 v[26:27], v[74:75], v[82:83], v[15:16]
	v_fma_f64 v[18:19], v[76:77], v[82:83], v[17:18]
	v_fma_f64 v[14:15], -v[80:81], v[84:85], v[13:14]
	v_fma_f64 v[10:11], v[78:79], v[84:85], v[10:11]
	v_fma_f64 v[16:17], -v[76:77], v[84:85], v[26:27]
	v_fma_f64 v[18:19], v[74:75], v[84:85], v[18:19]
	s_andn2_b32 exec_lo, exec_lo, s3
	s_cbranch_execnz .LBB246_7
; %bb.8:
	s_or_b32 exec_lo, exec_lo, s3
.LBB246_9:
	s_or_b32 exec_lo, exec_lo, s1
	s_cbranch_execz .LBB246_11
	s_branch .LBB246_16
.LBB246_10:
                                        ; implicit-def: $vgpr10_vgpr11
                                        ; implicit-def: $vgpr14_vgpr15
                                        ; implicit-def: $vgpr16_vgpr17
                                        ; implicit-def: $vgpr18_vgpr19
.LBB246_11:
	v_mov_b32_e32 v10, 0
	v_mov_b32_e32 v14, 0
	;; [unrolled: 1-line block ×8, first 2 shown]
	s_and_saveexec_b32 s1, s0
	s_cbranch_execz .LBB246_15
; %bb.12:
	v_mad_u64_u32 v[20:21], null, v12, 10, 9
	v_mov_b32_e32 v10, 0
	v_mov_b32_e32 v14, 0
	;; [unrolled: 1-line block ×9, first 2 shown]
	s_mov_b32 s0, 0
.LBB246_13:                             ; =>This Inner Loop Header: Depth=1
	v_ashrrev_i32_e32 v13, 31, v12
	v_add_nc_u32_e32 v21, -9, v20
	v_mov_b32_e32 v79, v22
	v_lshlrev_b64 v[23:24], 2, v[12:13]
	v_lshlrev_b64 v[26:27], 4, v[21:22]
	v_add_nc_u32_e32 v12, 32, v12
	v_add_co_u32 v23, vcc_lo, s10, v23
	v_add_co_ci_u32_e64 v24, null, s11, v24, vcc_lo
	v_add_co_u32 v30, vcc_lo, s12, v26
	v_add_co_ci_u32_e64 v31, null, s13, v27, vcc_lo
	global_load_dword v13, v[23:24], off
	v_add_nc_u32_e32 v23, -4, v20
	v_mov_b32_e32 v24, v22
	s_clause 0x1
	global_load_dwordx4 v[26:29], v[30:31], off offset:16
	global_load_dwordx4 v[30:33], v[30:31], off
	v_lshlrev_b64 v[23:24], 4, v[23:24]
	v_add_co_u32 v23, vcc_lo, s12, v23
	v_add_co_ci_u32_e64 v24, null, s13, v24, vcc_lo
	s_waitcnt vmcnt(2)
	v_subrev_nc_u32_e32 v13, s2, v13
	v_lshl_add_u32 v78, v13, 2, v13
	v_lshlrev_b64 v[34:35], 4, v[78:79]
	v_add_nc_u32_e32 v21, 1, v78
	v_add_co_u32 v38, vcc_lo, s14, v34
	v_add_co_ci_u32_e64 v39, null, s15, v35, vcc_lo
	global_load_dwordx4 v[34:37], v[23:24], off
	global_load_dwordx4 v[38:41], v[38:39], off
	v_lshlrev_b64 v[23:24], 4, v[21:22]
	v_add_nc_u32_e32 v21, -3, v20
	v_lshlrev_b64 v[42:43], 4, v[21:22]
	v_add_co_u32 v23, vcc_lo, s14, v23
	v_add_co_ci_u32_e64 v24, null, s15, v24, vcc_lo
	v_add_nc_u32_e32 v21, -7, v20
	v_add_co_u32 v46, vcc_lo, s12, v42
	v_add_co_ci_u32_e64 v47, null, s13, v43, vcc_lo
	global_load_dwordx4 v[42:45], v[23:24], off
	global_load_dwordx4 v[46:49], v[46:47], off
	v_lshlrev_b64 v[23:24], 4, v[21:22]
	v_add_nc_u32_e32 v21, 2, v78
	v_lshlrev_b64 v[50:51], 4, v[21:22]
	v_add_nc_u32_e32 v21, -2, v20
	v_add_co_u32 v23, vcc_lo, s12, v23
	v_add_co_ci_u32_e64 v24, null, s13, v24, vcc_lo
	v_lshlrev_b64 v[52:53], 4, v[21:22]
	v_add_co_u32 v54, vcc_lo, s14, v50
	v_add_co_ci_u32_e64 v55, null, s15, v51, vcc_lo
	v_add_nc_u32_e32 v21, -6, v20
	v_add_co_u32 v58, vcc_lo, s12, v52
	v_add_co_ci_u32_e64 v59, null, s13, v53, vcc_lo
	global_load_dwordx4 v[50:53], v[23:24], off
	global_load_dwordx4 v[54:57], v[54:55], off
	global_load_dwordx4 v[58:61], v[58:59], off
	v_lshlrev_b64 v[23:24], 4, v[21:22]
	v_add_nc_u32_e32 v21, 3, v78
	v_lshlrev_b64 v[62:63], 4, v[21:22]
	v_add_nc_u32_e32 v21, -1, v20
	v_add_co_u32 v23, vcc_lo, s12, v23
	v_add_co_ci_u32_e64 v24, null, s13, v24, vcc_lo
	v_lshlrev_b64 v[66:67], 4, v[21:22]
	v_add_co_u32 v68, vcc_lo, s14, v62
	v_add_co_ci_u32_e64 v69, null, s15, v63, vcc_lo
	global_load_dwordx4 v[62:65], v[23:24], off
	v_add_co_u32 v23, vcc_lo, s12, v66
	v_add_co_ci_u32_e64 v24, null, s13, v67, vcc_lo
	global_load_dwordx4 v[66:69], v[68:69], off
	global_load_dwordx4 v[70:73], v[23:24], off
	v_mov_b32_e32 v21, v22
	v_lshlrev_b64 v[23:24], 4, v[20:21]
	v_add_nc_u32_e32 v21, -5, v20
	v_add_nc_u32_e32 v20, 0x140, v20
	v_add_co_u32 v23, vcc_lo, s12, v23
	v_add_co_ci_u32_e64 v24, null, s13, v24, vcc_lo
	global_load_dwordx4 v[74:77], v[23:24], off
	v_lshlrev_b64 v[23:24], 4, v[21:22]
	v_add_nc_u32_e32 v21, 4, v78
	v_lshlrev_b64 v[78:79], 4, v[21:22]
	v_add_co_u32 v23, vcc_lo, s12, v23
	v_add_co_ci_u32_e64 v24, null, s13, v24, vcc_lo
	v_add_co_u32 v82, vcc_lo, s14, v78
	v_add_co_ci_u32_e64 v83, null, s15, v79, vcc_lo
	global_load_dwordx4 v[78:81], v[23:24], off
	global_load_dwordx4 v[82:85], v[82:83], off
	v_cmp_ge_i32_e32 vcc_lo, v12, v25
	s_or_b32 s0, vcc_lo, s0
	s_waitcnt vmcnt(11)
	v_fma_f64 v[13:14], v[30:31], v[38:39], v[14:15]
	v_fma_f64 v[10:11], v[32:33], v[38:39], v[10:11]
	;; [unrolled: 1-line block ×4, first 2 shown]
	v_fma_f64 v[13:14], -v[32:33], v[40:41], v[13:14]
	v_fma_f64 v[10:11], v[30:31], v[40:41], v[10:11]
	v_fma_f64 v[15:16], -v[36:37], v[40:41], v[15:16]
	v_fma_f64 v[17:18], v[34:35], v[40:41], v[17:18]
	s_waitcnt vmcnt(10)
	v_fma_f64 v[13:14], v[26:27], v[42:43], v[13:14]
	v_fma_f64 v[10:11], v[28:29], v[42:43], v[10:11]
	s_waitcnt vmcnt(9)
	v_fma_f64 v[15:16], v[46:47], v[42:43], v[15:16]
	v_fma_f64 v[17:18], v[48:49], v[42:43], v[17:18]
	v_fma_f64 v[13:14], -v[28:29], v[44:45], v[13:14]
	v_fma_f64 v[10:11], v[26:27], v[44:45], v[10:11]
	v_fma_f64 v[15:16], -v[48:49], v[44:45], v[15:16]
	v_fma_f64 v[17:18], v[46:47], v[44:45], v[17:18]
	s_waitcnt vmcnt(7)
	v_fma_f64 v[13:14], v[50:51], v[54:55], v[13:14]
	v_fma_f64 v[10:11], v[52:53], v[54:55], v[10:11]
	s_waitcnt vmcnt(6)
	v_fma_f64 v[15:16], v[58:59], v[54:55], v[15:16]
	v_fma_f64 v[17:18], v[60:61], v[54:55], v[17:18]
	;; [unrolled: 10-line block ×3, first 2 shown]
	v_fma_f64 v[13:14], -v[64:65], v[68:69], v[13:14]
	v_fma_f64 v[10:11], v[62:63], v[68:69], v[10:11]
	v_fma_f64 v[15:16], -v[72:73], v[68:69], v[15:16]
	v_fma_f64 v[17:18], v[70:71], v[68:69], v[17:18]
	s_waitcnt vmcnt(0)
	v_fma_f64 v[13:14], v[78:79], v[82:83], v[13:14]
	v_fma_f64 v[10:11], v[80:81], v[82:83], v[10:11]
	;; [unrolled: 1-line block ×4, first 2 shown]
	v_fma_f64 v[14:15], -v[80:81], v[84:85], v[13:14]
	v_fma_f64 v[10:11], v[78:79], v[84:85], v[10:11]
	v_fma_f64 v[16:17], -v[76:77], v[84:85], v[23:24]
	v_fma_f64 v[18:19], v[74:75], v[84:85], v[18:19]
	s_andn2_b32 exec_lo, exec_lo, s0
	s_cbranch_execnz .LBB246_13
; %bb.14:
	s_or_b32 exec_lo, exec_lo, s0
.LBB246_15:
	s_or_b32 exec_lo, exec_lo, s1
.LBB246_16:
	v_mbcnt_lo_u32_b32 v26, -1, 0
	v_xor_b32_e32 v12, 16, v26
	v_cmp_gt_i32_e32 vcc_lo, 32, v12
	v_cndmask_b32_e32 v12, v26, v12, vcc_lo
	v_lshlrev_b32_e32 v25, 2, v12
	ds_bpermute_b32 v12, v25, v14
	ds_bpermute_b32 v13, v25, v15
	;; [unrolled: 1-line block ×8, first 2 shown]
	s_waitcnt lgkmcnt(6)
	v_add_f64 v[12:13], v[14:15], v[12:13]
	s_waitcnt lgkmcnt(4)
	v_add_f64 v[10:11], v[10:11], v[20:21]
	v_xor_b32_e32 v20, 8, v26
	s_waitcnt lgkmcnt(2)
	v_add_f64 v[14:15], v[16:17], v[22:23]
	s_waitcnt lgkmcnt(0)
	v_add_f64 v[16:17], v[18:19], v[24:25]
	v_cmp_gt_i32_e32 vcc_lo, 32, v20
	v_cndmask_b32_e32 v18, v26, v20, vcc_lo
	v_lshlrev_b32_e32 v25, 2, v18
	ds_bpermute_b32 v18, v25, v12
	ds_bpermute_b32 v19, v25, v13
	;; [unrolled: 1-line block ×8, first 2 shown]
	s_waitcnt lgkmcnt(6)
	v_add_f64 v[12:13], v[12:13], v[18:19]
	v_xor_b32_e32 v18, 4, v26
	s_waitcnt lgkmcnt(4)
	v_add_f64 v[10:11], v[10:11], v[20:21]
	s_waitcnt lgkmcnt(2)
	v_add_f64 v[14:15], v[14:15], v[22:23]
	;; [unrolled: 2-line block ×3, first 2 shown]
	v_cmp_gt_i32_e32 vcc_lo, 32, v18
	v_cndmask_b32_e32 v18, v26, v18, vcc_lo
	v_lshlrev_b32_e32 v25, 2, v18
	ds_bpermute_b32 v18, v25, v12
	ds_bpermute_b32 v19, v25, v13
	;; [unrolled: 1-line block ×8, first 2 shown]
	s_waitcnt lgkmcnt(6)
	v_add_f64 v[12:13], v[12:13], v[18:19]
	s_waitcnt lgkmcnt(4)
	v_add_f64 v[18:19], v[10:11], v[20:21]
	v_xor_b32_e32 v10, 2, v26
	s_waitcnt lgkmcnt(2)
	v_add_f64 v[14:15], v[14:15], v[22:23]
	s_waitcnt lgkmcnt(0)
	v_add_f64 v[20:21], v[16:17], v[24:25]
	v_cmp_gt_i32_e32 vcc_lo, 32, v10
	v_cndmask_b32_e32 v10, v26, v10, vcc_lo
	v_lshlrev_b32_e32 v25, 2, v10
	ds_bpermute_b32 v10, v25, v12
	ds_bpermute_b32 v11, v25, v13
	;; [unrolled: 1-line block ×8, first 2 shown]
	s_waitcnt lgkmcnt(6)
	v_add_f64 v[10:11], v[12:13], v[10:11]
	s_waitcnt lgkmcnt(4)
	v_add_f64 v[16:17], v[18:19], v[16:17]
	v_xor_b32_e32 v18, 1, v26
	s_waitcnt lgkmcnt(2)
	v_add_f64 v[12:13], v[14:15], v[22:23]
	s_waitcnt lgkmcnt(0)
	v_add_f64 v[14:15], v[20:21], v[24:25]
	v_cmp_gt_i32_e32 vcc_lo, 32, v18
	v_cndmask_b32_e32 v18, v26, v18, vcc_lo
	v_cmp_eq_u32_e32 vcc_lo, 31, v0
	v_lshlrev_b32_e32 v21, 2, v18
	ds_bpermute_b32 v24, v21, v10
	ds_bpermute_b32 v25, v21, v11
	;; [unrolled: 1-line block ×8, first 2 shown]
	s_and_b32 exec_lo, exec_lo, vcc_lo
	s_cbranch_execz .LBB246_21
; %bb.17:
	v_cmp_eq_f64_e32 vcc_lo, 0, v[5:6]
	v_cmp_eq_f64_e64 s0, 0, v[7:8]
	s_waitcnt lgkmcnt(6)
	v_add_f64 v[10:11], v[10:11], v[24:25]
	s_waitcnt lgkmcnt(4)
	v_add_f64 v[16:17], v[16:17], v[22:23]
	;; [unrolled: 2-line block ×4, first 2 shown]
	s_load_dwordx2 s[2:3], s[4:5], 0x48
	s_and_b32 s0, vcc_lo, s0
	s_and_saveexec_b32 s1, s0
	s_xor_b32 s0, exec_lo, s1
	s_cbranch_execz .LBB246_19
; %bb.18:
	v_mul_f64 v[5:6], v[16:17], -v[3:4]
	v_mul_f64 v[7:8], v[1:2], v[16:17]
	v_mul_f64 v[16:17], v[14:15], -v[3:4]
	v_mul_f64 v[14:15], v[1:2], v[14:15]
	v_lshlrev_b32_e32 v9, 1, v9
	v_fma_f64 v[5:6], v[1:2], v[10:11], v[5:6]
	v_fma_f64 v[7:8], v[3:4], v[10:11], v[7:8]
	;; [unrolled: 1-line block ×4, first 2 shown]
	v_ashrrev_i32_e32 v10, 31, v9
                                        ; implicit-def: $vgpr16_vgpr17
                                        ; implicit-def: $vgpr12_vgpr13
                                        ; implicit-def: $vgpr14_vgpr15
	v_lshlrev_b64 v[9:10], 4, v[9:10]
	s_waitcnt lgkmcnt(0)
	v_add_co_u32 v9, vcc_lo, s2, v9
	v_add_co_ci_u32_e64 v10, null, s3, v10, vcc_lo
	global_store_dwordx4 v[9:10], v[5:8], off
	global_store_dwordx4 v[9:10], v[0:3], off offset:16
                                        ; implicit-def: $vgpr9
                                        ; implicit-def: $vgpr10_vgpr11
                                        ; implicit-def: $vgpr7_vgpr8
                                        ; implicit-def: $vgpr3_vgpr4
.LBB246_19:
	s_andn2_saveexec_b32 s0, s0
	s_cbranch_execz .LBB246_21
; %bb.20:
	v_lshlrev_b32_e32 v18, 1, v9
	v_mul_f64 v[28:29], v[16:17], -v[3:4]
	v_mul_f64 v[16:17], v[1:2], v[16:17]
	v_mul_f64 v[30:31], v[14:15], -v[3:4]
	v_mul_f64 v[14:15], v[1:2], v[14:15]
	v_ashrrev_i32_e32 v19, 31, v18
	v_lshlrev_b64 v[18:19], 4, v[18:19]
	s_waitcnt lgkmcnt(0)
	v_add_co_u32 v26, vcc_lo, s2, v18
	v_add_co_ci_u32_e64 v27, null, s3, v19, vcc_lo
	s_clause 0x1
	global_load_dwordx4 v[18:21], v[26:27], off
	global_load_dwordx4 v[22:25], v[26:27], off offset:16
	v_fma_f64 v[28:29], v[1:2], v[10:11], v[28:29]
	v_fma_f64 v[9:10], v[3:4], v[10:11], v[16:17]
	;; [unrolled: 1-line block ×4, first 2 shown]
	s_waitcnt vmcnt(1)
	v_fma_f64 v[11:12], v[5:6], v[18:19], v[28:29]
	v_fma_f64 v[9:10], v[7:8], v[18:19], v[9:10]
	s_waitcnt vmcnt(0)
	v_fma_f64 v[13:14], v[5:6], v[22:23], v[0:1]
	v_fma_f64 v[15:16], v[7:8], v[22:23], v[2:3]
	v_fma_f64 v[0:1], -v[7:8], v[20:21], v[11:12]
	v_fma_f64 v[2:3], v[5:6], v[20:21], v[9:10]
	v_fma_f64 v[7:8], -v[7:8], v[24:25], v[13:14]
	v_fma_f64 v[9:10], v[5:6], v[24:25], v[15:16]
	global_store_dwordx4 v[26:27], v[0:3], off
	global_store_dwordx4 v[26:27], v[7:10], off offset:16
.LBB246_21:
	s_endpgm
	.section	.rodata,"a",@progbits
	.p2align	6, 0x0
	.amdhsa_kernel _ZN9rocsparseL19gebsrmvn_2xn_kernelILj128ELj5ELj32E21rocsparse_complex_numIdEEEvi20rocsparse_direction_NS_24const_host_device_scalarIT2_EEPKiS8_PKS5_SA_S6_PS5_21rocsparse_index_base_b
		.amdhsa_group_segment_fixed_size 0
		.amdhsa_private_segment_fixed_size 0
		.amdhsa_kernarg_size 88
		.amdhsa_user_sgpr_count 6
		.amdhsa_user_sgpr_private_segment_buffer 1
		.amdhsa_user_sgpr_dispatch_ptr 0
		.amdhsa_user_sgpr_queue_ptr 0
		.amdhsa_user_sgpr_kernarg_segment_ptr 1
		.amdhsa_user_sgpr_dispatch_id 0
		.amdhsa_user_sgpr_flat_scratch_init 0
		.amdhsa_user_sgpr_private_segment_size 0
		.amdhsa_wavefront_size32 1
		.amdhsa_uses_dynamic_stack 0
		.amdhsa_system_sgpr_private_segment_wavefront_offset 0
		.amdhsa_system_sgpr_workgroup_id_x 1
		.amdhsa_system_sgpr_workgroup_id_y 0
		.amdhsa_system_sgpr_workgroup_id_z 0
		.amdhsa_system_sgpr_workgroup_info 0
		.amdhsa_system_vgpr_workitem_id 0
		.amdhsa_next_free_vgpr 86
		.amdhsa_next_free_sgpr 16
		.amdhsa_reserve_vcc 1
		.amdhsa_reserve_flat_scratch 0
		.amdhsa_float_round_mode_32 0
		.amdhsa_float_round_mode_16_64 0
		.amdhsa_float_denorm_mode_32 3
		.amdhsa_float_denorm_mode_16_64 3
		.amdhsa_dx10_clamp 1
		.amdhsa_ieee_mode 1
		.amdhsa_fp16_overflow 0
		.amdhsa_workgroup_processor_mode 1
		.amdhsa_memory_ordered 1
		.amdhsa_forward_progress 1
		.amdhsa_shared_vgpr_count 0
		.amdhsa_exception_fp_ieee_invalid_op 0
		.amdhsa_exception_fp_denorm_src 0
		.amdhsa_exception_fp_ieee_div_zero 0
		.amdhsa_exception_fp_ieee_overflow 0
		.amdhsa_exception_fp_ieee_underflow 0
		.amdhsa_exception_fp_ieee_inexact 0
		.amdhsa_exception_int_div_zero 0
	.end_amdhsa_kernel
	.section	.text._ZN9rocsparseL19gebsrmvn_2xn_kernelILj128ELj5ELj32E21rocsparse_complex_numIdEEEvi20rocsparse_direction_NS_24const_host_device_scalarIT2_EEPKiS8_PKS5_SA_S6_PS5_21rocsparse_index_base_b,"axG",@progbits,_ZN9rocsparseL19gebsrmvn_2xn_kernelILj128ELj5ELj32E21rocsparse_complex_numIdEEEvi20rocsparse_direction_NS_24const_host_device_scalarIT2_EEPKiS8_PKS5_SA_S6_PS5_21rocsparse_index_base_b,comdat
.Lfunc_end246:
	.size	_ZN9rocsparseL19gebsrmvn_2xn_kernelILj128ELj5ELj32E21rocsparse_complex_numIdEEEvi20rocsparse_direction_NS_24const_host_device_scalarIT2_EEPKiS8_PKS5_SA_S6_PS5_21rocsparse_index_base_b, .Lfunc_end246-_ZN9rocsparseL19gebsrmvn_2xn_kernelILj128ELj5ELj32E21rocsparse_complex_numIdEEEvi20rocsparse_direction_NS_24const_host_device_scalarIT2_EEPKiS8_PKS5_SA_S6_PS5_21rocsparse_index_base_b
                                        ; -- End function
	.set _ZN9rocsparseL19gebsrmvn_2xn_kernelILj128ELj5ELj32E21rocsparse_complex_numIdEEEvi20rocsparse_direction_NS_24const_host_device_scalarIT2_EEPKiS8_PKS5_SA_S6_PS5_21rocsparse_index_base_b.num_vgpr, 86
	.set _ZN9rocsparseL19gebsrmvn_2xn_kernelILj128ELj5ELj32E21rocsparse_complex_numIdEEEvi20rocsparse_direction_NS_24const_host_device_scalarIT2_EEPKiS8_PKS5_SA_S6_PS5_21rocsparse_index_base_b.num_agpr, 0
	.set _ZN9rocsparseL19gebsrmvn_2xn_kernelILj128ELj5ELj32E21rocsparse_complex_numIdEEEvi20rocsparse_direction_NS_24const_host_device_scalarIT2_EEPKiS8_PKS5_SA_S6_PS5_21rocsparse_index_base_b.numbered_sgpr, 16
	.set _ZN9rocsparseL19gebsrmvn_2xn_kernelILj128ELj5ELj32E21rocsparse_complex_numIdEEEvi20rocsparse_direction_NS_24const_host_device_scalarIT2_EEPKiS8_PKS5_SA_S6_PS5_21rocsparse_index_base_b.num_named_barrier, 0
	.set _ZN9rocsparseL19gebsrmvn_2xn_kernelILj128ELj5ELj32E21rocsparse_complex_numIdEEEvi20rocsparse_direction_NS_24const_host_device_scalarIT2_EEPKiS8_PKS5_SA_S6_PS5_21rocsparse_index_base_b.private_seg_size, 0
	.set _ZN9rocsparseL19gebsrmvn_2xn_kernelILj128ELj5ELj32E21rocsparse_complex_numIdEEEvi20rocsparse_direction_NS_24const_host_device_scalarIT2_EEPKiS8_PKS5_SA_S6_PS5_21rocsparse_index_base_b.uses_vcc, 1
	.set _ZN9rocsparseL19gebsrmvn_2xn_kernelILj128ELj5ELj32E21rocsparse_complex_numIdEEEvi20rocsparse_direction_NS_24const_host_device_scalarIT2_EEPKiS8_PKS5_SA_S6_PS5_21rocsparse_index_base_b.uses_flat_scratch, 0
	.set _ZN9rocsparseL19gebsrmvn_2xn_kernelILj128ELj5ELj32E21rocsparse_complex_numIdEEEvi20rocsparse_direction_NS_24const_host_device_scalarIT2_EEPKiS8_PKS5_SA_S6_PS5_21rocsparse_index_base_b.has_dyn_sized_stack, 0
	.set _ZN9rocsparseL19gebsrmvn_2xn_kernelILj128ELj5ELj32E21rocsparse_complex_numIdEEEvi20rocsparse_direction_NS_24const_host_device_scalarIT2_EEPKiS8_PKS5_SA_S6_PS5_21rocsparse_index_base_b.has_recursion, 0
	.set _ZN9rocsparseL19gebsrmvn_2xn_kernelILj128ELj5ELj32E21rocsparse_complex_numIdEEEvi20rocsparse_direction_NS_24const_host_device_scalarIT2_EEPKiS8_PKS5_SA_S6_PS5_21rocsparse_index_base_b.has_indirect_call, 0
	.section	.AMDGPU.csdata,"",@progbits
; Kernel info:
; codeLenInByte = 3312
; TotalNumSgprs: 18
; NumVgprs: 86
; ScratchSize: 0
; MemoryBound: 0
; FloatMode: 240
; IeeeMode: 1
; LDSByteSize: 0 bytes/workgroup (compile time only)
; SGPRBlocks: 0
; VGPRBlocks: 10
; NumSGPRsForWavesPerEU: 18
; NumVGPRsForWavesPerEU: 86
; Occupancy: 10
; WaveLimiterHint : 1
; COMPUTE_PGM_RSRC2:SCRATCH_EN: 0
; COMPUTE_PGM_RSRC2:USER_SGPR: 6
; COMPUTE_PGM_RSRC2:TRAP_HANDLER: 0
; COMPUTE_PGM_RSRC2:TGID_X_EN: 1
; COMPUTE_PGM_RSRC2:TGID_Y_EN: 0
; COMPUTE_PGM_RSRC2:TGID_Z_EN: 0
; COMPUTE_PGM_RSRC2:TIDIG_COMP_CNT: 0
	.section	.text._ZN9rocsparseL19gebsrmvn_2xn_kernelILj128ELj5ELj64E21rocsparse_complex_numIdEEEvi20rocsparse_direction_NS_24const_host_device_scalarIT2_EEPKiS8_PKS5_SA_S6_PS5_21rocsparse_index_base_b,"axG",@progbits,_ZN9rocsparseL19gebsrmvn_2xn_kernelILj128ELj5ELj64E21rocsparse_complex_numIdEEEvi20rocsparse_direction_NS_24const_host_device_scalarIT2_EEPKiS8_PKS5_SA_S6_PS5_21rocsparse_index_base_b,comdat
	.globl	_ZN9rocsparseL19gebsrmvn_2xn_kernelILj128ELj5ELj64E21rocsparse_complex_numIdEEEvi20rocsparse_direction_NS_24const_host_device_scalarIT2_EEPKiS8_PKS5_SA_S6_PS5_21rocsparse_index_base_b ; -- Begin function _ZN9rocsparseL19gebsrmvn_2xn_kernelILj128ELj5ELj64E21rocsparse_complex_numIdEEEvi20rocsparse_direction_NS_24const_host_device_scalarIT2_EEPKiS8_PKS5_SA_S6_PS5_21rocsparse_index_base_b
	.p2align	8
	.type	_ZN9rocsparseL19gebsrmvn_2xn_kernelILj128ELj5ELj64E21rocsparse_complex_numIdEEEvi20rocsparse_direction_NS_24const_host_device_scalarIT2_EEPKiS8_PKS5_SA_S6_PS5_21rocsparse_index_base_b,@function
_ZN9rocsparseL19gebsrmvn_2xn_kernelILj128ELj5ELj64E21rocsparse_complex_numIdEEEvi20rocsparse_direction_NS_24const_host_device_scalarIT2_EEPKiS8_PKS5_SA_S6_PS5_21rocsparse_index_base_b: ; @_ZN9rocsparseL19gebsrmvn_2xn_kernelILj128ELj5ELj64E21rocsparse_complex_numIdEEEvi20rocsparse_direction_NS_24const_host_device_scalarIT2_EEPKiS8_PKS5_SA_S6_PS5_21rocsparse_index_base_b
; %bb.0:
	s_clause 0x1
	s_load_dwordx2 s[2:3], s[4:5], 0x50
	s_load_dwordx2 s[0:1], s[4:5], 0x8
	s_add_u32 s7, s4, 8
	s_addc_u32 s10, s5, 0
	s_add_u32 s11, s4, 56
	s_addc_u32 s12, s5, 0
	s_load_dwordx2 s[8:9], s[4:5], 0x38
	s_waitcnt lgkmcnt(0)
	s_bitcmp1_b32 s3, 0
	s_cselect_b32 s0, s7, s0
	s_cselect_b32 s1, s10, s1
	v_mov_b32_e32 v1, s0
	v_mov_b32_e32 v2, s1
	s_cselect_b32 s0, s11, s8
	s_cselect_b32 s1, s12, s9
	v_mov_b32_e32 v5, s0
	v_mov_b32_e32 v6, s1
	flat_load_dwordx4 v[1:4], v[1:2]
	flat_load_dwordx4 v[5:8], v[5:6]
	s_waitcnt vmcnt(1) lgkmcnt(1)
	v_cmp_eq_f64_e32 vcc_lo, 0, v[1:2]
	v_cmp_eq_f64_e64 s0, 0, v[3:4]
	s_and_b32 s3, vcc_lo, s0
	s_mov_b32 s0, -1
	s_and_saveexec_b32 s1, s3
	s_cbranch_execz .LBB247_2
; %bb.1:
	s_waitcnt vmcnt(0) lgkmcnt(0)
	v_cmp_neq_f64_e32 vcc_lo, 1.0, v[5:6]
	v_cmp_neq_f64_e64 s0, 0, v[7:8]
	s_or_b32 s0, vcc_lo, s0
	s_orn2_b32 s0, s0, exec_lo
.LBB247_2:
	s_or_b32 exec_lo, exec_lo, s1
	s_and_saveexec_b32 s1, s0
	s_cbranch_execz .LBB247_21
; %bb.3:
	s_load_dwordx2 s[0:1], s[4:5], 0x0
	v_lshrrev_b32_e32 v9, 6, v0
	v_lshl_or_b32 v9, s6, 1, v9
	s_waitcnt lgkmcnt(0)
	v_cmp_gt_i32_e32 vcc_lo, s0, v9
	s_and_b32 exec_lo, exec_lo, vcc_lo
	s_cbranch_execz .LBB247_21
; %bb.4:
	s_load_dwordx8 s[8:15], s[4:5], 0x18
	v_ashrrev_i32_e32 v10, 31, v9
	v_and_b32_e32 v0, 63, v0
	s_cmp_lg_u32 s1, 0
	v_lshlrev_b64 v[10:11], 2, v[9:10]
	s_waitcnt lgkmcnt(0)
	v_add_co_u32 v10, vcc_lo, s8, v10
	v_add_co_ci_u32_e64 v11, null, s9, v11, vcc_lo
	global_load_dwordx2 v[10:11], v[10:11], off
	s_waitcnt vmcnt(0)
	v_subrev_nc_u32_e32 v10, s2, v10
	v_subrev_nc_u32_e32 v24, s2, v11
	v_add_nc_u32_e32 v18, v10, v0
	v_cmp_lt_i32_e64 s0, v18, v24
	s_cbranch_scc0 .LBB247_10
; %bb.5:
	v_mov_b32_e32 v10, 0
	v_mov_b32_e32 v12, 0
	;; [unrolled: 1-line block ×8, first 2 shown]
	s_and_saveexec_b32 s1, s0
	s_cbranch_execz .LBB247_9
; %bb.6:
	v_mad_u64_u32 v[19:20], null, v18, 10, 8
	v_mov_b32_e32 v10, 0
	v_mov_b32_e32 v12, 0
	v_mov_b32_e32 v14, 0
	v_mov_b32_e32 v16, 0
	v_mov_b32_e32 v11, 0
	v_mov_b32_e32 v21, 0
	v_mov_b32_e32 v13, 0
	v_mov_b32_e32 v15, 0
	v_mov_b32_e32 v17, 0
	v_mov_b32_e32 v22, v18
	s_mov_b32 s3, 0
.LBB247_7:                              ; =>This Inner Loop Header: Depth=1
	v_ashrrev_i32_e32 v23, 31, v22
	v_add_nc_u32_e32 v20, -8, v19
	v_mov_b32_e32 v78, v21
	v_lshlrev_b64 v[25:26], 2, v[22:23]
	v_add_nc_u32_e32 v22, 64, v22
	v_add_co_u32 v25, vcc_lo, s10, v25
	v_add_co_ci_u32_e64 v26, null, s11, v26, vcc_lo
	global_load_dword v23, v[25:26], off
	v_lshlrev_b64 v[25:26], 4, v[20:21]
	v_add_co_u32 v29, vcc_lo, s12, v25
	v_add_co_ci_u32_e64 v30, null, s13, v26, vcc_lo
	global_load_dwordx4 v[25:28], v[29:30], off offset:16
	s_waitcnt vmcnt(1)
	v_subrev_nc_u32_e32 v20, s2, v23
	v_lshl_add_u32 v77, v20, 2, v20
	v_add_nc_u32_e32 v20, -6, v19
	v_lshlrev_b64 v[31:32], 4, v[77:78]
	v_lshlrev_b64 v[37:38], 4, v[20:21]
	v_add_nc_u32_e32 v20, 1, v77
	v_add_co_u32 v33, vcc_lo, s14, v31
	v_add_co_ci_u32_e64 v34, null, s15, v32, vcc_lo
	v_lshlrev_b64 v[43:44], 4, v[20:21]
	v_add_co_u32 v41, vcc_lo, s12, v37
	global_load_dwordx4 v[29:32], v[29:30], off
	global_load_dwordx4 v[33:36], v[33:34], off
	v_add_co_ci_u32_e64 v42, null, s13, v38, vcc_lo
	v_add_co_u32 v45, vcc_lo, s14, v43
	v_add_co_ci_u32_e64 v46, null, s15, v44, vcc_lo
	s_clause 0x1
	global_load_dwordx4 v[37:40], v[41:42], off offset:16
	global_load_dwordx4 v[41:44], v[41:42], off
	global_load_dwordx4 v[45:48], v[45:46], off
	v_add_nc_u32_e32 v20, -4, v19
	v_lshlrev_b64 v[49:50], 4, v[20:21]
	v_add_nc_u32_e32 v20, 2, v77
	v_lshlrev_b64 v[51:52], 4, v[20:21]
	v_add_co_u32 v53, vcc_lo, s12, v49
	v_add_co_ci_u32_e64 v54, null, s13, v50, vcc_lo
	v_add_nc_u32_e32 v20, -2, v19
	v_add_co_u32 v57, vcc_lo, s14, v51
	v_add_co_ci_u32_e64 v58, null, s15, v52, vcc_lo
	s_clause 0x1
	global_load_dwordx4 v[49:52], v[53:54], off offset:16
	global_load_dwordx4 v[53:56], v[53:54], off
	global_load_dwordx4 v[57:60], v[57:58], off
	v_lshlrev_b64 v[61:62], 4, v[20:21]
	v_add_nc_u32_e32 v20, 3, v77
	v_lshlrev_b64 v[63:64], 4, v[20:21]
	v_add_co_u32 v65, vcc_lo, s12, v61
	v_add_co_ci_u32_e64 v66, null, s13, v62, vcc_lo
	v_mov_b32_e32 v20, v21
	v_add_co_u32 v69, vcc_lo, s14, v63
	v_add_co_ci_u32_e64 v70, null, s15, v64, vcc_lo
	s_clause 0x1
	global_load_dwordx4 v[61:64], v[65:66], off offset:16
	global_load_dwordx4 v[65:68], v[65:66], off
	global_load_dwordx4 v[69:72], v[69:70], off
	v_lshlrev_b64 v[73:74], 4, v[19:20]
	v_add_nc_u32_e32 v20, 4, v77
	v_add_nc_u32_e32 v19, 0x280, v19
	v_lshlrev_b64 v[80:81], 4, v[20:21]
	v_add_co_u32 v78, vcc_lo, s12, v73
	v_add_co_ci_u32_e64 v79, null, s13, v74, vcc_lo
	v_add_co_u32 v82, vcc_lo, s14, v80
	v_add_co_ci_u32_e64 v83, null, s15, v81, vcc_lo
	s_clause 0x1
	global_load_dwordx4 v[73:76], v[78:79], off offset:16
	global_load_dwordx4 v[77:80], v[78:79], off
	global_load_dwordx4 v[81:84], v[82:83], off
	v_cmp_ge_i32_e32 vcc_lo, v22, v24
	s_or_b32 s3, vcc_lo, s3
	s_waitcnt vmcnt(12)
	v_fma_f64 v[12:13], v[29:30], v[33:34], v[12:13]
	v_fma_f64 v[10:11], v[31:32], v[33:34], v[10:11]
	v_fma_f64 v[14:15], v[25:26], v[33:34], v[14:15]
	v_fma_f64 v[16:17], v[27:28], v[33:34], v[16:17]
	v_fma_f64 v[12:13], -v[31:32], v[35:36], v[12:13]
	v_fma_f64 v[10:11], v[29:30], v[35:36], v[10:11]
	v_fma_f64 v[14:15], -v[27:28], v[35:36], v[14:15]
	v_fma_f64 v[16:17], v[25:26], v[35:36], v[16:17]
	s_waitcnt vmcnt(9)
	v_fma_f64 v[12:13], v[41:42], v[45:46], v[12:13]
	v_fma_f64 v[10:11], v[43:44], v[45:46], v[10:11]
	v_fma_f64 v[14:15], v[37:38], v[45:46], v[14:15]
	v_fma_f64 v[16:17], v[39:40], v[45:46], v[16:17]
	v_fma_f64 v[12:13], -v[43:44], v[47:48], v[12:13]
	v_fma_f64 v[10:11], v[41:42], v[47:48], v[10:11]
	v_fma_f64 v[14:15], -v[39:40], v[47:48], v[14:15]
	v_fma_f64 v[16:17], v[37:38], v[47:48], v[16:17]
	;; [unrolled: 9-line block ×5, first 2 shown]
	s_andn2_b32 exec_lo, exec_lo, s3
	s_cbranch_execnz .LBB247_7
; %bb.8:
	s_or_b32 exec_lo, exec_lo, s3
.LBB247_9:
	s_or_b32 exec_lo, exec_lo, s1
	s_cbranch_execz .LBB247_11
	s_branch .LBB247_16
.LBB247_10:
                                        ; implicit-def: $vgpr10_vgpr11
                                        ; implicit-def: $vgpr12_vgpr13
                                        ; implicit-def: $vgpr14_vgpr15
                                        ; implicit-def: $vgpr16_vgpr17
.LBB247_11:
	v_mov_b32_e32 v10, 0
	v_mov_b32_e32 v12, 0
	;; [unrolled: 1-line block ×8, first 2 shown]
	s_and_saveexec_b32 s1, s0
	s_cbranch_execz .LBB247_15
; %bb.12:
	v_mad_u64_u32 v[20:21], null, v18, 10, 9
	v_mov_b32_e32 v10, 0
	v_mov_b32_e32 v12, 0
	;; [unrolled: 1-line block ×9, first 2 shown]
	s_mov_b32 s0, 0
.LBB247_13:                             ; =>This Inner Loop Header: Depth=1
	v_ashrrev_i32_e32 v19, 31, v18
	v_add_nc_u32_e32 v21, -9, v20
	v_mov_b32_e32 v78, v22
	v_lshlrev_b64 v[25:26], 2, v[18:19]
	v_lshlrev_b64 v[27:28], 4, v[21:22]
	v_add_nc_u32_e32 v18, 64, v18
	v_add_co_u32 v25, vcc_lo, s10, v25
	v_add_co_ci_u32_e64 v26, null, s11, v26, vcc_lo
	v_add_co_u32 v29, vcc_lo, s12, v27
	v_add_co_ci_u32_e64 v30, null, s13, v28, vcc_lo
	global_load_dword v19, v[25:26], off
	v_add_nc_u32_e32 v25, -4, v20
	v_mov_b32_e32 v26, v22
	v_lshlrev_b64 v[25:26], 4, v[25:26]
	v_add_co_u32 v33, vcc_lo, s12, v25
	v_add_co_ci_u32_e64 v34, null, s13, v26, vcc_lo
	s_clause 0x1
	global_load_dwordx4 v[25:28], v[29:30], off offset:16
	global_load_dwordx4 v[29:32], v[29:30], off
	s_waitcnt vmcnt(2)
	v_subrev_nc_u32_e32 v19, s2, v19
	v_lshl_add_u32 v77, v19, 2, v19
	v_lshlrev_b64 v[35:36], 4, v[77:78]
	v_add_nc_u32_e32 v21, 1, v77
	v_lshlrev_b64 v[41:42], 4, v[21:22]
	v_add_co_u32 v37, vcc_lo, s14, v35
	v_add_co_ci_u32_e64 v38, null, s15, v36, vcc_lo
	global_load_dwordx4 v[33:36], v[33:34], off
	global_load_dwordx4 v[37:40], v[37:38], off
	v_add_nc_u32_e32 v21, -3, v20
	v_add_co_u32 v41, vcc_lo, s14, v41
	v_add_co_ci_u32_e64 v42, null, s15, v42, vcc_lo
	v_lshlrev_b64 v[43:44], 4, v[21:22]
	v_add_nc_u32_e32 v21, -7, v20
	v_add_co_u32 v45, vcc_lo, s12, v43
	v_add_co_ci_u32_e64 v46, null, s13, v44, vcc_lo
	global_load_dwordx4 v[41:44], v[41:42], off
	global_load_dwordx4 v[45:48], v[45:46], off
	v_lshlrev_b64 v[49:50], 4, v[21:22]
	v_add_nc_u32_e32 v21, 2, v77
	v_lshlrev_b64 v[51:52], 4, v[21:22]
	v_add_nc_u32_e32 v21, -2, v20
	v_add_co_u32 v49, vcc_lo, s12, v49
	v_add_co_ci_u32_e64 v50, null, s13, v50, vcc_lo
	v_lshlrev_b64 v[53:54], 4, v[21:22]
	v_add_co_u32 v55, vcc_lo, s14, v51
	v_add_co_ci_u32_e64 v56, null, s15, v52, vcc_lo
	v_add_nc_u32_e32 v21, -6, v20
	v_add_co_u32 v57, vcc_lo, s12, v53
	v_add_co_ci_u32_e64 v58, null, s13, v54, vcc_lo
	global_load_dwordx4 v[49:52], v[49:50], off
	global_load_dwordx4 v[53:56], v[55:56], off
	global_load_dwordx4 v[57:60], v[57:58], off
	v_lshlrev_b64 v[61:62], 4, v[21:22]
	v_add_nc_u32_e32 v21, 3, v77
	v_lshlrev_b64 v[63:64], 4, v[21:22]
	v_add_nc_u32_e32 v21, -1, v20
	v_add_co_u32 v61, vcc_lo, s12, v61
	v_add_co_ci_u32_e64 v62, null, s13, v62, vcc_lo
	v_lshlrev_b64 v[65:66], 4, v[21:22]
	v_add_co_u32 v67, vcc_lo, s14, v63
	v_add_co_ci_u32_e64 v68, null, s15, v64, vcc_lo
	global_load_dwordx4 v[61:64], v[61:62], off
	v_add_co_u32 v69, vcc_lo, s12, v65
	v_add_co_ci_u32_e64 v70, null, s13, v66, vcc_lo
	global_load_dwordx4 v[65:68], v[67:68], off
	global_load_dwordx4 v[69:72], v[69:70], off
	v_mov_b32_e32 v21, v22
	v_lshlrev_b64 v[73:74], 4, v[20:21]
	v_add_nc_u32_e32 v21, -5, v20
	v_add_nc_u32_e32 v20, 0x280, v20
	v_lshlrev_b64 v[78:79], 4, v[21:22]
	v_add_nc_u32_e32 v21, 4, v77
	v_add_co_u32 v73, vcc_lo, s12, v73
	v_add_co_ci_u32_e64 v74, null, s13, v74, vcc_lo
	v_lshlrev_b64 v[80:81], 4, v[21:22]
	v_add_co_u32 v77, vcc_lo, s12, v78
	v_add_co_ci_u32_e64 v78, null, s13, v79, vcc_lo
	global_load_dwordx4 v[73:76], v[73:74], off
	v_add_co_u32 v82, vcc_lo, s14, v80
	v_add_co_ci_u32_e64 v83, null, s15, v81, vcc_lo
	global_load_dwordx4 v[77:80], v[77:78], off
	global_load_dwordx4 v[81:84], v[82:83], off
	v_cmp_ge_i32_e32 vcc_lo, v18, v24
	s_or_b32 s0, vcc_lo, s0
	s_waitcnt vmcnt(11)
	v_fma_f64 v[12:13], v[29:30], v[37:38], v[12:13]
	v_fma_f64 v[10:11], v[31:32], v[37:38], v[10:11]
	;; [unrolled: 1-line block ×4, first 2 shown]
	v_fma_f64 v[12:13], -v[31:32], v[39:40], v[12:13]
	v_fma_f64 v[10:11], v[29:30], v[39:40], v[10:11]
	v_fma_f64 v[14:15], -v[35:36], v[39:40], v[14:15]
	v_fma_f64 v[16:17], v[33:34], v[39:40], v[16:17]
	s_waitcnt vmcnt(10)
	v_fma_f64 v[12:13], v[25:26], v[41:42], v[12:13]
	v_fma_f64 v[10:11], v[27:28], v[41:42], v[10:11]
	s_waitcnt vmcnt(9)
	v_fma_f64 v[14:15], v[45:46], v[41:42], v[14:15]
	v_fma_f64 v[16:17], v[47:48], v[41:42], v[16:17]
	v_fma_f64 v[12:13], -v[27:28], v[43:44], v[12:13]
	v_fma_f64 v[10:11], v[25:26], v[43:44], v[10:11]
	v_fma_f64 v[14:15], -v[47:48], v[43:44], v[14:15]
	v_fma_f64 v[16:17], v[45:46], v[43:44], v[16:17]
	s_waitcnt vmcnt(7)
	v_fma_f64 v[12:13], v[49:50], v[53:54], v[12:13]
	v_fma_f64 v[10:11], v[51:52], v[53:54], v[10:11]
	s_waitcnt vmcnt(6)
	v_fma_f64 v[14:15], v[57:58], v[53:54], v[14:15]
	v_fma_f64 v[16:17], v[59:60], v[53:54], v[16:17]
	;; [unrolled: 10-line block ×3, first 2 shown]
	v_fma_f64 v[12:13], -v[63:64], v[67:68], v[12:13]
	v_fma_f64 v[10:11], v[61:62], v[67:68], v[10:11]
	v_fma_f64 v[14:15], -v[71:72], v[67:68], v[14:15]
	v_fma_f64 v[16:17], v[69:70], v[67:68], v[16:17]
	s_waitcnt vmcnt(0)
	v_fma_f64 v[12:13], v[77:78], v[81:82], v[12:13]
	v_fma_f64 v[10:11], v[79:80], v[81:82], v[10:11]
	;; [unrolled: 1-line block ×4, first 2 shown]
	v_fma_f64 v[12:13], -v[79:80], v[83:84], v[12:13]
	v_fma_f64 v[10:11], v[77:78], v[83:84], v[10:11]
	v_fma_f64 v[14:15], -v[75:76], v[83:84], v[14:15]
	v_fma_f64 v[16:17], v[73:74], v[83:84], v[16:17]
	s_andn2_b32 exec_lo, exec_lo, s0
	s_cbranch_execnz .LBB247_13
; %bb.14:
	s_or_b32 exec_lo, exec_lo, s0
.LBB247_15:
	s_or_b32 exec_lo, exec_lo, s1
.LBB247_16:
	v_mbcnt_lo_u32_b32 v26, -1, 0
	v_or_b32_e32 v18, 32, v26
	v_cmp_gt_i32_e32 vcc_lo, 32, v18
	v_cndmask_b32_e32 v18, v26, v18, vcc_lo
	v_lshlrev_b32_e32 v25, 2, v18
	ds_bpermute_b32 v18, v25, v12
	ds_bpermute_b32 v19, v25, v13
	ds_bpermute_b32 v20, v25, v10
	ds_bpermute_b32 v21, v25, v11
	ds_bpermute_b32 v22, v25, v14
	ds_bpermute_b32 v23, v25, v15
	ds_bpermute_b32 v24, v25, v16
	ds_bpermute_b32 v25, v25, v17
	s_waitcnt lgkmcnt(6)
	v_add_f64 v[12:13], v[12:13], v[18:19]
	v_xor_b32_e32 v18, 16, v26
	s_waitcnt lgkmcnt(4)
	v_add_f64 v[10:11], v[10:11], v[20:21]
	s_waitcnt lgkmcnt(2)
	v_add_f64 v[14:15], v[14:15], v[22:23]
	s_waitcnt lgkmcnt(0)
	v_add_f64 v[16:17], v[16:17], v[24:25]
	v_cmp_gt_i32_e32 vcc_lo, 32, v18
	v_cndmask_b32_e32 v18, v26, v18, vcc_lo
	v_lshlrev_b32_e32 v25, 2, v18
	ds_bpermute_b32 v18, v25, v12
	ds_bpermute_b32 v19, v25, v13
	ds_bpermute_b32 v20, v25, v10
	ds_bpermute_b32 v21, v25, v11
	ds_bpermute_b32 v22, v25, v14
	ds_bpermute_b32 v23, v25, v15
	ds_bpermute_b32 v24, v25, v16
	ds_bpermute_b32 v25, v25, v17
	s_waitcnt lgkmcnt(6)
	v_add_f64 v[12:13], v[12:13], v[18:19]
	v_xor_b32_e32 v18, 8, v26
	s_waitcnt lgkmcnt(4)
	v_add_f64 v[10:11], v[10:11], v[20:21]
	s_waitcnt lgkmcnt(2)
	v_add_f64 v[14:15], v[14:15], v[22:23]
	s_waitcnt lgkmcnt(0)
	v_add_f64 v[16:17], v[16:17], v[24:25]
	;; [unrolled: 20-line block ×3, first 2 shown]
	v_cmp_gt_i32_e32 vcc_lo, 32, v18
	v_cndmask_b32_e32 v18, v26, v18, vcc_lo
	v_lshlrev_b32_e32 v25, 2, v18
	ds_bpermute_b32 v18, v25, v12
	ds_bpermute_b32 v19, v25, v13
	;; [unrolled: 1-line block ×8, first 2 shown]
	s_waitcnt lgkmcnt(6)
	v_add_f64 v[12:13], v[12:13], v[18:19]
	s_waitcnt lgkmcnt(4)
	v_add_f64 v[18:19], v[10:11], v[20:21]
	v_xor_b32_e32 v10, 2, v26
	s_waitcnt lgkmcnt(2)
	v_add_f64 v[14:15], v[14:15], v[22:23]
	s_waitcnt lgkmcnt(0)
	v_add_f64 v[20:21], v[16:17], v[24:25]
	v_cmp_gt_i32_e32 vcc_lo, 32, v10
	v_cndmask_b32_e32 v10, v26, v10, vcc_lo
	v_lshlrev_b32_e32 v25, 2, v10
	ds_bpermute_b32 v10, v25, v12
	ds_bpermute_b32 v11, v25, v13
	;; [unrolled: 1-line block ×8, first 2 shown]
	s_waitcnt lgkmcnt(6)
	v_add_f64 v[10:11], v[12:13], v[10:11]
	s_waitcnt lgkmcnt(4)
	v_add_f64 v[16:17], v[18:19], v[16:17]
	v_xor_b32_e32 v18, 1, v26
	s_waitcnt lgkmcnt(2)
	v_add_f64 v[12:13], v[14:15], v[22:23]
	s_waitcnt lgkmcnt(0)
	v_add_f64 v[14:15], v[20:21], v[24:25]
	v_cmp_gt_i32_e32 vcc_lo, 32, v18
	v_cndmask_b32_e32 v18, v26, v18, vcc_lo
	v_cmp_eq_u32_e32 vcc_lo, 63, v0
	v_lshlrev_b32_e32 v21, 2, v18
	ds_bpermute_b32 v24, v21, v10
	ds_bpermute_b32 v25, v21, v11
	;; [unrolled: 1-line block ×8, first 2 shown]
	s_and_b32 exec_lo, exec_lo, vcc_lo
	s_cbranch_execz .LBB247_21
; %bb.17:
	v_cmp_eq_f64_e32 vcc_lo, 0, v[5:6]
	v_cmp_eq_f64_e64 s0, 0, v[7:8]
	s_waitcnt lgkmcnt(6)
	v_add_f64 v[10:11], v[10:11], v[24:25]
	s_waitcnt lgkmcnt(4)
	v_add_f64 v[16:17], v[16:17], v[22:23]
	;; [unrolled: 2-line block ×4, first 2 shown]
	s_load_dwordx2 s[2:3], s[4:5], 0x48
	s_and_b32 s0, vcc_lo, s0
	s_and_saveexec_b32 s1, s0
	s_xor_b32 s0, exec_lo, s1
	s_cbranch_execz .LBB247_19
; %bb.18:
	v_mul_f64 v[5:6], v[16:17], -v[3:4]
	v_mul_f64 v[7:8], v[1:2], v[16:17]
	v_mul_f64 v[16:17], v[14:15], -v[3:4]
	v_mul_f64 v[14:15], v[1:2], v[14:15]
	v_lshlrev_b32_e32 v9, 1, v9
	v_fma_f64 v[5:6], v[1:2], v[10:11], v[5:6]
	v_fma_f64 v[7:8], v[3:4], v[10:11], v[7:8]
	;; [unrolled: 1-line block ×4, first 2 shown]
	v_ashrrev_i32_e32 v10, 31, v9
                                        ; implicit-def: $vgpr16_vgpr17
                                        ; implicit-def: $vgpr12_vgpr13
                                        ; implicit-def: $vgpr14_vgpr15
	v_lshlrev_b64 v[9:10], 4, v[9:10]
	s_waitcnt lgkmcnt(0)
	v_add_co_u32 v9, vcc_lo, s2, v9
	v_add_co_ci_u32_e64 v10, null, s3, v10, vcc_lo
	global_store_dwordx4 v[9:10], v[5:8], off
	global_store_dwordx4 v[9:10], v[0:3], off offset:16
                                        ; implicit-def: $vgpr9
                                        ; implicit-def: $vgpr10_vgpr11
                                        ; implicit-def: $vgpr7_vgpr8
                                        ; implicit-def: $vgpr3_vgpr4
.LBB247_19:
	s_andn2_saveexec_b32 s0, s0
	s_cbranch_execz .LBB247_21
; %bb.20:
	v_lshlrev_b32_e32 v18, 1, v9
	v_mul_f64 v[28:29], v[16:17], -v[3:4]
	v_mul_f64 v[16:17], v[1:2], v[16:17]
	v_mul_f64 v[30:31], v[14:15], -v[3:4]
	v_mul_f64 v[14:15], v[1:2], v[14:15]
	v_ashrrev_i32_e32 v19, 31, v18
	v_lshlrev_b64 v[18:19], 4, v[18:19]
	s_waitcnt lgkmcnt(0)
	v_add_co_u32 v26, vcc_lo, s2, v18
	v_add_co_ci_u32_e64 v27, null, s3, v19, vcc_lo
	s_clause 0x1
	global_load_dwordx4 v[18:21], v[26:27], off
	global_load_dwordx4 v[22:25], v[26:27], off offset:16
	v_fma_f64 v[28:29], v[1:2], v[10:11], v[28:29]
	v_fma_f64 v[9:10], v[3:4], v[10:11], v[16:17]
	;; [unrolled: 1-line block ×4, first 2 shown]
	s_waitcnt vmcnt(1)
	v_fma_f64 v[11:12], v[5:6], v[18:19], v[28:29]
	v_fma_f64 v[9:10], v[7:8], v[18:19], v[9:10]
	s_waitcnt vmcnt(0)
	v_fma_f64 v[13:14], v[5:6], v[22:23], v[0:1]
	v_fma_f64 v[15:16], v[7:8], v[22:23], v[2:3]
	v_fma_f64 v[0:1], -v[7:8], v[20:21], v[11:12]
	v_fma_f64 v[2:3], v[5:6], v[20:21], v[9:10]
	v_fma_f64 v[7:8], -v[7:8], v[24:25], v[13:14]
	v_fma_f64 v[9:10], v[5:6], v[24:25], v[15:16]
	global_store_dwordx4 v[26:27], v[0:3], off
	global_store_dwordx4 v[26:27], v[7:10], off offset:16
.LBB247_21:
	s_endpgm
	.section	.rodata,"a",@progbits
	.p2align	6, 0x0
	.amdhsa_kernel _ZN9rocsparseL19gebsrmvn_2xn_kernelILj128ELj5ELj64E21rocsparse_complex_numIdEEEvi20rocsparse_direction_NS_24const_host_device_scalarIT2_EEPKiS8_PKS5_SA_S6_PS5_21rocsparse_index_base_b
		.amdhsa_group_segment_fixed_size 0
		.amdhsa_private_segment_fixed_size 0
		.amdhsa_kernarg_size 88
		.amdhsa_user_sgpr_count 6
		.amdhsa_user_sgpr_private_segment_buffer 1
		.amdhsa_user_sgpr_dispatch_ptr 0
		.amdhsa_user_sgpr_queue_ptr 0
		.amdhsa_user_sgpr_kernarg_segment_ptr 1
		.amdhsa_user_sgpr_dispatch_id 0
		.amdhsa_user_sgpr_flat_scratch_init 0
		.amdhsa_user_sgpr_private_segment_size 0
		.amdhsa_wavefront_size32 1
		.amdhsa_uses_dynamic_stack 0
		.amdhsa_system_sgpr_private_segment_wavefront_offset 0
		.amdhsa_system_sgpr_workgroup_id_x 1
		.amdhsa_system_sgpr_workgroup_id_y 0
		.amdhsa_system_sgpr_workgroup_id_z 0
		.amdhsa_system_sgpr_workgroup_info 0
		.amdhsa_system_vgpr_workitem_id 0
		.amdhsa_next_free_vgpr 85
		.amdhsa_next_free_sgpr 16
		.amdhsa_reserve_vcc 1
		.amdhsa_reserve_flat_scratch 0
		.amdhsa_float_round_mode_32 0
		.amdhsa_float_round_mode_16_64 0
		.amdhsa_float_denorm_mode_32 3
		.amdhsa_float_denorm_mode_16_64 3
		.amdhsa_dx10_clamp 1
		.amdhsa_ieee_mode 1
		.amdhsa_fp16_overflow 0
		.amdhsa_workgroup_processor_mode 1
		.amdhsa_memory_ordered 1
		.amdhsa_forward_progress 1
		.amdhsa_shared_vgpr_count 0
		.amdhsa_exception_fp_ieee_invalid_op 0
		.amdhsa_exception_fp_denorm_src 0
		.amdhsa_exception_fp_ieee_div_zero 0
		.amdhsa_exception_fp_ieee_overflow 0
		.amdhsa_exception_fp_ieee_underflow 0
		.amdhsa_exception_fp_ieee_inexact 0
		.amdhsa_exception_int_div_zero 0
	.end_amdhsa_kernel
	.section	.text._ZN9rocsparseL19gebsrmvn_2xn_kernelILj128ELj5ELj64E21rocsparse_complex_numIdEEEvi20rocsparse_direction_NS_24const_host_device_scalarIT2_EEPKiS8_PKS5_SA_S6_PS5_21rocsparse_index_base_b,"axG",@progbits,_ZN9rocsparseL19gebsrmvn_2xn_kernelILj128ELj5ELj64E21rocsparse_complex_numIdEEEvi20rocsparse_direction_NS_24const_host_device_scalarIT2_EEPKiS8_PKS5_SA_S6_PS5_21rocsparse_index_base_b,comdat
.Lfunc_end247:
	.size	_ZN9rocsparseL19gebsrmvn_2xn_kernelILj128ELj5ELj64E21rocsparse_complex_numIdEEEvi20rocsparse_direction_NS_24const_host_device_scalarIT2_EEPKiS8_PKS5_SA_S6_PS5_21rocsparse_index_base_b, .Lfunc_end247-_ZN9rocsparseL19gebsrmvn_2xn_kernelILj128ELj5ELj64E21rocsparse_complex_numIdEEEvi20rocsparse_direction_NS_24const_host_device_scalarIT2_EEPKiS8_PKS5_SA_S6_PS5_21rocsparse_index_base_b
                                        ; -- End function
	.set _ZN9rocsparseL19gebsrmvn_2xn_kernelILj128ELj5ELj64E21rocsparse_complex_numIdEEEvi20rocsparse_direction_NS_24const_host_device_scalarIT2_EEPKiS8_PKS5_SA_S6_PS5_21rocsparse_index_base_b.num_vgpr, 85
	.set _ZN9rocsparseL19gebsrmvn_2xn_kernelILj128ELj5ELj64E21rocsparse_complex_numIdEEEvi20rocsparse_direction_NS_24const_host_device_scalarIT2_EEPKiS8_PKS5_SA_S6_PS5_21rocsparse_index_base_b.num_agpr, 0
	.set _ZN9rocsparseL19gebsrmvn_2xn_kernelILj128ELj5ELj64E21rocsparse_complex_numIdEEEvi20rocsparse_direction_NS_24const_host_device_scalarIT2_EEPKiS8_PKS5_SA_S6_PS5_21rocsparse_index_base_b.numbered_sgpr, 16
	.set _ZN9rocsparseL19gebsrmvn_2xn_kernelILj128ELj5ELj64E21rocsparse_complex_numIdEEEvi20rocsparse_direction_NS_24const_host_device_scalarIT2_EEPKiS8_PKS5_SA_S6_PS5_21rocsparse_index_base_b.num_named_barrier, 0
	.set _ZN9rocsparseL19gebsrmvn_2xn_kernelILj128ELj5ELj64E21rocsparse_complex_numIdEEEvi20rocsparse_direction_NS_24const_host_device_scalarIT2_EEPKiS8_PKS5_SA_S6_PS5_21rocsparse_index_base_b.private_seg_size, 0
	.set _ZN9rocsparseL19gebsrmvn_2xn_kernelILj128ELj5ELj64E21rocsparse_complex_numIdEEEvi20rocsparse_direction_NS_24const_host_device_scalarIT2_EEPKiS8_PKS5_SA_S6_PS5_21rocsparse_index_base_b.uses_vcc, 1
	.set _ZN9rocsparseL19gebsrmvn_2xn_kernelILj128ELj5ELj64E21rocsparse_complex_numIdEEEvi20rocsparse_direction_NS_24const_host_device_scalarIT2_EEPKiS8_PKS5_SA_S6_PS5_21rocsparse_index_base_b.uses_flat_scratch, 0
	.set _ZN9rocsparseL19gebsrmvn_2xn_kernelILj128ELj5ELj64E21rocsparse_complex_numIdEEEvi20rocsparse_direction_NS_24const_host_device_scalarIT2_EEPKiS8_PKS5_SA_S6_PS5_21rocsparse_index_base_b.has_dyn_sized_stack, 0
	.set _ZN9rocsparseL19gebsrmvn_2xn_kernelILj128ELj5ELj64E21rocsparse_complex_numIdEEEvi20rocsparse_direction_NS_24const_host_device_scalarIT2_EEPKiS8_PKS5_SA_S6_PS5_21rocsparse_index_base_b.has_recursion, 0
	.set _ZN9rocsparseL19gebsrmvn_2xn_kernelILj128ELj5ELj64E21rocsparse_complex_numIdEEEvi20rocsparse_direction_NS_24const_host_device_scalarIT2_EEPKiS8_PKS5_SA_S6_PS5_21rocsparse_index_base_b.has_indirect_call, 0
	.section	.AMDGPU.csdata,"",@progbits
; Kernel info:
; codeLenInByte = 3440
; TotalNumSgprs: 18
; NumVgprs: 85
; ScratchSize: 0
; MemoryBound: 0
; FloatMode: 240
; IeeeMode: 1
; LDSByteSize: 0 bytes/workgroup (compile time only)
; SGPRBlocks: 0
; VGPRBlocks: 10
; NumSGPRsForWavesPerEU: 18
; NumVGPRsForWavesPerEU: 85
; Occupancy: 10
; WaveLimiterHint : 1
; COMPUTE_PGM_RSRC2:SCRATCH_EN: 0
; COMPUTE_PGM_RSRC2:USER_SGPR: 6
; COMPUTE_PGM_RSRC2:TRAP_HANDLER: 0
; COMPUTE_PGM_RSRC2:TGID_X_EN: 1
; COMPUTE_PGM_RSRC2:TGID_Y_EN: 0
; COMPUTE_PGM_RSRC2:TGID_Z_EN: 0
; COMPUTE_PGM_RSRC2:TIDIG_COMP_CNT: 0
	.section	.text._ZN9rocsparseL19gebsrmvn_2xn_kernelILj128ELj6ELj4E21rocsparse_complex_numIdEEEvi20rocsparse_direction_NS_24const_host_device_scalarIT2_EEPKiS8_PKS5_SA_S6_PS5_21rocsparse_index_base_b,"axG",@progbits,_ZN9rocsparseL19gebsrmvn_2xn_kernelILj128ELj6ELj4E21rocsparse_complex_numIdEEEvi20rocsparse_direction_NS_24const_host_device_scalarIT2_EEPKiS8_PKS5_SA_S6_PS5_21rocsparse_index_base_b,comdat
	.globl	_ZN9rocsparseL19gebsrmvn_2xn_kernelILj128ELj6ELj4E21rocsparse_complex_numIdEEEvi20rocsparse_direction_NS_24const_host_device_scalarIT2_EEPKiS8_PKS5_SA_S6_PS5_21rocsparse_index_base_b ; -- Begin function _ZN9rocsparseL19gebsrmvn_2xn_kernelILj128ELj6ELj4E21rocsparse_complex_numIdEEEvi20rocsparse_direction_NS_24const_host_device_scalarIT2_EEPKiS8_PKS5_SA_S6_PS5_21rocsparse_index_base_b
	.p2align	8
	.type	_ZN9rocsparseL19gebsrmvn_2xn_kernelILj128ELj6ELj4E21rocsparse_complex_numIdEEEvi20rocsparse_direction_NS_24const_host_device_scalarIT2_EEPKiS8_PKS5_SA_S6_PS5_21rocsparse_index_base_b,@function
_ZN9rocsparseL19gebsrmvn_2xn_kernelILj128ELj6ELj4E21rocsparse_complex_numIdEEEvi20rocsparse_direction_NS_24const_host_device_scalarIT2_EEPKiS8_PKS5_SA_S6_PS5_21rocsparse_index_base_b: ; @_ZN9rocsparseL19gebsrmvn_2xn_kernelILj128ELj6ELj4E21rocsparse_complex_numIdEEEvi20rocsparse_direction_NS_24const_host_device_scalarIT2_EEPKiS8_PKS5_SA_S6_PS5_21rocsparse_index_base_b
; %bb.0:
	s_clause 0x1
	s_load_dwordx2 s[2:3], s[4:5], 0x50
	s_load_dwordx2 s[0:1], s[4:5], 0x8
	s_add_u32 s7, s4, 8
	s_addc_u32 s10, s5, 0
	s_add_u32 s11, s4, 56
	s_addc_u32 s12, s5, 0
	s_load_dwordx2 s[8:9], s[4:5], 0x38
	s_waitcnt lgkmcnt(0)
	s_bitcmp1_b32 s3, 0
	s_cselect_b32 s0, s7, s0
	s_cselect_b32 s1, s10, s1
	v_mov_b32_e32 v1, s0
	v_mov_b32_e32 v2, s1
	s_cselect_b32 s0, s11, s8
	s_cselect_b32 s1, s12, s9
	v_mov_b32_e32 v5, s0
	v_mov_b32_e32 v6, s1
	flat_load_dwordx4 v[1:4], v[1:2]
	flat_load_dwordx4 v[5:8], v[5:6]
	s_waitcnt vmcnt(1) lgkmcnt(1)
	v_cmp_eq_f64_e32 vcc_lo, 0, v[1:2]
	v_cmp_eq_f64_e64 s0, 0, v[3:4]
	s_and_b32 s3, vcc_lo, s0
	s_mov_b32 s0, -1
	s_and_saveexec_b32 s1, s3
	s_cbranch_execz .LBB248_2
; %bb.1:
	s_waitcnt vmcnt(0) lgkmcnt(0)
	v_cmp_neq_f64_e32 vcc_lo, 1.0, v[5:6]
	v_cmp_neq_f64_e64 s0, 0, v[7:8]
	s_or_b32 s0, vcc_lo, s0
	s_orn2_b32 s0, s0, exec_lo
.LBB248_2:
	s_or_b32 exec_lo, exec_lo, s1
	s_and_saveexec_b32 s1, s0
	s_cbranch_execz .LBB248_21
; %bb.3:
	s_load_dwordx2 s[0:1], s[4:5], 0x0
	v_lshrrev_b32_e32 v9, 2, v0
	v_lshl_or_b32 v9, s6, 5, v9
	s_waitcnt lgkmcnt(0)
	v_cmp_gt_i32_e32 vcc_lo, s0, v9
	s_and_b32 exec_lo, exec_lo, vcc_lo
	s_cbranch_execz .LBB248_21
; %bb.4:
	s_load_dwordx8 s[8:15], s[4:5], 0x18
	v_ashrrev_i32_e32 v10, 31, v9
	v_and_b32_e32 v0, 3, v0
	s_cmp_lg_u32 s1, 0
	v_lshlrev_b64 v[10:11], 2, v[9:10]
	s_waitcnt lgkmcnt(0)
	v_add_co_u32 v10, vcc_lo, s8, v10
	v_add_co_ci_u32_e64 v11, null, s9, v11, vcc_lo
	global_load_dwordx2 v[10:11], v[10:11], off
	s_waitcnt vmcnt(0)
	v_subrev_nc_u32_e32 v10, s2, v10
	v_subrev_nc_u32_e32 v25, s2, v11
	v_add_nc_u32_e32 v10, v10, v0
	v_cmp_lt_i32_e64 s0, v10, v25
	s_cbranch_scc0 .LBB248_10
; %bb.5:
	v_mov_b32_e32 v12, 0
	v_mov_b32_e32 v18, 0
	;; [unrolled: 1-line block ×8, first 2 shown]
	s_and_saveexec_b32 s1, s0
	s_cbranch_execz .LBB248_9
; %bb.6:
	v_mad_u64_u32 v[20:21], null, v10, 12, 10
	v_mov_b32_e32 v12, 0
	v_mov_b32_e32 v18, 0
	;; [unrolled: 1-line block ×10, first 2 shown]
	s_mov_b32 s3, 0
.LBB248_7:                              ; =>This Inner Loop Header: Depth=1
	v_ashrrev_i32_e32 v24, 31, v23
	v_add_nc_u32_e32 v21, -10, v20
	v_mov_b32_e32 v75, v22
	v_lshlrev_b64 v[26:27], 2, v[23:24]
	v_add_nc_u32_e32 v23, 4, v23
	v_add_co_u32 v26, vcc_lo, s10, v26
	v_add_co_ci_u32_e64 v27, null, s11, v27, vcc_lo
	global_load_dword v11, v[26:27], off
	v_lshlrev_b64 v[26:27], 4, v[21:22]
	v_add_nc_u32_e32 v21, -6, v20
	v_lshlrev_b64 v[50:51], 4, v[21:22]
	v_add_co_u32 v42, vcc_lo, s12, v26
	v_add_co_ci_u32_e64 v43, null, s13, v27, vcc_lo
	global_load_dwordx4 v[26:29], v[42:43], off offset:16
	s_waitcnt vmcnt(1)
	v_subrev_nc_u32_e32 v11, s2, v11
	v_mul_lo_u32 v74, v11, 6
	v_lshlrev_b64 v[30:31], 4, v[74:75]
	v_add_nc_u32_e32 v21, 2, v74
	v_lshlrev_b64 v[56:57], 4, v[21:22]
	v_add_co_u32 v46, vcc_lo, s14, v30
	v_add_co_ci_u32_e64 v47, null, s15, v31, vcc_lo
	v_add_co_u32 v54, vcc_lo, s12, v50
	global_load_dwordx4 v[30:33], v[42:43], off
	global_load_dwordx4 v[34:37], v[46:47], off
	s_clause 0x1
	global_load_dwordx4 v[38:41], v[42:43], off offset:32
	global_load_dwordx4 v[42:45], v[42:43], off offset:48
	;; [unrolled: 1-line block ×3, first 2 shown]
	v_add_co_ci_u32_e64 v55, null, s13, v51, vcc_lo
	v_add_co_u32 v62, vcc_lo, s14, v56
	v_add_co_ci_u32_e64 v63, null, s15, v57, vcc_lo
	s_clause 0x1
	global_load_dwordx4 v[50:53], v[54:55], off offset:16
	global_load_dwordx4 v[54:57], v[54:55], off
	global_load_dwordx4 v[58:61], v[62:63], off
	v_add_nc_u32_e32 v21, -4, v20
	v_lshlrev_b64 v[64:65], 4, v[21:22]
	v_add_nc_u32_e32 v21, -2, v20
	v_add_co_u32 v70, vcc_lo, s12, v64
	v_add_co_ci_u32_e64 v71, null, s13, v65, vcc_lo
	global_load_dwordx4 v[62:65], v[62:63], off offset:16
	s_clause 0x1
	global_load_dwordx4 v[66:69], v[70:71], off
	global_load_dwordx4 v[70:73], v[70:71], off offset:16
	v_lshlrev_b64 v[75:76], 4, v[21:22]
	v_add_nc_u32_e32 v21, 4, v74
	v_lshlrev_b64 v[77:78], 4, v[21:22]
	v_add_co_u32 v79, vcc_lo, s12, v75
	v_add_co_ci_u32_e64 v80, null, s13, v76, vcc_lo
	v_mov_b32_e32 v21, v22
	v_add_co_u32 v94, vcc_lo, s14, v77
	v_add_co_ci_u32_e64 v95, null, s15, v78, vcc_lo
	s_clause 0x1
	global_load_dwordx4 v[74:77], v[79:80], off offset:16
	global_load_dwordx4 v[78:81], v[79:80], off
	global_load_dwordx4 v[82:85], v[94:95], off
	v_lshlrev_b64 v[86:87], 4, v[20:21]
	v_add_nc_u32_e32 v20, 48, v20
	v_add_co_u32 v90, vcc_lo, s12, v86
	v_add_co_ci_u32_e64 v91, null, s13, v87, vcc_lo
	s_clause 0x1
	global_load_dwordx4 v[86:89], v[90:91], off
	global_load_dwordx4 v[90:93], v[90:91], off offset:16
	global_load_dwordx4 v[94:97], v[94:95], off offset:16
	v_cmp_ge_i32_e32 vcc_lo, v23, v25
	s_or_b32 s3, vcc_lo, s3
	s_waitcnt vmcnt(15)
	v_fma_f64 v[18:19], v[30:31], v[34:35], v[18:19]
	v_fma_f64 v[11:12], v[32:33], v[34:35], v[12:13]
	v_fma_f64 v[13:14], v[26:27], v[34:35], v[14:15]
	v_fma_f64 v[15:16], v[28:29], v[34:35], v[16:17]
	v_fma_f64 v[17:18], -v[32:33], v[36:37], v[18:19]
	v_fma_f64 v[11:12], v[30:31], v[36:37], v[11:12]
	v_fma_f64 v[13:14], -v[28:29], v[36:37], v[13:14]
	v_fma_f64 v[15:16], v[26:27], v[36:37], v[15:16]
	s_waitcnt vmcnt(12)
	v_fma_f64 v[17:18], v[38:39], v[46:47], v[17:18]
	v_fma_f64 v[11:12], v[40:41], v[46:47], v[11:12]
	v_fma_f64 v[13:14], v[42:43], v[46:47], v[13:14]
	v_fma_f64 v[15:16], v[44:45], v[46:47], v[15:16]
	v_fma_f64 v[17:18], -v[40:41], v[48:49], v[17:18]
	v_fma_f64 v[11:12], v[38:39], v[48:49], v[11:12]
	v_fma_f64 v[13:14], -v[44:45], v[48:49], v[13:14]
	v_fma_f64 v[15:16], v[42:43], v[48:49], v[15:16]
	;; [unrolled: 9-line block ×3, first 2 shown]
	s_waitcnt vmcnt(7)
	v_fma_f64 v[17:18], v[66:67], v[62:63], v[17:18]
	v_fma_f64 v[11:12], v[68:69], v[62:63], v[11:12]
	s_waitcnt vmcnt(6)
	v_fma_f64 v[13:14], v[70:71], v[62:63], v[13:14]
	v_fma_f64 v[15:16], v[72:73], v[62:63], v[15:16]
	v_fma_f64 v[17:18], -v[68:69], v[64:65], v[17:18]
	v_fma_f64 v[11:12], v[66:67], v[64:65], v[11:12]
	v_fma_f64 v[13:14], -v[72:73], v[64:65], v[13:14]
	v_fma_f64 v[15:16], v[70:71], v[64:65], v[15:16]
	s_waitcnt vmcnt(3)
	v_fma_f64 v[17:18], v[78:79], v[82:83], v[17:18]
	v_fma_f64 v[11:12], v[80:81], v[82:83], v[11:12]
	;; [unrolled: 1-line block ×4, first 2 shown]
	v_fma_f64 v[17:18], -v[80:81], v[84:85], v[17:18]
	v_fma_f64 v[11:12], v[78:79], v[84:85], v[11:12]
	v_fma_f64 v[13:14], -v[76:77], v[84:85], v[13:14]
	v_fma_f64 v[15:16], v[74:75], v[84:85], v[15:16]
	s_waitcnt vmcnt(0)
	v_fma_f64 v[17:18], v[86:87], v[94:95], v[17:18]
	v_fma_f64 v[11:12], v[88:89], v[94:95], v[11:12]
	;; [unrolled: 1-line block ×4, first 2 shown]
	v_fma_f64 v[18:19], -v[88:89], v[96:97], v[17:18]
	v_fma_f64 v[12:13], v[86:87], v[96:97], v[11:12]
	v_fma_f64 v[14:15], -v[92:93], v[96:97], v[26:27]
	v_fma_f64 v[16:17], v[90:91], v[96:97], v[28:29]
	s_andn2_b32 exec_lo, exec_lo, s3
	s_cbranch_execnz .LBB248_7
; %bb.8:
	s_or_b32 exec_lo, exec_lo, s3
.LBB248_9:
	s_or_b32 exec_lo, exec_lo, s1
	s_cbranch_execz .LBB248_11
	s_branch .LBB248_16
.LBB248_10:
                                        ; implicit-def: $vgpr12_vgpr13
                                        ; implicit-def: $vgpr18_vgpr19
                                        ; implicit-def: $vgpr14_vgpr15
                                        ; implicit-def: $vgpr16_vgpr17
.LBB248_11:
	v_mov_b32_e32 v12, 0
	v_mov_b32_e32 v18, 0
	;; [unrolled: 1-line block ×8, first 2 shown]
	s_and_saveexec_b32 s1, s0
	s_cbranch_execz .LBB248_15
; %bb.12:
	v_mad_u64_u32 v[20:21], null, v10, 12, 11
	v_mov_b32_e32 v12, 0
	v_mov_b32_e32 v18, 0
	;; [unrolled: 1-line block ×9, first 2 shown]
	s_mov_b32 s0, 0
.LBB248_13:                             ; =>This Inner Loop Header: Depth=1
	v_ashrrev_i32_e32 v11, 31, v10
	v_add_nc_u32_e32 v26, -5, v20
	v_mov_b32_e32 v27, v23
	v_mov_b32_e32 v71, v23
	v_lshlrev_b64 v[21:22], 2, v[10:11]
	v_add_nc_u32_e32 v10, 4, v10
	v_lshlrev_b64 v[26:27], 4, v[26:27]
	v_add_co_u32 v21, vcc_lo, s10, v21
	v_add_co_ci_u32_e64 v22, null, s11, v22, vcc_lo
	global_load_dword v11, v[21:22], off
	v_add_nc_u32_e32 v22, -11, v20
	v_lshlrev_b64 v[21:22], 4, v[22:23]
	v_add_co_u32 v54, vcc_lo, s12, v21
	v_add_co_ci_u32_e64 v55, null, s13, v22, vcc_lo
	v_add_co_u32 v21, vcc_lo, s12, v26
	v_add_co_ci_u32_e64 v22, null, s13, v27, vcc_lo
	s_clause 0x2
	global_load_dwordx4 v[26:29], v[54:55], off offset:16
	global_load_dwordx4 v[30:33], v[54:55], off
	global_load_dwordx4 v[34:37], v[21:22], off
	s_waitcnt vmcnt(3)
	v_subrev_nc_u32_e32 v11, s2, v11
	v_mul_lo_u32 v70, v11, 6
	v_lshlrev_b64 v[21:22], 4, v[70:71]
	v_add_co_u32 v46, vcc_lo, s14, v21
	v_add_co_ci_u32_e64 v47, null, s15, v22, vcc_lo
	v_add_nc_u32_e32 v22, -4, v20
	global_load_dwordx4 v[38:41], v[46:47], off
	v_lshlrev_b64 v[21:22], 4, v[22:23]
	v_add_co_u32 v21, vcc_lo, s12, v21
	v_add_co_ci_u32_e64 v22, null, s13, v22, vcc_lo
	global_load_dwordx4 v[42:45], v[21:22], off
	global_load_dwordx4 v[46:49], v[46:47], off offset:16
	v_add_nc_u32_e32 v22, 2, v70
	global_load_dwordx4 v[50:53], v[54:55], off offset:48
	v_lshlrev_b64 v[56:57], 4, v[22:23]
	v_add_nc_u32_e32 v22, -3, v20
	v_lshlrev_b64 v[21:22], 4, v[22:23]
	v_add_co_u32 v66, vcc_lo, s14, v56
	v_add_co_ci_u32_e64 v67, null, s15, v57, vcc_lo
	v_add_co_u32 v21, vcc_lo, s12, v21
	v_add_co_ci_u32_e64 v22, null, s13, v22, vcc_lo
	global_load_dwordx4 v[54:57], v[54:55], off offset:32
	global_load_dwordx4 v[58:61], v[66:67], off
	global_load_dwordx4 v[62:65], v[21:22], off
	v_add_nc_u32_e32 v22, -2, v20
	global_load_dwordx4 v[66:69], v[66:67], off offset:16
	v_mov_b32_e32 v21, v23
	v_lshlrev_b64 v[71:72], 4, v[22:23]
	v_add_nc_u32_e32 v22, -7, v20
	v_lshlrev_b64 v[73:74], 4, v[22:23]
	v_add_nc_u32_e32 v22, 4, v70
	v_add_co_u32 v70, vcc_lo, s12, v71
	v_add_co_ci_u32_e64 v71, null, s13, v72, vcc_lo
	v_add_co_u32 v75, vcc_lo, s12, v73
	v_lshlrev_b64 v[78:79], 4, v[22:23]
	global_load_dwordx4 v[70:73], v[70:71], off
	v_add_nc_u32_e32 v22, -1, v20
	v_add_co_ci_u32_e64 v76, null, s13, v74, vcc_lo
	v_add_co_u32 v82, vcc_lo, s14, v78
	v_lshlrev_b64 v[80:81], 4, v[22:23]
	v_add_co_ci_u32_e64 v83, null, s15, v79, vcc_lo
	global_load_dwordx4 v[74:77], v[75:76], off
	v_add_nc_u32_e32 v22, -6, v20
	v_add_co_u32 v84, vcc_lo, s12, v80
	v_add_co_ci_u32_e64 v85, null, s13, v81, vcc_lo
	global_load_dwordx4 v[78:81], v[82:83], off offset:16
	s_waitcnt vmcnt(10)
	v_fma_f64 v[18:19], v[30:31], v[38:39], v[18:19]
	v_fma_f64 v[11:12], v[32:33], v[38:39], v[12:13]
	v_fma_f64 v[18:19], -v[32:33], v[40:41], v[18:19]
	v_fma_f64 v[86:87], v[30:31], v[40:41], v[11:12]
	global_load_dwordx4 v[30:33], v[82:83], off
	global_load_dwordx4 v[82:85], v[84:85], off
	v_fma_f64 v[11:12], v[34:35], v[38:39], v[14:15]
	v_fma_f64 v[13:14], v[36:37], v[38:39], v[16:17]
	s_waitcnt vmcnt(10)
	v_fma_f64 v[17:18], v[26:27], v[46:47], v[18:19]
	v_fma_f64 v[15:16], -v[36:37], v[40:41], v[11:12]
	v_lshlrev_b64 v[11:12], 4, v[20:21]
	v_fma_f64 v[38:39], v[34:35], v[40:41], v[13:14]
	v_lshlrev_b64 v[13:14], 4, v[22:23]
	v_fma_f64 v[21:22], v[28:29], v[46:47], v[86:87]
	v_add_nc_u32_e32 v20, 48, v20
	v_add_co_u32 v11, vcc_lo, s12, v11
	v_add_co_ci_u32_e64 v12, null, s13, v12, vcc_lo
	v_add_co_u32 v13, vcc_lo, s12, v13
	v_add_co_ci_u32_e64 v14, null, s13, v14, vcc_lo
	s_clause 0x1
	global_load_dwordx4 v[34:37], v[11:12], off
	global_load_dwordx4 v[11:14], v[13:14], off
	v_cmp_ge_i32_e32 vcc_lo, v10, v25
	v_fma_f64 v[17:18], -v[28:29], v[48:49], v[17:18]
	v_fma_f64 v[15:16], v[42:43], v[46:47], v[15:16]
	s_or_b32 s0, vcc_lo, s0
	v_fma_f64 v[38:39], v[44:45], v[46:47], v[38:39]
	v_fma_f64 v[21:22], v[26:27], v[48:49], v[21:22]
	s_waitcnt vmcnt(9)
	v_fma_f64 v[17:18], v[54:55], v[58:59], v[17:18]
	v_fma_f64 v[15:16], -v[44:45], v[48:49], v[15:16]
	v_fma_f64 v[26:27], v[42:43], v[48:49], v[38:39]
	v_fma_f64 v[21:22], v[56:57], v[58:59], v[21:22]
	v_fma_f64 v[17:18], -v[56:57], v[60:61], v[17:18]
	s_waitcnt vmcnt(8)
	v_fma_f64 v[15:16], v[62:63], v[58:59], v[15:16]
	v_fma_f64 v[26:27], v[64:65], v[58:59], v[26:27]
	;; [unrolled: 1-line block ×3, first 2 shown]
	s_waitcnt vmcnt(7)
	v_fma_f64 v[17:18], v[50:51], v[66:67], v[17:18]
	v_fma_f64 v[15:16], -v[64:65], v[60:61], v[15:16]
	v_fma_f64 v[26:27], v[62:63], v[60:61], v[26:27]
	v_fma_f64 v[21:22], v[52:53], v[66:67], v[21:22]
	v_fma_f64 v[17:18], -v[52:53], v[68:69], v[17:18]
	s_waitcnt vmcnt(6)
	v_fma_f64 v[15:16], v[70:71], v[66:67], v[15:16]
	v_fma_f64 v[26:27], v[72:73], v[66:67], v[26:27]
	;; [unrolled: 1-line block ×3, first 2 shown]
	v_fma_f64 v[15:16], -v[72:73], v[68:69], v[15:16]
	v_fma_f64 v[26:27], v[70:71], v[68:69], v[26:27]
	s_waitcnt vmcnt(3)
	v_fma_f64 v[17:18], v[74:75], v[30:31], v[17:18]
	v_fma_f64 v[21:22], v[76:77], v[30:31], v[21:22]
	s_waitcnt vmcnt(2)
	v_fma_f64 v[15:16], v[82:83], v[30:31], v[15:16]
	v_fma_f64 v[26:27], v[84:85], v[30:31], v[26:27]
	v_fma_f64 v[17:18], -v[76:77], v[32:33], v[17:18]
	v_fma_f64 v[21:22], v[74:75], v[32:33], v[21:22]
	v_fma_f64 v[15:16], -v[84:85], v[32:33], v[15:16]
	v_fma_f64 v[26:27], v[82:83], v[32:33], v[26:27]
	s_waitcnt vmcnt(0)
	v_fma_f64 v[17:18], v[11:12], v[78:79], v[17:18]
	v_fma_f64 v[21:22], v[13:14], v[78:79], v[21:22]
	;; [unrolled: 1-line block ×4, first 2 shown]
	v_fma_f64 v[18:19], -v[13:14], v[80:81], v[17:18]
	v_fma_f64 v[12:13], v[11:12], v[80:81], v[21:22]
	v_fma_f64 v[14:15], -v[36:37], v[80:81], v[15:16]
	v_fma_f64 v[16:17], v[34:35], v[80:81], v[26:27]
	s_andn2_b32 exec_lo, exec_lo, s0
	s_cbranch_execnz .LBB248_13
; %bb.14:
	s_or_b32 exec_lo, exec_lo, s0
.LBB248_15:
	s_or_b32 exec_lo, exec_lo, s1
.LBB248_16:
	v_mbcnt_lo_u32_b32 v26, -1, 0
	v_xor_b32_e32 v10, 2, v26
	v_cmp_gt_i32_e32 vcc_lo, 32, v10
	v_cndmask_b32_e32 v10, v26, v10, vcc_lo
	v_lshlrev_b32_e32 v25, 2, v10
	ds_bpermute_b32 v10, v25, v18
	ds_bpermute_b32 v11, v25, v19
	;; [unrolled: 1-line block ×8, first 2 shown]
	s_waitcnt lgkmcnt(6)
	v_add_f64 v[10:11], v[18:19], v[10:11]
	s_waitcnt lgkmcnt(4)
	v_add_f64 v[18:19], v[12:13], v[20:21]
	;; [unrolled: 2-line block ×4, first 2 shown]
	v_xor_b32_e32 v16, 1, v26
	v_cmp_gt_i32_e32 vcc_lo, 32, v16
	v_cndmask_b32_e32 v16, v26, v16, vcc_lo
	v_cmp_eq_u32_e32 vcc_lo, 3, v0
	v_lshlrev_b32_e32 v23, 2, v16
	ds_bpermute_b32 v24, v23, v10
	ds_bpermute_b32 v25, v23, v11
	;; [unrolled: 1-line block ×8, first 2 shown]
	s_and_b32 exec_lo, exec_lo, vcc_lo
	s_cbranch_execz .LBB248_21
; %bb.17:
	v_cmp_eq_f64_e32 vcc_lo, 0, v[5:6]
	v_cmp_eq_f64_e64 s0, 0, v[7:8]
	s_waitcnt lgkmcnt(6)
	v_add_f64 v[10:11], v[10:11], v[24:25]
	s_waitcnt lgkmcnt(4)
	v_add_f64 v[16:17], v[18:19], v[16:17]
	;; [unrolled: 2-line block ×4, first 2 shown]
	s_load_dwordx2 s[2:3], s[4:5], 0x48
	s_and_b32 s0, vcc_lo, s0
	s_and_saveexec_b32 s1, s0
	s_xor_b32 s0, exec_lo, s1
	s_cbranch_execz .LBB248_19
; %bb.18:
	v_mul_f64 v[5:6], v[16:17], -v[3:4]
	v_mul_f64 v[7:8], v[1:2], v[16:17]
	v_mul_f64 v[16:17], v[14:15], -v[3:4]
	v_mul_f64 v[14:15], v[1:2], v[14:15]
	v_lshlrev_b32_e32 v9, 1, v9
	v_fma_f64 v[5:6], v[1:2], v[10:11], v[5:6]
	v_fma_f64 v[7:8], v[3:4], v[10:11], v[7:8]
	v_fma_f64 v[0:1], v[1:2], v[12:13], v[16:17]
	v_fma_f64 v[2:3], v[3:4], v[12:13], v[14:15]
	v_ashrrev_i32_e32 v10, 31, v9
                                        ; implicit-def: $vgpr16_vgpr17
                                        ; implicit-def: $vgpr12_vgpr13
                                        ; implicit-def: $vgpr14_vgpr15
	v_lshlrev_b64 v[9:10], 4, v[9:10]
	s_waitcnt lgkmcnt(0)
	v_add_co_u32 v9, vcc_lo, s2, v9
	v_add_co_ci_u32_e64 v10, null, s3, v10, vcc_lo
	global_store_dwordx4 v[9:10], v[5:8], off
	global_store_dwordx4 v[9:10], v[0:3], off offset:16
                                        ; implicit-def: $vgpr9
                                        ; implicit-def: $vgpr10_vgpr11
                                        ; implicit-def: $vgpr7_vgpr8
                                        ; implicit-def: $vgpr3_vgpr4
.LBB248_19:
	s_andn2_saveexec_b32 s0, s0
	s_cbranch_execz .LBB248_21
; %bb.20:
	v_lshlrev_b32_e32 v18, 1, v9
	v_mul_f64 v[28:29], v[16:17], -v[3:4]
	v_mul_f64 v[16:17], v[1:2], v[16:17]
	v_mul_f64 v[30:31], v[14:15], -v[3:4]
	v_mul_f64 v[14:15], v[1:2], v[14:15]
	v_ashrrev_i32_e32 v19, 31, v18
	v_lshlrev_b64 v[18:19], 4, v[18:19]
	s_waitcnt lgkmcnt(0)
	v_add_co_u32 v26, vcc_lo, s2, v18
	v_add_co_ci_u32_e64 v27, null, s3, v19, vcc_lo
	s_clause 0x1
	global_load_dwordx4 v[18:21], v[26:27], off
	global_load_dwordx4 v[22:25], v[26:27], off offset:16
	v_fma_f64 v[28:29], v[1:2], v[10:11], v[28:29]
	v_fma_f64 v[9:10], v[3:4], v[10:11], v[16:17]
	;; [unrolled: 1-line block ×4, first 2 shown]
	s_waitcnt vmcnt(1)
	v_fma_f64 v[11:12], v[5:6], v[18:19], v[28:29]
	v_fma_f64 v[9:10], v[7:8], v[18:19], v[9:10]
	s_waitcnt vmcnt(0)
	v_fma_f64 v[13:14], v[5:6], v[22:23], v[0:1]
	v_fma_f64 v[15:16], v[7:8], v[22:23], v[2:3]
	v_fma_f64 v[0:1], -v[7:8], v[20:21], v[11:12]
	v_fma_f64 v[2:3], v[5:6], v[20:21], v[9:10]
	v_fma_f64 v[7:8], -v[7:8], v[24:25], v[13:14]
	v_fma_f64 v[9:10], v[5:6], v[24:25], v[15:16]
	global_store_dwordx4 v[26:27], v[0:3], off
	global_store_dwordx4 v[26:27], v[7:10], off offset:16
.LBB248_21:
	s_endpgm
	.section	.rodata,"a",@progbits
	.p2align	6, 0x0
	.amdhsa_kernel _ZN9rocsparseL19gebsrmvn_2xn_kernelILj128ELj6ELj4E21rocsparse_complex_numIdEEEvi20rocsparse_direction_NS_24const_host_device_scalarIT2_EEPKiS8_PKS5_SA_S6_PS5_21rocsparse_index_base_b
		.amdhsa_group_segment_fixed_size 0
		.amdhsa_private_segment_fixed_size 0
		.amdhsa_kernarg_size 88
		.amdhsa_user_sgpr_count 6
		.amdhsa_user_sgpr_private_segment_buffer 1
		.amdhsa_user_sgpr_dispatch_ptr 0
		.amdhsa_user_sgpr_queue_ptr 0
		.amdhsa_user_sgpr_kernarg_segment_ptr 1
		.amdhsa_user_sgpr_dispatch_id 0
		.amdhsa_user_sgpr_flat_scratch_init 0
		.amdhsa_user_sgpr_private_segment_size 0
		.amdhsa_wavefront_size32 1
		.amdhsa_uses_dynamic_stack 0
		.amdhsa_system_sgpr_private_segment_wavefront_offset 0
		.amdhsa_system_sgpr_workgroup_id_x 1
		.amdhsa_system_sgpr_workgroup_id_y 0
		.amdhsa_system_sgpr_workgroup_id_z 0
		.amdhsa_system_sgpr_workgroup_info 0
		.amdhsa_system_vgpr_workitem_id 0
		.amdhsa_next_free_vgpr 98
		.amdhsa_next_free_sgpr 16
		.amdhsa_reserve_vcc 1
		.amdhsa_reserve_flat_scratch 0
		.amdhsa_float_round_mode_32 0
		.amdhsa_float_round_mode_16_64 0
		.amdhsa_float_denorm_mode_32 3
		.amdhsa_float_denorm_mode_16_64 3
		.amdhsa_dx10_clamp 1
		.amdhsa_ieee_mode 1
		.amdhsa_fp16_overflow 0
		.amdhsa_workgroup_processor_mode 1
		.amdhsa_memory_ordered 1
		.amdhsa_forward_progress 1
		.amdhsa_shared_vgpr_count 0
		.amdhsa_exception_fp_ieee_invalid_op 0
		.amdhsa_exception_fp_denorm_src 0
		.amdhsa_exception_fp_ieee_div_zero 0
		.amdhsa_exception_fp_ieee_overflow 0
		.amdhsa_exception_fp_ieee_underflow 0
		.amdhsa_exception_fp_ieee_inexact 0
		.amdhsa_exception_int_div_zero 0
	.end_amdhsa_kernel
	.section	.text._ZN9rocsparseL19gebsrmvn_2xn_kernelILj128ELj6ELj4E21rocsparse_complex_numIdEEEvi20rocsparse_direction_NS_24const_host_device_scalarIT2_EEPKiS8_PKS5_SA_S6_PS5_21rocsparse_index_base_b,"axG",@progbits,_ZN9rocsparseL19gebsrmvn_2xn_kernelILj128ELj6ELj4E21rocsparse_complex_numIdEEEvi20rocsparse_direction_NS_24const_host_device_scalarIT2_EEPKiS8_PKS5_SA_S6_PS5_21rocsparse_index_base_b,comdat
.Lfunc_end248:
	.size	_ZN9rocsparseL19gebsrmvn_2xn_kernelILj128ELj6ELj4E21rocsparse_complex_numIdEEEvi20rocsparse_direction_NS_24const_host_device_scalarIT2_EEPKiS8_PKS5_SA_S6_PS5_21rocsparse_index_base_b, .Lfunc_end248-_ZN9rocsparseL19gebsrmvn_2xn_kernelILj128ELj6ELj4E21rocsparse_complex_numIdEEEvi20rocsparse_direction_NS_24const_host_device_scalarIT2_EEPKiS8_PKS5_SA_S6_PS5_21rocsparse_index_base_b
                                        ; -- End function
	.set _ZN9rocsparseL19gebsrmvn_2xn_kernelILj128ELj6ELj4E21rocsparse_complex_numIdEEEvi20rocsparse_direction_NS_24const_host_device_scalarIT2_EEPKiS8_PKS5_SA_S6_PS5_21rocsparse_index_base_b.num_vgpr, 98
	.set _ZN9rocsparseL19gebsrmvn_2xn_kernelILj128ELj6ELj4E21rocsparse_complex_numIdEEEvi20rocsparse_direction_NS_24const_host_device_scalarIT2_EEPKiS8_PKS5_SA_S6_PS5_21rocsparse_index_base_b.num_agpr, 0
	.set _ZN9rocsparseL19gebsrmvn_2xn_kernelILj128ELj6ELj4E21rocsparse_complex_numIdEEEvi20rocsparse_direction_NS_24const_host_device_scalarIT2_EEPKiS8_PKS5_SA_S6_PS5_21rocsparse_index_base_b.numbered_sgpr, 16
	.set _ZN9rocsparseL19gebsrmvn_2xn_kernelILj128ELj6ELj4E21rocsparse_complex_numIdEEEvi20rocsparse_direction_NS_24const_host_device_scalarIT2_EEPKiS8_PKS5_SA_S6_PS5_21rocsparse_index_base_b.num_named_barrier, 0
	.set _ZN9rocsparseL19gebsrmvn_2xn_kernelILj128ELj6ELj4E21rocsparse_complex_numIdEEEvi20rocsparse_direction_NS_24const_host_device_scalarIT2_EEPKiS8_PKS5_SA_S6_PS5_21rocsparse_index_base_b.private_seg_size, 0
	.set _ZN9rocsparseL19gebsrmvn_2xn_kernelILj128ELj6ELj4E21rocsparse_complex_numIdEEEvi20rocsparse_direction_NS_24const_host_device_scalarIT2_EEPKiS8_PKS5_SA_S6_PS5_21rocsparse_index_base_b.uses_vcc, 1
	.set _ZN9rocsparseL19gebsrmvn_2xn_kernelILj128ELj6ELj4E21rocsparse_complex_numIdEEEvi20rocsparse_direction_NS_24const_host_device_scalarIT2_EEPKiS8_PKS5_SA_S6_PS5_21rocsparse_index_base_b.uses_flat_scratch, 0
	.set _ZN9rocsparseL19gebsrmvn_2xn_kernelILj128ELj6ELj4E21rocsparse_complex_numIdEEEvi20rocsparse_direction_NS_24const_host_device_scalarIT2_EEPKiS8_PKS5_SA_S6_PS5_21rocsparse_index_base_b.has_dyn_sized_stack, 0
	.set _ZN9rocsparseL19gebsrmvn_2xn_kernelILj128ELj6ELj4E21rocsparse_complex_numIdEEEvi20rocsparse_direction_NS_24const_host_device_scalarIT2_EEPKiS8_PKS5_SA_S6_PS5_21rocsparse_index_base_b.has_recursion, 0
	.set _ZN9rocsparseL19gebsrmvn_2xn_kernelILj128ELj6ELj4E21rocsparse_complex_numIdEEEvi20rocsparse_direction_NS_24const_host_device_scalarIT2_EEPKiS8_PKS5_SA_S6_PS5_21rocsparse_index_base_b.has_indirect_call, 0
	.section	.AMDGPU.csdata,"",@progbits
; Kernel info:
; codeLenInByte = 3004
; TotalNumSgprs: 18
; NumVgprs: 98
; ScratchSize: 0
; MemoryBound: 0
; FloatMode: 240
; IeeeMode: 1
; LDSByteSize: 0 bytes/workgroup (compile time only)
; SGPRBlocks: 0
; VGPRBlocks: 12
; NumSGPRsForWavesPerEU: 18
; NumVGPRsForWavesPerEU: 98
; Occupancy: 9
; WaveLimiterHint : 1
; COMPUTE_PGM_RSRC2:SCRATCH_EN: 0
; COMPUTE_PGM_RSRC2:USER_SGPR: 6
; COMPUTE_PGM_RSRC2:TRAP_HANDLER: 0
; COMPUTE_PGM_RSRC2:TGID_X_EN: 1
; COMPUTE_PGM_RSRC2:TGID_Y_EN: 0
; COMPUTE_PGM_RSRC2:TGID_Z_EN: 0
; COMPUTE_PGM_RSRC2:TIDIG_COMP_CNT: 0
	.section	.text._ZN9rocsparseL19gebsrmvn_2xn_kernelILj128ELj6ELj8E21rocsparse_complex_numIdEEEvi20rocsparse_direction_NS_24const_host_device_scalarIT2_EEPKiS8_PKS5_SA_S6_PS5_21rocsparse_index_base_b,"axG",@progbits,_ZN9rocsparseL19gebsrmvn_2xn_kernelILj128ELj6ELj8E21rocsparse_complex_numIdEEEvi20rocsparse_direction_NS_24const_host_device_scalarIT2_EEPKiS8_PKS5_SA_S6_PS5_21rocsparse_index_base_b,comdat
	.globl	_ZN9rocsparseL19gebsrmvn_2xn_kernelILj128ELj6ELj8E21rocsparse_complex_numIdEEEvi20rocsparse_direction_NS_24const_host_device_scalarIT2_EEPKiS8_PKS5_SA_S6_PS5_21rocsparse_index_base_b ; -- Begin function _ZN9rocsparseL19gebsrmvn_2xn_kernelILj128ELj6ELj8E21rocsparse_complex_numIdEEEvi20rocsparse_direction_NS_24const_host_device_scalarIT2_EEPKiS8_PKS5_SA_S6_PS5_21rocsparse_index_base_b
	.p2align	8
	.type	_ZN9rocsparseL19gebsrmvn_2xn_kernelILj128ELj6ELj8E21rocsparse_complex_numIdEEEvi20rocsparse_direction_NS_24const_host_device_scalarIT2_EEPKiS8_PKS5_SA_S6_PS5_21rocsparse_index_base_b,@function
_ZN9rocsparseL19gebsrmvn_2xn_kernelILj128ELj6ELj8E21rocsparse_complex_numIdEEEvi20rocsparse_direction_NS_24const_host_device_scalarIT2_EEPKiS8_PKS5_SA_S6_PS5_21rocsparse_index_base_b: ; @_ZN9rocsparseL19gebsrmvn_2xn_kernelILj128ELj6ELj8E21rocsparse_complex_numIdEEEvi20rocsparse_direction_NS_24const_host_device_scalarIT2_EEPKiS8_PKS5_SA_S6_PS5_21rocsparse_index_base_b
; %bb.0:
	s_clause 0x1
	s_load_dwordx2 s[2:3], s[4:5], 0x50
	s_load_dwordx2 s[0:1], s[4:5], 0x8
	s_add_u32 s7, s4, 8
	s_addc_u32 s10, s5, 0
	s_add_u32 s11, s4, 56
	s_addc_u32 s12, s5, 0
	s_load_dwordx2 s[8:9], s[4:5], 0x38
	s_waitcnt lgkmcnt(0)
	s_bitcmp1_b32 s3, 0
	s_cselect_b32 s0, s7, s0
	s_cselect_b32 s1, s10, s1
	v_mov_b32_e32 v1, s0
	v_mov_b32_e32 v2, s1
	s_cselect_b32 s0, s11, s8
	s_cselect_b32 s1, s12, s9
	v_mov_b32_e32 v5, s0
	v_mov_b32_e32 v6, s1
	flat_load_dwordx4 v[1:4], v[1:2]
	flat_load_dwordx4 v[5:8], v[5:6]
	s_waitcnt vmcnt(1) lgkmcnt(1)
	v_cmp_eq_f64_e32 vcc_lo, 0, v[1:2]
	v_cmp_eq_f64_e64 s0, 0, v[3:4]
	s_and_b32 s3, vcc_lo, s0
	s_mov_b32 s0, -1
	s_and_saveexec_b32 s1, s3
	s_cbranch_execz .LBB249_2
; %bb.1:
	s_waitcnt vmcnt(0) lgkmcnt(0)
	v_cmp_neq_f64_e32 vcc_lo, 1.0, v[5:6]
	v_cmp_neq_f64_e64 s0, 0, v[7:8]
	s_or_b32 s0, vcc_lo, s0
	s_orn2_b32 s0, s0, exec_lo
.LBB249_2:
	s_or_b32 exec_lo, exec_lo, s1
	s_and_saveexec_b32 s1, s0
	s_cbranch_execz .LBB249_21
; %bb.3:
	s_load_dwordx2 s[0:1], s[4:5], 0x0
	v_lshrrev_b32_e32 v9, 3, v0
	v_lshl_or_b32 v9, s6, 4, v9
	s_waitcnt lgkmcnt(0)
	v_cmp_gt_i32_e32 vcc_lo, s0, v9
	s_and_b32 exec_lo, exec_lo, vcc_lo
	s_cbranch_execz .LBB249_21
; %bb.4:
	s_load_dwordx8 s[8:15], s[4:5], 0x18
	v_ashrrev_i32_e32 v10, 31, v9
	v_and_b32_e32 v0, 7, v0
	s_cmp_lg_u32 s1, 0
	v_lshlrev_b64 v[10:11], 2, v[9:10]
	s_waitcnt lgkmcnt(0)
	v_add_co_u32 v10, vcc_lo, s8, v10
	v_add_co_ci_u32_e64 v11, null, s9, v11, vcc_lo
	global_load_dwordx2 v[10:11], v[10:11], off
	s_waitcnt vmcnt(0)
	v_subrev_nc_u32_e32 v10, s2, v10
	v_subrev_nc_u32_e32 v25, s2, v11
	v_add_nc_u32_e32 v10, v10, v0
	v_cmp_lt_i32_e64 s0, v10, v25
	s_cbranch_scc0 .LBB249_10
; %bb.5:
	v_mov_b32_e32 v12, 0
	v_mov_b32_e32 v18, 0
	;; [unrolled: 1-line block ×8, first 2 shown]
	s_and_saveexec_b32 s1, s0
	s_cbranch_execz .LBB249_9
; %bb.6:
	v_mad_u64_u32 v[20:21], null, v10, 12, 10
	v_mov_b32_e32 v12, 0
	v_mov_b32_e32 v18, 0
	;; [unrolled: 1-line block ×10, first 2 shown]
	s_mov_b32 s3, 0
.LBB249_7:                              ; =>This Inner Loop Header: Depth=1
	v_ashrrev_i32_e32 v24, 31, v23
	v_add_nc_u32_e32 v21, -10, v20
	v_mov_b32_e32 v75, v22
	v_lshlrev_b64 v[26:27], 2, v[23:24]
	v_add_nc_u32_e32 v23, 8, v23
	v_add_co_u32 v26, vcc_lo, s10, v26
	v_add_co_ci_u32_e64 v27, null, s11, v27, vcc_lo
	global_load_dword v11, v[26:27], off
	v_lshlrev_b64 v[26:27], 4, v[21:22]
	v_add_nc_u32_e32 v21, -6, v20
	v_lshlrev_b64 v[50:51], 4, v[21:22]
	v_add_co_u32 v42, vcc_lo, s12, v26
	v_add_co_ci_u32_e64 v43, null, s13, v27, vcc_lo
	global_load_dwordx4 v[26:29], v[42:43], off offset:16
	s_waitcnt vmcnt(1)
	v_subrev_nc_u32_e32 v11, s2, v11
	v_mul_lo_u32 v74, v11, 6
	v_lshlrev_b64 v[30:31], 4, v[74:75]
	v_add_nc_u32_e32 v21, 2, v74
	v_lshlrev_b64 v[56:57], 4, v[21:22]
	v_add_co_u32 v46, vcc_lo, s14, v30
	v_add_co_ci_u32_e64 v47, null, s15, v31, vcc_lo
	v_add_co_u32 v54, vcc_lo, s12, v50
	global_load_dwordx4 v[30:33], v[42:43], off
	global_load_dwordx4 v[34:37], v[46:47], off
	s_clause 0x1
	global_load_dwordx4 v[38:41], v[42:43], off offset:32
	global_load_dwordx4 v[42:45], v[42:43], off offset:48
	global_load_dwordx4 v[46:49], v[46:47], off offset:16
	v_add_co_ci_u32_e64 v55, null, s13, v51, vcc_lo
	v_add_co_u32 v62, vcc_lo, s14, v56
	v_add_co_ci_u32_e64 v63, null, s15, v57, vcc_lo
	s_clause 0x1
	global_load_dwordx4 v[50:53], v[54:55], off offset:16
	global_load_dwordx4 v[54:57], v[54:55], off
	global_load_dwordx4 v[58:61], v[62:63], off
	v_add_nc_u32_e32 v21, -4, v20
	v_lshlrev_b64 v[64:65], 4, v[21:22]
	v_add_nc_u32_e32 v21, -2, v20
	v_add_co_u32 v70, vcc_lo, s12, v64
	v_add_co_ci_u32_e64 v71, null, s13, v65, vcc_lo
	global_load_dwordx4 v[62:65], v[62:63], off offset:16
	s_clause 0x1
	global_load_dwordx4 v[66:69], v[70:71], off
	global_load_dwordx4 v[70:73], v[70:71], off offset:16
	v_lshlrev_b64 v[75:76], 4, v[21:22]
	v_add_nc_u32_e32 v21, 4, v74
	v_lshlrev_b64 v[77:78], 4, v[21:22]
	v_add_co_u32 v79, vcc_lo, s12, v75
	v_add_co_ci_u32_e64 v80, null, s13, v76, vcc_lo
	v_mov_b32_e32 v21, v22
	v_add_co_u32 v94, vcc_lo, s14, v77
	v_add_co_ci_u32_e64 v95, null, s15, v78, vcc_lo
	s_clause 0x1
	global_load_dwordx4 v[74:77], v[79:80], off offset:16
	global_load_dwordx4 v[78:81], v[79:80], off
	global_load_dwordx4 v[82:85], v[94:95], off
	v_lshlrev_b64 v[86:87], 4, v[20:21]
	v_add_nc_u32_e32 v20, 0x60, v20
	v_add_co_u32 v90, vcc_lo, s12, v86
	v_add_co_ci_u32_e64 v91, null, s13, v87, vcc_lo
	s_clause 0x1
	global_load_dwordx4 v[86:89], v[90:91], off
	global_load_dwordx4 v[90:93], v[90:91], off offset:16
	global_load_dwordx4 v[94:97], v[94:95], off offset:16
	v_cmp_ge_i32_e32 vcc_lo, v23, v25
	s_or_b32 s3, vcc_lo, s3
	s_waitcnt vmcnt(15)
	v_fma_f64 v[18:19], v[30:31], v[34:35], v[18:19]
	v_fma_f64 v[11:12], v[32:33], v[34:35], v[12:13]
	v_fma_f64 v[13:14], v[26:27], v[34:35], v[14:15]
	v_fma_f64 v[15:16], v[28:29], v[34:35], v[16:17]
	v_fma_f64 v[17:18], -v[32:33], v[36:37], v[18:19]
	v_fma_f64 v[11:12], v[30:31], v[36:37], v[11:12]
	v_fma_f64 v[13:14], -v[28:29], v[36:37], v[13:14]
	v_fma_f64 v[15:16], v[26:27], v[36:37], v[15:16]
	s_waitcnt vmcnt(12)
	v_fma_f64 v[17:18], v[38:39], v[46:47], v[17:18]
	v_fma_f64 v[11:12], v[40:41], v[46:47], v[11:12]
	v_fma_f64 v[13:14], v[42:43], v[46:47], v[13:14]
	v_fma_f64 v[15:16], v[44:45], v[46:47], v[15:16]
	v_fma_f64 v[17:18], -v[40:41], v[48:49], v[17:18]
	v_fma_f64 v[11:12], v[38:39], v[48:49], v[11:12]
	v_fma_f64 v[13:14], -v[44:45], v[48:49], v[13:14]
	v_fma_f64 v[15:16], v[42:43], v[48:49], v[15:16]
	;; [unrolled: 9-line block ×3, first 2 shown]
	s_waitcnt vmcnt(7)
	v_fma_f64 v[17:18], v[66:67], v[62:63], v[17:18]
	v_fma_f64 v[11:12], v[68:69], v[62:63], v[11:12]
	s_waitcnt vmcnt(6)
	v_fma_f64 v[13:14], v[70:71], v[62:63], v[13:14]
	v_fma_f64 v[15:16], v[72:73], v[62:63], v[15:16]
	v_fma_f64 v[17:18], -v[68:69], v[64:65], v[17:18]
	v_fma_f64 v[11:12], v[66:67], v[64:65], v[11:12]
	v_fma_f64 v[13:14], -v[72:73], v[64:65], v[13:14]
	v_fma_f64 v[15:16], v[70:71], v[64:65], v[15:16]
	s_waitcnt vmcnt(3)
	v_fma_f64 v[17:18], v[78:79], v[82:83], v[17:18]
	v_fma_f64 v[11:12], v[80:81], v[82:83], v[11:12]
	v_fma_f64 v[13:14], v[74:75], v[82:83], v[13:14]
	v_fma_f64 v[15:16], v[76:77], v[82:83], v[15:16]
	v_fma_f64 v[17:18], -v[80:81], v[84:85], v[17:18]
	v_fma_f64 v[11:12], v[78:79], v[84:85], v[11:12]
	v_fma_f64 v[13:14], -v[76:77], v[84:85], v[13:14]
	v_fma_f64 v[15:16], v[74:75], v[84:85], v[15:16]
	s_waitcnt vmcnt(0)
	v_fma_f64 v[17:18], v[86:87], v[94:95], v[17:18]
	v_fma_f64 v[11:12], v[88:89], v[94:95], v[11:12]
	;; [unrolled: 1-line block ×4, first 2 shown]
	v_fma_f64 v[18:19], -v[88:89], v[96:97], v[17:18]
	v_fma_f64 v[12:13], v[86:87], v[96:97], v[11:12]
	v_fma_f64 v[14:15], -v[92:93], v[96:97], v[26:27]
	v_fma_f64 v[16:17], v[90:91], v[96:97], v[28:29]
	s_andn2_b32 exec_lo, exec_lo, s3
	s_cbranch_execnz .LBB249_7
; %bb.8:
	s_or_b32 exec_lo, exec_lo, s3
.LBB249_9:
	s_or_b32 exec_lo, exec_lo, s1
	s_cbranch_execz .LBB249_11
	s_branch .LBB249_16
.LBB249_10:
                                        ; implicit-def: $vgpr12_vgpr13
                                        ; implicit-def: $vgpr18_vgpr19
                                        ; implicit-def: $vgpr14_vgpr15
                                        ; implicit-def: $vgpr16_vgpr17
.LBB249_11:
	v_mov_b32_e32 v12, 0
	v_mov_b32_e32 v18, 0
	;; [unrolled: 1-line block ×8, first 2 shown]
	s_and_saveexec_b32 s1, s0
	s_cbranch_execz .LBB249_15
; %bb.12:
	v_mad_u64_u32 v[20:21], null, v10, 12, 11
	v_mov_b32_e32 v12, 0
	v_mov_b32_e32 v18, 0
	;; [unrolled: 1-line block ×9, first 2 shown]
	s_mov_b32 s0, 0
.LBB249_13:                             ; =>This Inner Loop Header: Depth=1
	v_ashrrev_i32_e32 v11, 31, v10
	v_add_nc_u32_e32 v26, -5, v20
	v_mov_b32_e32 v27, v23
	v_mov_b32_e32 v71, v23
	v_lshlrev_b64 v[21:22], 2, v[10:11]
	v_add_nc_u32_e32 v10, 8, v10
	v_lshlrev_b64 v[26:27], 4, v[26:27]
	v_add_co_u32 v21, vcc_lo, s10, v21
	v_add_co_ci_u32_e64 v22, null, s11, v22, vcc_lo
	global_load_dword v11, v[21:22], off
	v_add_nc_u32_e32 v22, -11, v20
	v_lshlrev_b64 v[21:22], 4, v[22:23]
	v_add_co_u32 v54, vcc_lo, s12, v21
	v_add_co_ci_u32_e64 v55, null, s13, v22, vcc_lo
	v_add_co_u32 v21, vcc_lo, s12, v26
	v_add_co_ci_u32_e64 v22, null, s13, v27, vcc_lo
	s_clause 0x2
	global_load_dwordx4 v[26:29], v[54:55], off offset:16
	global_load_dwordx4 v[30:33], v[54:55], off
	global_load_dwordx4 v[34:37], v[21:22], off
	s_waitcnt vmcnt(3)
	v_subrev_nc_u32_e32 v11, s2, v11
	v_mul_lo_u32 v70, v11, 6
	v_lshlrev_b64 v[21:22], 4, v[70:71]
	v_add_co_u32 v46, vcc_lo, s14, v21
	v_add_co_ci_u32_e64 v47, null, s15, v22, vcc_lo
	v_add_nc_u32_e32 v22, -4, v20
	global_load_dwordx4 v[38:41], v[46:47], off
	v_lshlrev_b64 v[21:22], 4, v[22:23]
	v_add_co_u32 v21, vcc_lo, s12, v21
	v_add_co_ci_u32_e64 v22, null, s13, v22, vcc_lo
	global_load_dwordx4 v[42:45], v[21:22], off
	global_load_dwordx4 v[46:49], v[46:47], off offset:16
	v_add_nc_u32_e32 v22, 2, v70
	global_load_dwordx4 v[50:53], v[54:55], off offset:48
	v_lshlrev_b64 v[56:57], 4, v[22:23]
	v_add_nc_u32_e32 v22, -3, v20
	v_lshlrev_b64 v[21:22], 4, v[22:23]
	v_add_co_u32 v66, vcc_lo, s14, v56
	v_add_co_ci_u32_e64 v67, null, s15, v57, vcc_lo
	v_add_co_u32 v21, vcc_lo, s12, v21
	v_add_co_ci_u32_e64 v22, null, s13, v22, vcc_lo
	global_load_dwordx4 v[54:57], v[54:55], off offset:32
	global_load_dwordx4 v[58:61], v[66:67], off
	global_load_dwordx4 v[62:65], v[21:22], off
	v_add_nc_u32_e32 v22, -2, v20
	global_load_dwordx4 v[66:69], v[66:67], off offset:16
	v_mov_b32_e32 v21, v23
	v_lshlrev_b64 v[71:72], 4, v[22:23]
	v_add_nc_u32_e32 v22, -7, v20
	v_lshlrev_b64 v[73:74], 4, v[22:23]
	v_add_nc_u32_e32 v22, 4, v70
	v_add_co_u32 v70, vcc_lo, s12, v71
	v_add_co_ci_u32_e64 v71, null, s13, v72, vcc_lo
	v_add_co_u32 v75, vcc_lo, s12, v73
	v_lshlrev_b64 v[78:79], 4, v[22:23]
	global_load_dwordx4 v[70:73], v[70:71], off
	v_add_nc_u32_e32 v22, -1, v20
	v_add_co_ci_u32_e64 v76, null, s13, v74, vcc_lo
	v_add_co_u32 v82, vcc_lo, s14, v78
	v_lshlrev_b64 v[80:81], 4, v[22:23]
	v_add_co_ci_u32_e64 v83, null, s15, v79, vcc_lo
	global_load_dwordx4 v[74:77], v[75:76], off
	v_add_nc_u32_e32 v22, -6, v20
	v_add_co_u32 v84, vcc_lo, s12, v80
	v_add_co_ci_u32_e64 v85, null, s13, v81, vcc_lo
	global_load_dwordx4 v[78:81], v[82:83], off offset:16
	s_waitcnt vmcnt(10)
	v_fma_f64 v[18:19], v[30:31], v[38:39], v[18:19]
	v_fma_f64 v[11:12], v[32:33], v[38:39], v[12:13]
	v_fma_f64 v[18:19], -v[32:33], v[40:41], v[18:19]
	v_fma_f64 v[86:87], v[30:31], v[40:41], v[11:12]
	global_load_dwordx4 v[30:33], v[82:83], off
	global_load_dwordx4 v[82:85], v[84:85], off
	v_fma_f64 v[11:12], v[34:35], v[38:39], v[14:15]
	v_fma_f64 v[13:14], v[36:37], v[38:39], v[16:17]
	s_waitcnt vmcnt(10)
	v_fma_f64 v[17:18], v[26:27], v[46:47], v[18:19]
	v_fma_f64 v[15:16], -v[36:37], v[40:41], v[11:12]
	v_lshlrev_b64 v[11:12], 4, v[20:21]
	v_fma_f64 v[38:39], v[34:35], v[40:41], v[13:14]
	v_lshlrev_b64 v[13:14], 4, v[22:23]
	v_fma_f64 v[21:22], v[28:29], v[46:47], v[86:87]
	v_add_nc_u32_e32 v20, 0x60, v20
	v_add_co_u32 v11, vcc_lo, s12, v11
	v_add_co_ci_u32_e64 v12, null, s13, v12, vcc_lo
	v_add_co_u32 v13, vcc_lo, s12, v13
	v_add_co_ci_u32_e64 v14, null, s13, v14, vcc_lo
	s_clause 0x1
	global_load_dwordx4 v[34:37], v[11:12], off
	global_load_dwordx4 v[11:14], v[13:14], off
	v_cmp_ge_i32_e32 vcc_lo, v10, v25
	v_fma_f64 v[17:18], -v[28:29], v[48:49], v[17:18]
	v_fma_f64 v[15:16], v[42:43], v[46:47], v[15:16]
	s_or_b32 s0, vcc_lo, s0
	v_fma_f64 v[38:39], v[44:45], v[46:47], v[38:39]
	v_fma_f64 v[21:22], v[26:27], v[48:49], v[21:22]
	s_waitcnt vmcnt(9)
	v_fma_f64 v[17:18], v[54:55], v[58:59], v[17:18]
	v_fma_f64 v[15:16], -v[44:45], v[48:49], v[15:16]
	v_fma_f64 v[26:27], v[42:43], v[48:49], v[38:39]
	v_fma_f64 v[21:22], v[56:57], v[58:59], v[21:22]
	v_fma_f64 v[17:18], -v[56:57], v[60:61], v[17:18]
	s_waitcnt vmcnt(8)
	v_fma_f64 v[15:16], v[62:63], v[58:59], v[15:16]
	v_fma_f64 v[26:27], v[64:65], v[58:59], v[26:27]
	;; [unrolled: 1-line block ×3, first 2 shown]
	s_waitcnt vmcnt(7)
	v_fma_f64 v[17:18], v[50:51], v[66:67], v[17:18]
	v_fma_f64 v[15:16], -v[64:65], v[60:61], v[15:16]
	v_fma_f64 v[26:27], v[62:63], v[60:61], v[26:27]
	v_fma_f64 v[21:22], v[52:53], v[66:67], v[21:22]
	v_fma_f64 v[17:18], -v[52:53], v[68:69], v[17:18]
	s_waitcnt vmcnt(6)
	v_fma_f64 v[15:16], v[70:71], v[66:67], v[15:16]
	v_fma_f64 v[26:27], v[72:73], v[66:67], v[26:27]
	;; [unrolled: 1-line block ×3, first 2 shown]
	v_fma_f64 v[15:16], -v[72:73], v[68:69], v[15:16]
	v_fma_f64 v[26:27], v[70:71], v[68:69], v[26:27]
	s_waitcnt vmcnt(3)
	v_fma_f64 v[17:18], v[74:75], v[30:31], v[17:18]
	v_fma_f64 v[21:22], v[76:77], v[30:31], v[21:22]
	s_waitcnt vmcnt(2)
	v_fma_f64 v[15:16], v[82:83], v[30:31], v[15:16]
	v_fma_f64 v[26:27], v[84:85], v[30:31], v[26:27]
	v_fma_f64 v[17:18], -v[76:77], v[32:33], v[17:18]
	v_fma_f64 v[21:22], v[74:75], v[32:33], v[21:22]
	v_fma_f64 v[15:16], -v[84:85], v[32:33], v[15:16]
	v_fma_f64 v[26:27], v[82:83], v[32:33], v[26:27]
	s_waitcnt vmcnt(0)
	v_fma_f64 v[17:18], v[11:12], v[78:79], v[17:18]
	v_fma_f64 v[21:22], v[13:14], v[78:79], v[21:22]
	;; [unrolled: 1-line block ×4, first 2 shown]
	v_fma_f64 v[18:19], -v[13:14], v[80:81], v[17:18]
	v_fma_f64 v[12:13], v[11:12], v[80:81], v[21:22]
	v_fma_f64 v[14:15], -v[36:37], v[80:81], v[15:16]
	v_fma_f64 v[16:17], v[34:35], v[80:81], v[26:27]
	s_andn2_b32 exec_lo, exec_lo, s0
	s_cbranch_execnz .LBB249_13
; %bb.14:
	s_or_b32 exec_lo, exec_lo, s0
.LBB249_15:
	s_or_b32 exec_lo, exec_lo, s1
.LBB249_16:
	v_mbcnt_lo_u32_b32 v26, -1, 0
	v_xor_b32_e32 v10, 4, v26
	v_cmp_gt_i32_e32 vcc_lo, 32, v10
	v_cndmask_b32_e32 v10, v26, v10, vcc_lo
	v_lshlrev_b32_e32 v25, 2, v10
	ds_bpermute_b32 v10, v25, v18
	ds_bpermute_b32 v11, v25, v19
	ds_bpermute_b32 v20, v25, v12
	ds_bpermute_b32 v21, v25, v13
	ds_bpermute_b32 v22, v25, v14
	ds_bpermute_b32 v23, v25, v15
	ds_bpermute_b32 v24, v25, v16
	ds_bpermute_b32 v25, v25, v17
	s_waitcnt lgkmcnt(6)
	v_add_f64 v[10:11], v[18:19], v[10:11]
	s_waitcnt lgkmcnt(4)
	v_add_f64 v[12:13], v[12:13], v[20:21]
	;; [unrolled: 2-line block ×4, first 2 shown]
	v_xor_b32_e32 v16, 2, v26
	v_cmp_gt_i32_e32 vcc_lo, 32, v16
	v_cndmask_b32_e32 v16, v26, v16, vcc_lo
	v_lshlrev_b32_e32 v25, 2, v16
	ds_bpermute_b32 v16, v25, v10
	ds_bpermute_b32 v17, v25, v11
	;; [unrolled: 1-line block ×8, first 2 shown]
	s_waitcnt lgkmcnt(6)
	v_add_f64 v[10:11], v[10:11], v[16:17]
	s_waitcnt lgkmcnt(4)
	v_add_f64 v[16:17], v[12:13], v[20:21]
	;; [unrolled: 2-line block ×4, first 2 shown]
	v_xor_b32_e32 v18, 1, v26
	v_cmp_gt_i32_e32 vcc_lo, 32, v18
	v_cndmask_b32_e32 v18, v26, v18, vcc_lo
	v_cmp_eq_u32_e32 vcc_lo, 7, v0
	v_lshlrev_b32_e32 v21, 2, v18
	ds_bpermute_b32 v24, v21, v10
	ds_bpermute_b32 v25, v21, v11
	ds_bpermute_b32 v22, v21, v16
	ds_bpermute_b32 v23, v21, v17
	ds_bpermute_b32 v18, v21, v12
	ds_bpermute_b32 v19, v21, v13
	ds_bpermute_b32 v20, v21, v14
	ds_bpermute_b32 v21, v21, v15
	s_and_b32 exec_lo, exec_lo, vcc_lo
	s_cbranch_execz .LBB249_21
; %bb.17:
	v_cmp_eq_f64_e32 vcc_lo, 0, v[5:6]
	v_cmp_eq_f64_e64 s0, 0, v[7:8]
	s_waitcnt lgkmcnt(6)
	v_add_f64 v[10:11], v[10:11], v[24:25]
	s_waitcnt lgkmcnt(4)
	v_add_f64 v[16:17], v[16:17], v[22:23]
	;; [unrolled: 2-line block ×4, first 2 shown]
	s_load_dwordx2 s[2:3], s[4:5], 0x48
	s_and_b32 s0, vcc_lo, s0
	s_and_saveexec_b32 s1, s0
	s_xor_b32 s0, exec_lo, s1
	s_cbranch_execz .LBB249_19
; %bb.18:
	v_mul_f64 v[5:6], v[16:17], -v[3:4]
	v_mul_f64 v[7:8], v[1:2], v[16:17]
	v_mul_f64 v[16:17], v[14:15], -v[3:4]
	v_mul_f64 v[14:15], v[1:2], v[14:15]
	v_lshlrev_b32_e32 v9, 1, v9
	v_fma_f64 v[5:6], v[1:2], v[10:11], v[5:6]
	v_fma_f64 v[7:8], v[3:4], v[10:11], v[7:8]
	;; [unrolled: 1-line block ×4, first 2 shown]
	v_ashrrev_i32_e32 v10, 31, v9
                                        ; implicit-def: $vgpr16_vgpr17
                                        ; implicit-def: $vgpr12_vgpr13
                                        ; implicit-def: $vgpr14_vgpr15
	v_lshlrev_b64 v[9:10], 4, v[9:10]
	s_waitcnt lgkmcnt(0)
	v_add_co_u32 v9, vcc_lo, s2, v9
	v_add_co_ci_u32_e64 v10, null, s3, v10, vcc_lo
	global_store_dwordx4 v[9:10], v[5:8], off
	global_store_dwordx4 v[9:10], v[0:3], off offset:16
                                        ; implicit-def: $vgpr9
                                        ; implicit-def: $vgpr10_vgpr11
                                        ; implicit-def: $vgpr7_vgpr8
                                        ; implicit-def: $vgpr3_vgpr4
.LBB249_19:
	s_andn2_saveexec_b32 s0, s0
	s_cbranch_execz .LBB249_21
; %bb.20:
	v_lshlrev_b32_e32 v18, 1, v9
	v_mul_f64 v[28:29], v[16:17], -v[3:4]
	v_mul_f64 v[16:17], v[1:2], v[16:17]
	v_mul_f64 v[30:31], v[14:15], -v[3:4]
	v_mul_f64 v[14:15], v[1:2], v[14:15]
	v_ashrrev_i32_e32 v19, 31, v18
	v_lshlrev_b64 v[18:19], 4, v[18:19]
	s_waitcnt lgkmcnt(0)
	v_add_co_u32 v26, vcc_lo, s2, v18
	v_add_co_ci_u32_e64 v27, null, s3, v19, vcc_lo
	s_clause 0x1
	global_load_dwordx4 v[18:21], v[26:27], off
	global_load_dwordx4 v[22:25], v[26:27], off offset:16
	v_fma_f64 v[28:29], v[1:2], v[10:11], v[28:29]
	v_fma_f64 v[9:10], v[3:4], v[10:11], v[16:17]
	;; [unrolled: 1-line block ×4, first 2 shown]
	s_waitcnt vmcnt(1)
	v_fma_f64 v[11:12], v[5:6], v[18:19], v[28:29]
	v_fma_f64 v[9:10], v[7:8], v[18:19], v[9:10]
	s_waitcnt vmcnt(0)
	v_fma_f64 v[13:14], v[5:6], v[22:23], v[0:1]
	v_fma_f64 v[15:16], v[7:8], v[22:23], v[2:3]
	v_fma_f64 v[0:1], -v[7:8], v[20:21], v[11:12]
	v_fma_f64 v[2:3], v[5:6], v[20:21], v[9:10]
	v_fma_f64 v[7:8], -v[7:8], v[24:25], v[13:14]
	v_fma_f64 v[9:10], v[5:6], v[24:25], v[15:16]
	global_store_dwordx4 v[26:27], v[0:3], off
	global_store_dwordx4 v[26:27], v[7:10], off offset:16
.LBB249_21:
	s_endpgm
	.section	.rodata,"a",@progbits
	.p2align	6, 0x0
	.amdhsa_kernel _ZN9rocsparseL19gebsrmvn_2xn_kernelILj128ELj6ELj8E21rocsparse_complex_numIdEEEvi20rocsparse_direction_NS_24const_host_device_scalarIT2_EEPKiS8_PKS5_SA_S6_PS5_21rocsparse_index_base_b
		.amdhsa_group_segment_fixed_size 0
		.amdhsa_private_segment_fixed_size 0
		.amdhsa_kernarg_size 88
		.amdhsa_user_sgpr_count 6
		.amdhsa_user_sgpr_private_segment_buffer 1
		.amdhsa_user_sgpr_dispatch_ptr 0
		.amdhsa_user_sgpr_queue_ptr 0
		.amdhsa_user_sgpr_kernarg_segment_ptr 1
		.amdhsa_user_sgpr_dispatch_id 0
		.amdhsa_user_sgpr_flat_scratch_init 0
		.amdhsa_user_sgpr_private_segment_size 0
		.amdhsa_wavefront_size32 1
		.amdhsa_uses_dynamic_stack 0
		.amdhsa_system_sgpr_private_segment_wavefront_offset 0
		.amdhsa_system_sgpr_workgroup_id_x 1
		.amdhsa_system_sgpr_workgroup_id_y 0
		.amdhsa_system_sgpr_workgroup_id_z 0
		.amdhsa_system_sgpr_workgroup_info 0
		.amdhsa_system_vgpr_workitem_id 0
		.amdhsa_next_free_vgpr 98
		.amdhsa_next_free_sgpr 16
		.amdhsa_reserve_vcc 1
		.amdhsa_reserve_flat_scratch 0
		.amdhsa_float_round_mode_32 0
		.amdhsa_float_round_mode_16_64 0
		.amdhsa_float_denorm_mode_32 3
		.amdhsa_float_denorm_mode_16_64 3
		.amdhsa_dx10_clamp 1
		.amdhsa_ieee_mode 1
		.amdhsa_fp16_overflow 0
		.amdhsa_workgroup_processor_mode 1
		.amdhsa_memory_ordered 1
		.amdhsa_forward_progress 1
		.amdhsa_shared_vgpr_count 0
		.amdhsa_exception_fp_ieee_invalid_op 0
		.amdhsa_exception_fp_denorm_src 0
		.amdhsa_exception_fp_ieee_div_zero 0
		.amdhsa_exception_fp_ieee_overflow 0
		.amdhsa_exception_fp_ieee_underflow 0
		.amdhsa_exception_fp_ieee_inexact 0
		.amdhsa_exception_int_div_zero 0
	.end_amdhsa_kernel
	.section	.text._ZN9rocsparseL19gebsrmvn_2xn_kernelILj128ELj6ELj8E21rocsparse_complex_numIdEEEvi20rocsparse_direction_NS_24const_host_device_scalarIT2_EEPKiS8_PKS5_SA_S6_PS5_21rocsparse_index_base_b,"axG",@progbits,_ZN9rocsparseL19gebsrmvn_2xn_kernelILj128ELj6ELj8E21rocsparse_complex_numIdEEEvi20rocsparse_direction_NS_24const_host_device_scalarIT2_EEPKiS8_PKS5_SA_S6_PS5_21rocsparse_index_base_b,comdat
.Lfunc_end249:
	.size	_ZN9rocsparseL19gebsrmvn_2xn_kernelILj128ELj6ELj8E21rocsparse_complex_numIdEEEvi20rocsparse_direction_NS_24const_host_device_scalarIT2_EEPKiS8_PKS5_SA_S6_PS5_21rocsparse_index_base_b, .Lfunc_end249-_ZN9rocsparseL19gebsrmvn_2xn_kernelILj128ELj6ELj8E21rocsparse_complex_numIdEEEvi20rocsparse_direction_NS_24const_host_device_scalarIT2_EEPKiS8_PKS5_SA_S6_PS5_21rocsparse_index_base_b
                                        ; -- End function
	.set _ZN9rocsparseL19gebsrmvn_2xn_kernelILj128ELj6ELj8E21rocsparse_complex_numIdEEEvi20rocsparse_direction_NS_24const_host_device_scalarIT2_EEPKiS8_PKS5_SA_S6_PS5_21rocsparse_index_base_b.num_vgpr, 98
	.set _ZN9rocsparseL19gebsrmvn_2xn_kernelILj128ELj6ELj8E21rocsparse_complex_numIdEEEvi20rocsparse_direction_NS_24const_host_device_scalarIT2_EEPKiS8_PKS5_SA_S6_PS5_21rocsparse_index_base_b.num_agpr, 0
	.set _ZN9rocsparseL19gebsrmvn_2xn_kernelILj128ELj6ELj8E21rocsparse_complex_numIdEEEvi20rocsparse_direction_NS_24const_host_device_scalarIT2_EEPKiS8_PKS5_SA_S6_PS5_21rocsparse_index_base_b.numbered_sgpr, 16
	.set _ZN9rocsparseL19gebsrmvn_2xn_kernelILj128ELj6ELj8E21rocsparse_complex_numIdEEEvi20rocsparse_direction_NS_24const_host_device_scalarIT2_EEPKiS8_PKS5_SA_S6_PS5_21rocsparse_index_base_b.num_named_barrier, 0
	.set _ZN9rocsparseL19gebsrmvn_2xn_kernelILj128ELj6ELj8E21rocsparse_complex_numIdEEEvi20rocsparse_direction_NS_24const_host_device_scalarIT2_EEPKiS8_PKS5_SA_S6_PS5_21rocsparse_index_base_b.private_seg_size, 0
	.set _ZN9rocsparseL19gebsrmvn_2xn_kernelILj128ELj6ELj8E21rocsparse_complex_numIdEEEvi20rocsparse_direction_NS_24const_host_device_scalarIT2_EEPKiS8_PKS5_SA_S6_PS5_21rocsparse_index_base_b.uses_vcc, 1
	.set _ZN9rocsparseL19gebsrmvn_2xn_kernelILj128ELj6ELj8E21rocsparse_complex_numIdEEEvi20rocsparse_direction_NS_24const_host_device_scalarIT2_EEPKiS8_PKS5_SA_S6_PS5_21rocsparse_index_base_b.uses_flat_scratch, 0
	.set _ZN9rocsparseL19gebsrmvn_2xn_kernelILj128ELj6ELj8E21rocsparse_complex_numIdEEEvi20rocsparse_direction_NS_24const_host_device_scalarIT2_EEPKiS8_PKS5_SA_S6_PS5_21rocsparse_index_base_b.has_dyn_sized_stack, 0
	.set _ZN9rocsparseL19gebsrmvn_2xn_kernelILj128ELj6ELj8E21rocsparse_complex_numIdEEEvi20rocsparse_direction_NS_24const_host_device_scalarIT2_EEPKiS8_PKS5_SA_S6_PS5_21rocsparse_index_base_b.has_recursion, 0
	.set _ZN9rocsparseL19gebsrmvn_2xn_kernelILj128ELj6ELj8E21rocsparse_complex_numIdEEEvi20rocsparse_direction_NS_24const_host_device_scalarIT2_EEPKiS8_PKS5_SA_S6_PS5_21rocsparse_index_base_b.has_indirect_call, 0
	.section	.AMDGPU.csdata,"",@progbits
; Kernel info:
; codeLenInByte = 3140
; TotalNumSgprs: 18
; NumVgprs: 98
; ScratchSize: 0
; MemoryBound: 0
; FloatMode: 240
; IeeeMode: 1
; LDSByteSize: 0 bytes/workgroup (compile time only)
; SGPRBlocks: 0
; VGPRBlocks: 12
; NumSGPRsForWavesPerEU: 18
; NumVGPRsForWavesPerEU: 98
; Occupancy: 9
; WaveLimiterHint : 1
; COMPUTE_PGM_RSRC2:SCRATCH_EN: 0
; COMPUTE_PGM_RSRC2:USER_SGPR: 6
; COMPUTE_PGM_RSRC2:TRAP_HANDLER: 0
; COMPUTE_PGM_RSRC2:TGID_X_EN: 1
; COMPUTE_PGM_RSRC2:TGID_Y_EN: 0
; COMPUTE_PGM_RSRC2:TGID_Z_EN: 0
; COMPUTE_PGM_RSRC2:TIDIG_COMP_CNT: 0
	.section	.text._ZN9rocsparseL19gebsrmvn_2xn_kernelILj128ELj6ELj16E21rocsparse_complex_numIdEEEvi20rocsparse_direction_NS_24const_host_device_scalarIT2_EEPKiS8_PKS5_SA_S6_PS5_21rocsparse_index_base_b,"axG",@progbits,_ZN9rocsparseL19gebsrmvn_2xn_kernelILj128ELj6ELj16E21rocsparse_complex_numIdEEEvi20rocsparse_direction_NS_24const_host_device_scalarIT2_EEPKiS8_PKS5_SA_S6_PS5_21rocsparse_index_base_b,comdat
	.globl	_ZN9rocsparseL19gebsrmvn_2xn_kernelILj128ELj6ELj16E21rocsparse_complex_numIdEEEvi20rocsparse_direction_NS_24const_host_device_scalarIT2_EEPKiS8_PKS5_SA_S6_PS5_21rocsparse_index_base_b ; -- Begin function _ZN9rocsparseL19gebsrmvn_2xn_kernelILj128ELj6ELj16E21rocsparse_complex_numIdEEEvi20rocsparse_direction_NS_24const_host_device_scalarIT2_EEPKiS8_PKS5_SA_S6_PS5_21rocsparse_index_base_b
	.p2align	8
	.type	_ZN9rocsparseL19gebsrmvn_2xn_kernelILj128ELj6ELj16E21rocsparse_complex_numIdEEEvi20rocsparse_direction_NS_24const_host_device_scalarIT2_EEPKiS8_PKS5_SA_S6_PS5_21rocsparse_index_base_b,@function
_ZN9rocsparseL19gebsrmvn_2xn_kernelILj128ELj6ELj16E21rocsparse_complex_numIdEEEvi20rocsparse_direction_NS_24const_host_device_scalarIT2_EEPKiS8_PKS5_SA_S6_PS5_21rocsparse_index_base_b: ; @_ZN9rocsparseL19gebsrmvn_2xn_kernelILj128ELj6ELj16E21rocsparse_complex_numIdEEEvi20rocsparse_direction_NS_24const_host_device_scalarIT2_EEPKiS8_PKS5_SA_S6_PS5_21rocsparse_index_base_b
; %bb.0:
	s_clause 0x1
	s_load_dwordx2 s[2:3], s[4:5], 0x50
	s_load_dwordx2 s[0:1], s[4:5], 0x8
	s_add_u32 s7, s4, 8
	s_addc_u32 s10, s5, 0
	s_add_u32 s11, s4, 56
	s_addc_u32 s12, s5, 0
	s_load_dwordx2 s[8:9], s[4:5], 0x38
	s_waitcnt lgkmcnt(0)
	s_bitcmp1_b32 s3, 0
	s_cselect_b32 s0, s7, s0
	s_cselect_b32 s1, s10, s1
	v_mov_b32_e32 v1, s0
	v_mov_b32_e32 v2, s1
	s_cselect_b32 s0, s11, s8
	s_cselect_b32 s1, s12, s9
	v_mov_b32_e32 v5, s0
	v_mov_b32_e32 v6, s1
	flat_load_dwordx4 v[1:4], v[1:2]
	flat_load_dwordx4 v[5:8], v[5:6]
	s_waitcnt vmcnt(1) lgkmcnt(1)
	v_cmp_eq_f64_e32 vcc_lo, 0, v[1:2]
	v_cmp_eq_f64_e64 s0, 0, v[3:4]
	s_and_b32 s3, vcc_lo, s0
	s_mov_b32 s0, -1
	s_and_saveexec_b32 s1, s3
	s_cbranch_execz .LBB250_2
; %bb.1:
	s_waitcnt vmcnt(0) lgkmcnt(0)
	v_cmp_neq_f64_e32 vcc_lo, 1.0, v[5:6]
	v_cmp_neq_f64_e64 s0, 0, v[7:8]
	s_or_b32 s0, vcc_lo, s0
	s_orn2_b32 s0, s0, exec_lo
.LBB250_2:
	s_or_b32 exec_lo, exec_lo, s1
	s_and_saveexec_b32 s1, s0
	s_cbranch_execz .LBB250_21
; %bb.3:
	s_load_dwordx2 s[0:1], s[4:5], 0x0
	v_lshrrev_b32_e32 v9, 4, v0
	v_lshl_or_b32 v9, s6, 3, v9
	s_waitcnt lgkmcnt(0)
	v_cmp_gt_i32_e32 vcc_lo, s0, v9
	s_and_b32 exec_lo, exec_lo, vcc_lo
	s_cbranch_execz .LBB250_21
; %bb.4:
	s_load_dwordx8 s[8:15], s[4:5], 0x18
	v_ashrrev_i32_e32 v10, 31, v9
	v_and_b32_e32 v0, 15, v0
	s_cmp_lg_u32 s1, 0
	v_lshlrev_b64 v[10:11], 2, v[9:10]
	s_waitcnt lgkmcnt(0)
	v_add_co_u32 v10, vcc_lo, s8, v10
	v_add_co_ci_u32_e64 v11, null, s9, v11, vcc_lo
	global_load_dwordx2 v[10:11], v[10:11], off
	s_waitcnt vmcnt(0)
	v_subrev_nc_u32_e32 v10, s2, v10
	v_subrev_nc_u32_e32 v25, s2, v11
	v_add_nc_u32_e32 v10, v10, v0
	v_cmp_lt_i32_e64 s0, v10, v25
	s_cbranch_scc0 .LBB250_10
; %bb.5:
	v_mov_b32_e32 v12, 0
	v_mov_b32_e32 v18, 0
	;; [unrolled: 1-line block ×8, first 2 shown]
	s_and_saveexec_b32 s1, s0
	s_cbranch_execz .LBB250_9
; %bb.6:
	v_mad_u64_u32 v[20:21], null, v10, 12, 10
	v_mov_b32_e32 v12, 0
	v_mov_b32_e32 v18, 0
	;; [unrolled: 1-line block ×10, first 2 shown]
	s_mov_b32 s3, 0
.LBB250_7:                              ; =>This Inner Loop Header: Depth=1
	v_ashrrev_i32_e32 v24, 31, v23
	v_add_nc_u32_e32 v21, -10, v20
	v_mov_b32_e32 v75, v22
	v_lshlrev_b64 v[26:27], 2, v[23:24]
	v_add_nc_u32_e32 v23, 16, v23
	v_add_co_u32 v26, vcc_lo, s10, v26
	v_add_co_ci_u32_e64 v27, null, s11, v27, vcc_lo
	global_load_dword v11, v[26:27], off
	v_lshlrev_b64 v[26:27], 4, v[21:22]
	v_add_nc_u32_e32 v21, -6, v20
	v_lshlrev_b64 v[50:51], 4, v[21:22]
	v_add_co_u32 v42, vcc_lo, s12, v26
	v_add_co_ci_u32_e64 v43, null, s13, v27, vcc_lo
	global_load_dwordx4 v[26:29], v[42:43], off offset:16
	s_waitcnt vmcnt(1)
	v_subrev_nc_u32_e32 v11, s2, v11
	v_mul_lo_u32 v74, v11, 6
	v_lshlrev_b64 v[30:31], 4, v[74:75]
	v_add_nc_u32_e32 v21, 2, v74
	v_lshlrev_b64 v[56:57], 4, v[21:22]
	v_add_co_u32 v46, vcc_lo, s14, v30
	v_add_co_ci_u32_e64 v47, null, s15, v31, vcc_lo
	v_add_co_u32 v54, vcc_lo, s12, v50
	global_load_dwordx4 v[30:33], v[42:43], off
	global_load_dwordx4 v[34:37], v[46:47], off
	s_clause 0x1
	global_load_dwordx4 v[38:41], v[42:43], off offset:32
	global_load_dwordx4 v[42:45], v[42:43], off offset:48
	;; [unrolled: 1-line block ×3, first 2 shown]
	v_add_co_ci_u32_e64 v55, null, s13, v51, vcc_lo
	v_add_co_u32 v62, vcc_lo, s14, v56
	v_add_co_ci_u32_e64 v63, null, s15, v57, vcc_lo
	s_clause 0x1
	global_load_dwordx4 v[50:53], v[54:55], off offset:16
	global_load_dwordx4 v[54:57], v[54:55], off
	global_load_dwordx4 v[58:61], v[62:63], off
	v_add_nc_u32_e32 v21, -4, v20
	v_lshlrev_b64 v[64:65], 4, v[21:22]
	v_add_nc_u32_e32 v21, -2, v20
	v_add_co_u32 v70, vcc_lo, s12, v64
	v_add_co_ci_u32_e64 v71, null, s13, v65, vcc_lo
	global_load_dwordx4 v[62:65], v[62:63], off offset:16
	s_clause 0x1
	global_load_dwordx4 v[66:69], v[70:71], off
	global_load_dwordx4 v[70:73], v[70:71], off offset:16
	v_lshlrev_b64 v[75:76], 4, v[21:22]
	v_add_nc_u32_e32 v21, 4, v74
	v_lshlrev_b64 v[77:78], 4, v[21:22]
	v_add_co_u32 v79, vcc_lo, s12, v75
	v_add_co_ci_u32_e64 v80, null, s13, v76, vcc_lo
	v_mov_b32_e32 v21, v22
	v_add_co_u32 v94, vcc_lo, s14, v77
	v_add_co_ci_u32_e64 v95, null, s15, v78, vcc_lo
	s_clause 0x1
	global_load_dwordx4 v[74:77], v[79:80], off offset:16
	global_load_dwordx4 v[78:81], v[79:80], off
	global_load_dwordx4 v[82:85], v[94:95], off
	v_lshlrev_b64 v[86:87], 4, v[20:21]
	v_add_nc_u32_e32 v20, 0xc0, v20
	v_add_co_u32 v90, vcc_lo, s12, v86
	v_add_co_ci_u32_e64 v91, null, s13, v87, vcc_lo
	s_clause 0x1
	global_load_dwordx4 v[86:89], v[90:91], off
	global_load_dwordx4 v[90:93], v[90:91], off offset:16
	global_load_dwordx4 v[94:97], v[94:95], off offset:16
	v_cmp_ge_i32_e32 vcc_lo, v23, v25
	s_or_b32 s3, vcc_lo, s3
	s_waitcnt vmcnt(15)
	v_fma_f64 v[18:19], v[30:31], v[34:35], v[18:19]
	v_fma_f64 v[11:12], v[32:33], v[34:35], v[12:13]
	v_fma_f64 v[13:14], v[26:27], v[34:35], v[14:15]
	v_fma_f64 v[15:16], v[28:29], v[34:35], v[16:17]
	v_fma_f64 v[17:18], -v[32:33], v[36:37], v[18:19]
	v_fma_f64 v[11:12], v[30:31], v[36:37], v[11:12]
	v_fma_f64 v[13:14], -v[28:29], v[36:37], v[13:14]
	v_fma_f64 v[15:16], v[26:27], v[36:37], v[15:16]
	s_waitcnt vmcnt(12)
	v_fma_f64 v[17:18], v[38:39], v[46:47], v[17:18]
	v_fma_f64 v[11:12], v[40:41], v[46:47], v[11:12]
	v_fma_f64 v[13:14], v[42:43], v[46:47], v[13:14]
	v_fma_f64 v[15:16], v[44:45], v[46:47], v[15:16]
	v_fma_f64 v[17:18], -v[40:41], v[48:49], v[17:18]
	v_fma_f64 v[11:12], v[38:39], v[48:49], v[11:12]
	v_fma_f64 v[13:14], -v[44:45], v[48:49], v[13:14]
	v_fma_f64 v[15:16], v[42:43], v[48:49], v[15:16]
	;; [unrolled: 9-line block ×3, first 2 shown]
	s_waitcnt vmcnt(7)
	v_fma_f64 v[17:18], v[66:67], v[62:63], v[17:18]
	v_fma_f64 v[11:12], v[68:69], v[62:63], v[11:12]
	s_waitcnt vmcnt(6)
	v_fma_f64 v[13:14], v[70:71], v[62:63], v[13:14]
	v_fma_f64 v[15:16], v[72:73], v[62:63], v[15:16]
	v_fma_f64 v[17:18], -v[68:69], v[64:65], v[17:18]
	v_fma_f64 v[11:12], v[66:67], v[64:65], v[11:12]
	v_fma_f64 v[13:14], -v[72:73], v[64:65], v[13:14]
	v_fma_f64 v[15:16], v[70:71], v[64:65], v[15:16]
	s_waitcnt vmcnt(3)
	v_fma_f64 v[17:18], v[78:79], v[82:83], v[17:18]
	v_fma_f64 v[11:12], v[80:81], v[82:83], v[11:12]
	;; [unrolled: 1-line block ×4, first 2 shown]
	v_fma_f64 v[17:18], -v[80:81], v[84:85], v[17:18]
	v_fma_f64 v[11:12], v[78:79], v[84:85], v[11:12]
	v_fma_f64 v[13:14], -v[76:77], v[84:85], v[13:14]
	v_fma_f64 v[15:16], v[74:75], v[84:85], v[15:16]
	s_waitcnt vmcnt(0)
	v_fma_f64 v[17:18], v[86:87], v[94:95], v[17:18]
	v_fma_f64 v[11:12], v[88:89], v[94:95], v[11:12]
	;; [unrolled: 1-line block ×4, first 2 shown]
	v_fma_f64 v[18:19], -v[88:89], v[96:97], v[17:18]
	v_fma_f64 v[12:13], v[86:87], v[96:97], v[11:12]
	v_fma_f64 v[14:15], -v[92:93], v[96:97], v[26:27]
	v_fma_f64 v[16:17], v[90:91], v[96:97], v[28:29]
	s_andn2_b32 exec_lo, exec_lo, s3
	s_cbranch_execnz .LBB250_7
; %bb.8:
	s_or_b32 exec_lo, exec_lo, s3
.LBB250_9:
	s_or_b32 exec_lo, exec_lo, s1
	s_cbranch_execz .LBB250_11
	s_branch .LBB250_16
.LBB250_10:
                                        ; implicit-def: $vgpr12_vgpr13
                                        ; implicit-def: $vgpr18_vgpr19
                                        ; implicit-def: $vgpr14_vgpr15
                                        ; implicit-def: $vgpr16_vgpr17
.LBB250_11:
	v_mov_b32_e32 v12, 0
	v_mov_b32_e32 v18, 0
	;; [unrolled: 1-line block ×8, first 2 shown]
	s_and_saveexec_b32 s1, s0
	s_cbranch_execz .LBB250_15
; %bb.12:
	v_mad_u64_u32 v[20:21], null, v10, 12, 11
	v_mov_b32_e32 v12, 0
	v_mov_b32_e32 v18, 0
	;; [unrolled: 1-line block ×9, first 2 shown]
	s_mov_b32 s0, 0
.LBB250_13:                             ; =>This Inner Loop Header: Depth=1
	v_ashrrev_i32_e32 v11, 31, v10
	v_add_nc_u32_e32 v26, -5, v20
	v_mov_b32_e32 v27, v23
	v_mov_b32_e32 v71, v23
	v_lshlrev_b64 v[21:22], 2, v[10:11]
	v_add_nc_u32_e32 v10, 16, v10
	v_lshlrev_b64 v[26:27], 4, v[26:27]
	v_add_co_u32 v21, vcc_lo, s10, v21
	v_add_co_ci_u32_e64 v22, null, s11, v22, vcc_lo
	global_load_dword v11, v[21:22], off
	v_add_nc_u32_e32 v22, -11, v20
	v_lshlrev_b64 v[21:22], 4, v[22:23]
	v_add_co_u32 v54, vcc_lo, s12, v21
	v_add_co_ci_u32_e64 v55, null, s13, v22, vcc_lo
	v_add_co_u32 v21, vcc_lo, s12, v26
	v_add_co_ci_u32_e64 v22, null, s13, v27, vcc_lo
	s_clause 0x2
	global_load_dwordx4 v[26:29], v[54:55], off offset:16
	global_load_dwordx4 v[30:33], v[54:55], off
	global_load_dwordx4 v[34:37], v[21:22], off
	s_waitcnt vmcnt(3)
	v_subrev_nc_u32_e32 v11, s2, v11
	v_mul_lo_u32 v70, v11, 6
	v_lshlrev_b64 v[21:22], 4, v[70:71]
	v_add_co_u32 v46, vcc_lo, s14, v21
	v_add_co_ci_u32_e64 v47, null, s15, v22, vcc_lo
	v_add_nc_u32_e32 v22, -4, v20
	global_load_dwordx4 v[38:41], v[46:47], off
	v_lshlrev_b64 v[21:22], 4, v[22:23]
	v_add_co_u32 v21, vcc_lo, s12, v21
	v_add_co_ci_u32_e64 v22, null, s13, v22, vcc_lo
	global_load_dwordx4 v[42:45], v[21:22], off
	global_load_dwordx4 v[46:49], v[46:47], off offset:16
	v_add_nc_u32_e32 v22, 2, v70
	global_load_dwordx4 v[50:53], v[54:55], off offset:48
	v_lshlrev_b64 v[56:57], 4, v[22:23]
	v_add_nc_u32_e32 v22, -3, v20
	v_lshlrev_b64 v[21:22], 4, v[22:23]
	v_add_co_u32 v66, vcc_lo, s14, v56
	v_add_co_ci_u32_e64 v67, null, s15, v57, vcc_lo
	v_add_co_u32 v21, vcc_lo, s12, v21
	v_add_co_ci_u32_e64 v22, null, s13, v22, vcc_lo
	global_load_dwordx4 v[54:57], v[54:55], off offset:32
	global_load_dwordx4 v[58:61], v[66:67], off
	global_load_dwordx4 v[62:65], v[21:22], off
	v_add_nc_u32_e32 v22, -2, v20
	global_load_dwordx4 v[66:69], v[66:67], off offset:16
	v_mov_b32_e32 v21, v23
	v_lshlrev_b64 v[71:72], 4, v[22:23]
	v_add_nc_u32_e32 v22, -7, v20
	v_lshlrev_b64 v[73:74], 4, v[22:23]
	v_add_nc_u32_e32 v22, 4, v70
	v_add_co_u32 v70, vcc_lo, s12, v71
	v_add_co_ci_u32_e64 v71, null, s13, v72, vcc_lo
	v_add_co_u32 v75, vcc_lo, s12, v73
	v_lshlrev_b64 v[78:79], 4, v[22:23]
	global_load_dwordx4 v[70:73], v[70:71], off
	v_add_nc_u32_e32 v22, -1, v20
	v_add_co_ci_u32_e64 v76, null, s13, v74, vcc_lo
	v_add_co_u32 v82, vcc_lo, s14, v78
	v_lshlrev_b64 v[80:81], 4, v[22:23]
	v_add_co_ci_u32_e64 v83, null, s15, v79, vcc_lo
	global_load_dwordx4 v[74:77], v[75:76], off
	v_add_nc_u32_e32 v22, -6, v20
	v_add_co_u32 v84, vcc_lo, s12, v80
	v_add_co_ci_u32_e64 v85, null, s13, v81, vcc_lo
	global_load_dwordx4 v[78:81], v[82:83], off offset:16
	s_waitcnt vmcnt(10)
	v_fma_f64 v[18:19], v[30:31], v[38:39], v[18:19]
	v_fma_f64 v[11:12], v[32:33], v[38:39], v[12:13]
	v_fma_f64 v[18:19], -v[32:33], v[40:41], v[18:19]
	v_fma_f64 v[86:87], v[30:31], v[40:41], v[11:12]
	global_load_dwordx4 v[30:33], v[82:83], off
	global_load_dwordx4 v[82:85], v[84:85], off
	v_fma_f64 v[11:12], v[34:35], v[38:39], v[14:15]
	v_fma_f64 v[13:14], v[36:37], v[38:39], v[16:17]
	s_waitcnt vmcnt(10)
	v_fma_f64 v[17:18], v[26:27], v[46:47], v[18:19]
	v_fma_f64 v[15:16], -v[36:37], v[40:41], v[11:12]
	v_lshlrev_b64 v[11:12], 4, v[20:21]
	v_fma_f64 v[38:39], v[34:35], v[40:41], v[13:14]
	v_lshlrev_b64 v[13:14], 4, v[22:23]
	v_fma_f64 v[21:22], v[28:29], v[46:47], v[86:87]
	v_add_nc_u32_e32 v20, 0xc0, v20
	v_add_co_u32 v11, vcc_lo, s12, v11
	v_add_co_ci_u32_e64 v12, null, s13, v12, vcc_lo
	v_add_co_u32 v13, vcc_lo, s12, v13
	v_add_co_ci_u32_e64 v14, null, s13, v14, vcc_lo
	s_clause 0x1
	global_load_dwordx4 v[34:37], v[11:12], off
	global_load_dwordx4 v[11:14], v[13:14], off
	v_cmp_ge_i32_e32 vcc_lo, v10, v25
	v_fma_f64 v[17:18], -v[28:29], v[48:49], v[17:18]
	v_fma_f64 v[15:16], v[42:43], v[46:47], v[15:16]
	s_or_b32 s0, vcc_lo, s0
	v_fma_f64 v[38:39], v[44:45], v[46:47], v[38:39]
	v_fma_f64 v[21:22], v[26:27], v[48:49], v[21:22]
	s_waitcnt vmcnt(9)
	v_fma_f64 v[17:18], v[54:55], v[58:59], v[17:18]
	v_fma_f64 v[15:16], -v[44:45], v[48:49], v[15:16]
	v_fma_f64 v[26:27], v[42:43], v[48:49], v[38:39]
	v_fma_f64 v[21:22], v[56:57], v[58:59], v[21:22]
	v_fma_f64 v[17:18], -v[56:57], v[60:61], v[17:18]
	s_waitcnt vmcnt(8)
	v_fma_f64 v[15:16], v[62:63], v[58:59], v[15:16]
	v_fma_f64 v[26:27], v[64:65], v[58:59], v[26:27]
	;; [unrolled: 1-line block ×3, first 2 shown]
	s_waitcnt vmcnt(7)
	v_fma_f64 v[17:18], v[50:51], v[66:67], v[17:18]
	v_fma_f64 v[15:16], -v[64:65], v[60:61], v[15:16]
	v_fma_f64 v[26:27], v[62:63], v[60:61], v[26:27]
	v_fma_f64 v[21:22], v[52:53], v[66:67], v[21:22]
	v_fma_f64 v[17:18], -v[52:53], v[68:69], v[17:18]
	s_waitcnt vmcnt(6)
	v_fma_f64 v[15:16], v[70:71], v[66:67], v[15:16]
	v_fma_f64 v[26:27], v[72:73], v[66:67], v[26:27]
	v_fma_f64 v[21:22], v[50:51], v[68:69], v[21:22]
	v_fma_f64 v[15:16], -v[72:73], v[68:69], v[15:16]
	v_fma_f64 v[26:27], v[70:71], v[68:69], v[26:27]
	s_waitcnt vmcnt(3)
	v_fma_f64 v[17:18], v[74:75], v[30:31], v[17:18]
	v_fma_f64 v[21:22], v[76:77], v[30:31], v[21:22]
	s_waitcnt vmcnt(2)
	v_fma_f64 v[15:16], v[82:83], v[30:31], v[15:16]
	v_fma_f64 v[26:27], v[84:85], v[30:31], v[26:27]
	v_fma_f64 v[17:18], -v[76:77], v[32:33], v[17:18]
	v_fma_f64 v[21:22], v[74:75], v[32:33], v[21:22]
	v_fma_f64 v[15:16], -v[84:85], v[32:33], v[15:16]
	v_fma_f64 v[26:27], v[82:83], v[32:33], v[26:27]
	s_waitcnt vmcnt(0)
	v_fma_f64 v[17:18], v[11:12], v[78:79], v[17:18]
	v_fma_f64 v[21:22], v[13:14], v[78:79], v[21:22]
	;; [unrolled: 1-line block ×4, first 2 shown]
	v_fma_f64 v[18:19], -v[13:14], v[80:81], v[17:18]
	v_fma_f64 v[12:13], v[11:12], v[80:81], v[21:22]
	v_fma_f64 v[14:15], -v[36:37], v[80:81], v[15:16]
	v_fma_f64 v[16:17], v[34:35], v[80:81], v[26:27]
	s_andn2_b32 exec_lo, exec_lo, s0
	s_cbranch_execnz .LBB250_13
; %bb.14:
	s_or_b32 exec_lo, exec_lo, s0
.LBB250_15:
	s_or_b32 exec_lo, exec_lo, s1
.LBB250_16:
	v_mbcnt_lo_u32_b32 v26, -1, 0
	v_xor_b32_e32 v10, 8, v26
	v_cmp_gt_i32_e32 vcc_lo, 32, v10
	v_cndmask_b32_e32 v10, v26, v10, vcc_lo
	v_lshlrev_b32_e32 v25, 2, v10
	ds_bpermute_b32 v10, v25, v18
	ds_bpermute_b32 v11, v25, v19
	ds_bpermute_b32 v20, v25, v12
	ds_bpermute_b32 v21, v25, v13
	ds_bpermute_b32 v22, v25, v14
	ds_bpermute_b32 v23, v25, v15
	ds_bpermute_b32 v24, v25, v16
	ds_bpermute_b32 v25, v25, v17
	s_waitcnt lgkmcnt(6)
	v_add_f64 v[10:11], v[18:19], v[10:11]
	v_xor_b32_e32 v18, 4, v26
	s_waitcnt lgkmcnt(4)
	v_add_f64 v[12:13], v[12:13], v[20:21]
	s_waitcnt lgkmcnt(2)
	v_add_f64 v[14:15], v[14:15], v[22:23]
	;; [unrolled: 2-line block ×3, first 2 shown]
	v_cmp_gt_i32_e32 vcc_lo, 32, v18
	v_cndmask_b32_e32 v18, v26, v18, vcc_lo
	v_lshlrev_b32_e32 v25, 2, v18
	ds_bpermute_b32 v18, v25, v10
	ds_bpermute_b32 v19, v25, v11
	;; [unrolled: 1-line block ×8, first 2 shown]
	s_waitcnt lgkmcnt(6)
	v_add_f64 v[10:11], v[10:11], v[18:19]
	s_waitcnt lgkmcnt(4)
	v_add_f64 v[12:13], v[12:13], v[20:21]
	;; [unrolled: 2-line block ×4, first 2 shown]
	v_xor_b32_e32 v16, 2, v26
	v_cmp_gt_i32_e32 vcc_lo, 32, v16
	v_cndmask_b32_e32 v16, v26, v16, vcc_lo
	v_lshlrev_b32_e32 v25, 2, v16
	ds_bpermute_b32 v16, v25, v10
	ds_bpermute_b32 v17, v25, v11
	;; [unrolled: 1-line block ×8, first 2 shown]
	s_waitcnt lgkmcnt(6)
	v_add_f64 v[10:11], v[10:11], v[16:17]
	s_waitcnt lgkmcnt(4)
	v_add_f64 v[16:17], v[12:13], v[20:21]
	;; [unrolled: 2-line block ×4, first 2 shown]
	v_xor_b32_e32 v18, 1, v26
	v_cmp_gt_i32_e32 vcc_lo, 32, v18
	v_cndmask_b32_e32 v18, v26, v18, vcc_lo
	v_cmp_eq_u32_e32 vcc_lo, 15, v0
	v_lshlrev_b32_e32 v21, 2, v18
	ds_bpermute_b32 v24, v21, v10
	ds_bpermute_b32 v25, v21, v11
	;; [unrolled: 1-line block ×8, first 2 shown]
	s_and_b32 exec_lo, exec_lo, vcc_lo
	s_cbranch_execz .LBB250_21
; %bb.17:
	v_cmp_eq_f64_e32 vcc_lo, 0, v[5:6]
	v_cmp_eq_f64_e64 s0, 0, v[7:8]
	s_waitcnt lgkmcnt(6)
	v_add_f64 v[10:11], v[10:11], v[24:25]
	s_waitcnt lgkmcnt(4)
	v_add_f64 v[16:17], v[16:17], v[22:23]
	;; [unrolled: 2-line block ×4, first 2 shown]
	s_load_dwordx2 s[2:3], s[4:5], 0x48
	s_and_b32 s0, vcc_lo, s0
	s_and_saveexec_b32 s1, s0
	s_xor_b32 s0, exec_lo, s1
	s_cbranch_execz .LBB250_19
; %bb.18:
	v_mul_f64 v[5:6], v[16:17], -v[3:4]
	v_mul_f64 v[7:8], v[1:2], v[16:17]
	v_mul_f64 v[16:17], v[14:15], -v[3:4]
	v_mul_f64 v[14:15], v[1:2], v[14:15]
	v_lshlrev_b32_e32 v9, 1, v9
	v_fma_f64 v[5:6], v[1:2], v[10:11], v[5:6]
	v_fma_f64 v[7:8], v[3:4], v[10:11], v[7:8]
	;; [unrolled: 1-line block ×4, first 2 shown]
	v_ashrrev_i32_e32 v10, 31, v9
                                        ; implicit-def: $vgpr16_vgpr17
                                        ; implicit-def: $vgpr12_vgpr13
                                        ; implicit-def: $vgpr14_vgpr15
	v_lshlrev_b64 v[9:10], 4, v[9:10]
	s_waitcnt lgkmcnt(0)
	v_add_co_u32 v9, vcc_lo, s2, v9
	v_add_co_ci_u32_e64 v10, null, s3, v10, vcc_lo
	global_store_dwordx4 v[9:10], v[5:8], off
	global_store_dwordx4 v[9:10], v[0:3], off offset:16
                                        ; implicit-def: $vgpr9
                                        ; implicit-def: $vgpr10_vgpr11
                                        ; implicit-def: $vgpr7_vgpr8
                                        ; implicit-def: $vgpr3_vgpr4
.LBB250_19:
	s_andn2_saveexec_b32 s0, s0
	s_cbranch_execz .LBB250_21
; %bb.20:
	v_lshlrev_b32_e32 v18, 1, v9
	v_mul_f64 v[28:29], v[16:17], -v[3:4]
	v_mul_f64 v[16:17], v[1:2], v[16:17]
	v_mul_f64 v[30:31], v[14:15], -v[3:4]
	v_mul_f64 v[14:15], v[1:2], v[14:15]
	v_ashrrev_i32_e32 v19, 31, v18
	v_lshlrev_b64 v[18:19], 4, v[18:19]
	s_waitcnt lgkmcnt(0)
	v_add_co_u32 v26, vcc_lo, s2, v18
	v_add_co_ci_u32_e64 v27, null, s3, v19, vcc_lo
	s_clause 0x1
	global_load_dwordx4 v[18:21], v[26:27], off
	global_load_dwordx4 v[22:25], v[26:27], off offset:16
	v_fma_f64 v[28:29], v[1:2], v[10:11], v[28:29]
	v_fma_f64 v[9:10], v[3:4], v[10:11], v[16:17]
	;; [unrolled: 1-line block ×4, first 2 shown]
	s_waitcnt vmcnt(1)
	v_fma_f64 v[11:12], v[5:6], v[18:19], v[28:29]
	v_fma_f64 v[9:10], v[7:8], v[18:19], v[9:10]
	s_waitcnt vmcnt(0)
	v_fma_f64 v[13:14], v[5:6], v[22:23], v[0:1]
	v_fma_f64 v[15:16], v[7:8], v[22:23], v[2:3]
	v_fma_f64 v[0:1], -v[7:8], v[20:21], v[11:12]
	v_fma_f64 v[2:3], v[5:6], v[20:21], v[9:10]
	v_fma_f64 v[7:8], -v[7:8], v[24:25], v[13:14]
	v_fma_f64 v[9:10], v[5:6], v[24:25], v[15:16]
	global_store_dwordx4 v[26:27], v[0:3], off
	global_store_dwordx4 v[26:27], v[7:10], off offset:16
.LBB250_21:
	s_endpgm
	.section	.rodata,"a",@progbits
	.p2align	6, 0x0
	.amdhsa_kernel _ZN9rocsparseL19gebsrmvn_2xn_kernelILj128ELj6ELj16E21rocsparse_complex_numIdEEEvi20rocsparse_direction_NS_24const_host_device_scalarIT2_EEPKiS8_PKS5_SA_S6_PS5_21rocsparse_index_base_b
		.amdhsa_group_segment_fixed_size 0
		.amdhsa_private_segment_fixed_size 0
		.amdhsa_kernarg_size 88
		.amdhsa_user_sgpr_count 6
		.amdhsa_user_sgpr_private_segment_buffer 1
		.amdhsa_user_sgpr_dispatch_ptr 0
		.amdhsa_user_sgpr_queue_ptr 0
		.amdhsa_user_sgpr_kernarg_segment_ptr 1
		.amdhsa_user_sgpr_dispatch_id 0
		.amdhsa_user_sgpr_flat_scratch_init 0
		.amdhsa_user_sgpr_private_segment_size 0
		.amdhsa_wavefront_size32 1
		.amdhsa_uses_dynamic_stack 0
		.amdhsa_system_sgpr_private_segment_wavefront_offset 0
		.amdhsa_system_sgpr_workgroup_id_x 1
		.amdhsa_system_sgpr_workgroup_id_y 0
		.amdhsa_system_sgpr_workgroup_id_z 0
		.amdhsa_system_sgpr_workgroup_info 0
		.amdhsa_system_vgpr_workitem_id 0
		.amdhsa_next_free_vgpr 98
		.amdhsa_next_free_sgpr 16
		.amdhsa_reserve_vcc 1
		.amdhsa_reserve_flat_scratch 0
		.amdhsa_float_round_mode_32 0
		.amdhsa_float_round_mode_16_64 0
		.amdhsa_float_denorm_mode_32 3
		.amdhsa_float_denorm_mode_16_64 3
		.amdhsa_dx10_clamp 1
		.amdhsa_ieee_mode 1
		.amdhsa_fp16_overflow 0
		.amdhsa_workgroup_processor_mode 1
		.amdhsa_memory_ordered 1
		.amdhsa_forward_progress 1
		.amdhsa_shared_vgpr_count 0
		.amdhsa_exception_fp_ieee_invalid_op 0
		.amdhsa_exception_fp_denorm_src 0
		.amdhsa_exception_fp_ieee_div_zero 0
		.amdhsa_exception_fp_ieee_overflow 0
		.amdhsa_exception_fp_ieee_underflow 0
		.amdhsa_exception_fp_ieee_inexact 0
		.amdhsa_exception_int_div_zero 0
	.end_amdhsa_kernel
	.section	.text._ZN9rocsparseL19gebsrmvn_2xn_kernelILj128ELj6ELj16E21rocsparse_complex_numIdEEEvi20rocsparse_direction_NS_24const_host_device_scalarIT2_EEPKiS8_PKS5_SA_S6_PS5_21rocsparse_index_base_b,"axG",@progbits,_ZN9rocsparseL19gebsrmvn_2xn_kernelILj128ELj6ELj16E21rocsparse_complex_numIdEEEvi20rocsparse_direction_NS_24const_host_device_scalarIT2_EEPKiS8_PKS5_SA_S6_PS5_21rocsparse_index_base_b,comdat
.Lfunc_end250:
	.size	_ZN9rocsparseL19gebsrmvn_2xn_kernelILj128ELj6ELj16E21rocsparse_complex_numIdEEEvi20rocsparse_direction_NS_24const_host_device_scalarIT2_EEPKiS8_PKS5_SA_S6_PS5_21rocsparse_index_base_b, .Lfunc_end250-_ZN9rocsparseL19gebsrmvn_2xn_kernelILj128ELj6ELj16E21rocsparse_complex_numIdEEEvi20rocsparse_direction_NS_24const_host_device_scalarIT2_EEPKiS8_PKS5_SA_S6_PS5_21rocsparse_index_base_b
                                        ; -- End function
	.set _ZN9rocsparseL19gebsrmvn_2xn_kernelILj128ELj6ELj16E21rocsparse_complex_numIdEEEvi20rocsparse_direction_NS_24const_host_device_scalarIT2_EEPKiS8_PKS5_SA_S6_PS5_21rocsparse_index_base_b.num_vgpr, 98
	.set _ZN9rocsparseL19gebsrmvn_2xn_kernelILj128ELj6ELj16E21rocsparse_complex_numIdEEEvi20rocsparse_direction_NS_24const_host_device_scalarIT2_EEPKiS8_PKS5_SA_S6_PS5_21rocsparse_index_base_b.num_agpr, 0
	.set _ZN9rocsparseL19gebsrmvn_2xn_kernelILj128ELj6ELj16E21rocsparse_complex_numIdEEEvi20rocsparse_direction_NS_24const_host_device_scalarIT2_EEPKiS8_PKS5_SA_S6_PS5_21rocsparse_index_base_b.numbered_sgpr, 16
	.set _ZN9rocsparseL19gebsrmvn_2xn_kernelILj128ELj6ELj16E21rocsparse_complex_numIdEEEvi20rocsparse_direction_NS_24const_host_device_scalarIT2_EEPKiS8_PKS5_SA_S6_PS5_21rocsparse_index_base_b.num_named_barrier, 0
	.set _ZN9rocsparseL19gebsrmvn_2xn_kernelILj128ELj6ELj16E21rocsparse_complex_numIdEEEvi20rocsparse_direction_NS_24const_host_device_scalarIT2_EEPKiS8_PKS5_SA_S6_PS5_21rocsparse_index_base_b.private_seg_size, 0
	.set _ZN9rocsparseL19gebsrmvn_2xn_kernelILj128ELj6ELj16E21rocsparse_complex_numIdEEEvi20rocsparse_direction_NS_24const_host_device_scalarIT2_EEPKiS8_PKS5_SA_S6_PS5_21rocsparse_index_base_b.uses_vcc, 1
	.set _ZN9rocsparseL19gebsrmvn_2xn_kernelILj128ELj6ELj16E21rocsparse_complex_numIdEEEvi20rocsparse_direction_NS_24const_host_device_scalarIT2_EEPKiS8_PKS5_SA_S6_PS5_21rocsparse_index_base_b.uses_flat_scratch, 0
	.set _ZN9rocsparseL19gebsrmvn_2xn_kernelILj128ELj6ELj16E21rocsparse_complex_numIdEEEvi20rocsparse_direction_NS_24const_host_device_scalarIT2_EEPKiS8_PKS5_SA_S6_PS5_21rocsparse_index_base_b.has_dyn_sized_stack, 0
	.set _ZN9rocsparseL19gebsrmvn_2xn_kernelILj128ELj6ELj16E21rocsparse_complex_numIdEEEvi20rocsparse_direction_NS_24const_host_device_scalarIT2_EEPKiS8_PKS5_SA_S6_PS5_21rocsparse_index_base_b.has_recursion, 0
	.set _ZN9rocsparseL19gebsrmvn_2xn_kernelILj128ELj6ELj16E21rocsparse_complex_numIdEEEvi20rocsparse_direction_NS_24const_host_device_scalarIT2_EEPKiS8_PKS5_SA_S6_PS5_21rocsparse_index_base_b.has_indirect_call, 0
	.section	.AMDGPU.csdata,"",@progbits
; Kernel info:
; codeLenInByte = 3268
; TotalNumSgprs: 18
; NumVgprs: 98
; ScratchSize: 0
; MemoryBound: 0
; FloatMode: 240
; IeeeMode: 1
; LDSByteSize: 0 bytes/workgroup (compile time only)
; SGPRBlocks: 0
; VGPRBlocks: 12
; NumSGPRsForWavesPerEU: 18
; NumVGPRsForWavesPerEU: 98
; Occupancy: 9
; WaveLimiterHint : 1
; COMPUTE_PGM_RSRC2:SCRATCH_EN: 0
; COMPUTE_PGM_RSRC2:USER_SGPR: 6
; COMPUTE_PGM_RSRC2:TRAP_HANDLER: 0
; COMPUTE_PGM_RSRC2:TGID_X_EN: 1
; COMPUTE_PGM_RSRC2:TGID_Y_EN: 0
; COMPUTE_PGM_RSRC2:TGID_Z_EN: 0
; COMPUTE_PGM_RSRC2:TIDIG_COMP_CNT: 0
	.section	.text._ZN9rocsparseL19gebsrmvn_2xn_kernelILj128ELj6ELj32E21rocsparse_complex_numIdEEEvi20rocsparse_direction_NS_24const_host_device_scalarIT2_EEPKiS8_PKS5_SA_S6_PS5_21rocsparse_index_base_b,"axG",@progbits,_ZN9rocsparseL19gebsrmvn_2xn_kernelILj128ELj6ELj32E21rocsparse_complex_numIdEEEvi20rocsparse_direction_NS_24const_host_device_scalarIT2_EEPKiS8_PKS5_SA_S6_PS5_21rocsparse_index_base_b,comdat
	.globl	_ZN9rocsparseL19gebsrmvn_2xn_kernelILj128ELj6ELj32E21rocsparse_complex_numIdEEEvi20rocsparse_direction_NS_24const_host_device_scalarIT2_EEPKiS8_PKS5_SA_S6_PS5_21rocsparse_index_base_b ; -- Begin function _ZN9rocsparseL19gebsrmvn_2xn_kernelILj128ELj6ELj32E21rocsparse_complex_numIdEEEvi20rocsparse_direction_NS_24const_host_device_scalarIT2_EEPKiS8_PKS5_SA_S6_PS5_21rocsparse_index_base_b
	.p2align	8
	.type	_ZN9rocsparseL19gebsrmvn_2xn_kernelILj128ELj6ELj32E21rocsparse_complex_numIdEEEvi20rocsparse_direction_NS_24const_host_device_scalarIT2_EEPKiS8_PKS5_SA_S6_PS5_21rocsparse_index_base_b,@function
_ZN9rocsparseL19gebsrmvn_2xn_kernelILj128ELj6ELj32E21rocsparse_complex_numIdEEEvi20rocsparse_direction_NS_24const_host_device_scalarIT2_EEPKiS8_PKS5_SA_S6_PS5_21rocsparse_index_base_b: ; @_ZN9rocsparseL19gebsrmvn_2xn_kernelILj128ELj6ELj32E21rocsparse_complex_numIdEEEvi20rocsparse_direction_NS_24const_host_device_scalarIT2_EEPKiS8_PKS5_SA_S6_PS5_21rocsparse_index_base_b
; %bb.0:
	s_clause 0x1
	s_load_dwordx2 s[2:3], s[4:5], 0x50
	s_load_dwordx2 s[0:1], s[4:5], 0x8
	s_add_u32 s7, s4, 8
	s_addc_u32 s10, s5, 0
	s_add_u32 s11, s4, 56
	s_addc_u32 s12, s5, 0
	s_load_dwordx2 s[8:9], s[4:5], 0x38
	s_waitcnt lgkmcnt(0)
	s_bitcmp1_b32 s3, 0
	s_cselect_b32 s0, s7, s0
	s_cselect_b32 s1, s10, s1
	v_mov_b32_e32 v1, s0
	v_mov_b32_e32 v2, s1
	s_cselect_b32 s0, s11, s8
	s_cselect_b32 s1, s12, s9
	v_mov_b32_e32 v5, s0
	v_mov_b32_e32 v6, s1
	flat_load_dwordx4 v[1:4], v[1:2]
	flat_load_dwordx4 v[5:8], v[5:6]
	s_waitcnt vmcnt(1) lgkmcnt(1)
	v_cmp_eq_f64_e32 vcc_lo, 0, v[1:2]
	v_cmp_eq_f64_e64 s0, 0, v[3:4]
	s_and_b32 s3, vcc_lo, s0
	s_mov_b32 s0, -1
	s_and_saveexec_b32 s1, s3
	s_cbranch_execz .LBB251_2
; %bb.1:
	s_waitcnt vmcnt(0) lgkmcnt(0)
	v_cmp_neq_f64_e32 vcc_lo, 1.0, v[5:6]
	v_cmp_neq_f64_e64 s0, 0, v[7:8]
	s_or_b32 s0, vcc_lo, s0
	s_orn2_b32 s0, s0, exec_lo
.LBB251_2:
	s_or_b32 exec_lo, exec_lo, s1
	s_and_saveexec_b32 s1, s0
	s_cbranch_execz .LBB251_21
; %bb.3:
	s_load_dwordx2 s[0:1], s[4:5], 0x0
	v_lshrrev_b32_e32 v9, 5, v0
	v_lshl_or_b32 v9, s6, 2, v9
	s_waitcnt lgkmcnt(0)
	v_cmp_gt_i32_e32 vcc_lo, s0, v9
	s_and_b32 exec_lo, exec_lo, vcc_lo
	s_cbranch_execz .LBB251_21
; %bb.4:
	s_load_dwordx8 s[8:15], s[4:5], 0x18
	v_ashrrev_i32_e32 v10, 31, v9
	v_and_b32_e32 v0, 31, v0
	s_cmp_lg_u32 s1, 0
	v_lshlrev_b64 v[10:11], 2, v[9:10]
	s_waitcnt lgkmcnt(0)
	v_add_co_u32 v10, vcc_lo, s8, v10
	v_add_co_ci_u32_e64 v11, null, s9, v11, vcc_lo
	global_load_dwordx2 v[10:11], v[10:11], off
	s_waitcnt vmcnt(0)
	v_subrev_nc_u32_e32 v10, s2, v10
	v_subrev_nc_u32_e32 v25, s2, v11
	v_add_nc_u32_e32 v10, v10, v0
	v_cmp_lt_i32_e64 s0, v10, v25
	s_cbranch_scc0 .LBB251_10
; %bb.5:
	v_mov_b32_e32 v12, 0
	v_mov_b32_e32 v18, 0
	;; [unrolled: 1-line block ×8, first 2 shown]
	s_and_saveexec_b32 s1, s0
	s_cbranch_execz .LBB251_9
; %bb.6:
	v_mad_u64_u32 v[20:21], null, v10, 12, 10
	v_mov_b32_e32 v12, 0
	v_mov_b32_e32 v18, 0
	;; [unrolled: 1-line block ×10, first 2 shown]
	s_mov_b32 s3, 0
.LBB251_7:                              ; =>This Inner Loop Header: Depth=1
	v_ashrrev_i32_e32 v24, 31, v23
	v_add_nc_u32_e32 v21, -10, v20
	v_mov_b32_e32 v75, v22
	v_lshlrev_b64 v[26:27], 2, v[23:24]
	v_add_nc_u32_e32 v23, 32, v23
	v_add_co_u32 v26, vcc_lo, s10, v26
	v_add_co_ci_u32_e64 v27, null, s11, v27, vcc_lo
	global_load_dword v11, v[26:27], off
	v_lshlrev_b64 v[26:27], 4, v[21:22]
	v_add_nc_u32_e32 v21, -6, v20
	v_lshlrev_b64 v[50:51], 4, v[21:22]
	v_add_co_u32 v42, vcc_lo, s12, v26
	v_add_co_ci_u32_e64 v43, null, s13, v27, vcc_lo
	global_load_dwordx4 v[26:29], v[42:43], off offset:16
	s_waitcnt vmcnt(1)
	v_subrev_nc_u32_e32 v11, s2, v11
	v_mul_lo_u32 v74, v11, 6
	v_lshlrev_b64 v[30:31], 4, v[74:75]
	v_add_nc_u32_e32 v21, 2, v74
	v_lshlrev_b64 v[56:57], 4, v[21:22]
	v_add_co_u32 v46, vcc_lo, s14, v30
	v_add_co_ci_u32_e64 v47, null, s15, v31, vcc_lo
	v_add_co_u32 v54, vcc_lo, s12, v50
	global_load_dwordx4 v[30:33], v[42:43], off
	global_load_dwordx4 v[34:37], v[46:47], off
	s_clause 0x1
	global_load_dwordx4 v[38:41], v[42:43], off offset:32
	global_load_dwordx4 v[42:45], v[42:43], off offset:48
	;; [unrolled: 1-line block ×3, first 2 shown]
	v_add_co_ci_u32_e64 v55, null, s13, v51, vcc_lo
	v_add_co_u32 v62, vcc_lo, s14, v56
	v_add_co_ci_u32_e64 v63, null, s15, v57, vcc_lo
	s_clause 0x1
	global_load_dwordx4 v[50:53], v[54:55], off offset:16
	global_load_dwordx4 v[54:57], v[54:55], off
	global_load_dwordx4 v[58:61], v[62:63], off
	v_add_nc_u32_e32 v21, -4, v20
	v_lshlrev_b64 v[64:65], 4, v[21:22]
	v_add_nc_u32_e32 v21, -2, v20
	v_add_co_u32 v70, vcc_lo, s12, v64
	v_add_co_ci_u32_e64 v71, null, s13, v65, vcc_lo
	global_load_dwordx4 v[62:65], v[62:63], off offset:16
	s_clause 0x1
	global_load_dwordx4 v[66:69], v[70:71], off
	global_load_dwordx4 v[70:73], v[70:71], off offset:16
	v_lshlrev_b64 v[75:76], 4, v[21:22]
	v_add_nc_u32_e32 v21, 4, v74
	v_lshlrev_b64 v[77:78], 4, v[21:22]
	v_add_co_u32 v79, vcc_lo, s12, v75
	v_add_co_ci_u32_e64 v80, null, s13, v76, vcc_lo
	v_mov_b32_e32 v21, v22
	v_add_co_u32 v94, vcc_lo, s14, v77
	v_add_co_ci_u32_e64 v95, null, s15, v78, vcc_lo
	s_clause 0x1
	global_load_dwordx4 v[74:77], v[79:80], off offset:16
	global_load_dwordx4 v[78:81], v[79:80], off
	global_load_dwordx4 v[82:85], v[94:95], off
	v_lshlrev_b64 v[86:87], 4, v[20:21]
	v_add_nc_u32_e32 v20, 0x180, v20
	v_add_co_u32 v90, vcc_lo, s12, v86
	v_add_co_ci_u32_e64 v91, null, s13, v87, vcc_lo
	s_clause 0x1
	global_load_dwordx4 v[86:89], v[90:91], off
	global_load_dwordx4 v[90:93], v[90:91], off offset:16
	global_load_dwordx4 v[94:97], v[94:95], off offset:16
	v_cmp_ge_i32_e32 vcc_lo, v23, v25
	s_or_b32 s3, vcc_lo, s3
	s_waitcnt vmcnt(15)
	v_fma_f64 v[18:19], v[30:31], v[34:35], v[18:19]
	v_fma_f64 v[11:12], v[32:33], v[34:35], v[12:13]
	v_fma_f64 v[13:14], v[26:27], v[34:35], v[14:15]
	v_fma_f64 v[15:16], v[28:29], v[34:35], v[16:17]
	v_fma_f64 v[17:18], -v[32:33], v[36:37], v[18:19]
	v_fma_f64 v[11:12], v[30:31], v[36:37], v[11:12]
	v_fma_f64 v[13:14], -v[28:29], v[36:37], v[13:14]
	v_fma_f64 v[15:16], v[26:27], v[36:37], v[15:16]
	s_waitcnt vmcnt(12)
	v_fma_f64 v[17:18], v[38:39], v[46:47], v[17:18]
	v_fma_f64 v[11:12], v[40:41], v[46:47], v[11:12]
	v_fma_f64 v[13:14], v[42:43], v[46:47], v[13:14]
	v_fma_f64 v[15:16], v[44:45], v[46:47], v[15:16]
	v_fma_f64 v[17:18], -v[40:41], v[48:49], v[17:18]
	v_fma_f64 v[11:12], v[38:39], v[48:49], v[11:12]
	v_fma_f64 v[13:14], -v[44:45], v[48:49], v[13:14]
	v_fma_f64 v[15:16], v[42:43], v[48:49], v[15:16]
	;; [unrolled: 9-line block ×3, first 2 shown]
	s_waitcnt vmcnt(7)
	v_fma_f64 v[17:18], v[66:67], v[62:63], v[17:18]
	v_fma_f64 v[11:12], v[68:69], v[62:63], v[11:12]
	s_waitcnt vmcnt(6)
	v_fma_f64 v[13:14], v[70:71], v[62:63], v[13:14]
	v_fma_f64 v[15:16], v[72:73], v[62:63], v[15:16]
	v_fma_f64 v[17:18], -v[68:69], v[64:65], v[17:18]
	v_fma_f64 v[11:12], v[66:67], v[64:65], v[11:12]
	v_fma_f64 v[13:14], -v[72:73], v[64:65], v[13:14]
	v_fma_f64 v[15:16], v[70:71], v[64:65], v[15:16]
	s_waitcnt vmcnt(3)
	v_fma_f64 v[17:18], v[78:79], v[82:83], v[17:18]
	v_fma_f64 v[11:12], v[80:81], v[82:83], v[11:12]
	;; [unrolled: 1-line block ×4, first 2 shown]
	v_fma_f64 v[17:18], -v[80:81], v[84:85], v[17:18]
	v_fma_f64 v[11:12], v[78:79], v[84:85], v[11:12]
	v_fma_f64 v[13:14], -v[76:77], v[84:85], v[13:14]
	v_fma_f64 v[15:16], v[74:75], v[84:85], v[15:16]
	s_waitcnt vmcnt(0)
	v_fma_f64 v[17:18], v[86:87], v[94:95], v[17:18]
	v_fma_f64 v[11:12], v[88:89], v[94:95], v[11:12]
	;; [unrolled: 1-line block ×4, first 2 shown]
	v_fma_f64 v[18:19], -v[88:89], v[96:97], v[17:18]
	v_fma_f64 v[12:13], v[86:87], v[96:97], v[11:12]
	v_fma_f64 v[14:15], -v[92:93], v[96:97], v[26:27]
	v_fma_f64 v[16:17], v[90:91], v[96:97], v[28:29]
	s_andn2_b32 exec_lo, exec_lo, s3
	s_cbranch_execnz .LBB251_7
; %bb.8:
	s_or_b32 exec_lo, exec_lo, s3
.LBB251_9:
	s_or_b32 exec_lo, exec_lo, s1
	s_cbranch_execz .LBB251_11
	s_branch .LBB251_16
.LBB251_10:
                                        ; implicit-def: $vgpr12_vgpr13
                                        ; implicit-def: $vgpr18_vgpr19
                                        ; implicit-def: $vgpr14_vgpr15
                                        ; implicit-def: $vgpr16_vgpr17
.LBB251_11:
	v_mov_b32_e32 v12, 0
	v_mov_b32_e32 v18, 0
	;; [unrolled: 1-line block ×8, first 2 shown]
	s_and_saveexec_b32 s1, s0
	s_cbranch_execz .LBB251_15
; %bb.12:
	v_mad_u64_u32 v[20:21], null, v10, 12, 11
	v_mov_b32_e32 v12, 0
	v_mov_b32_e32 v18, 0
	;; [unrolled: 1-line block ×9, first 2 shown]
	s_mov_b32 s0, 0
.LBB251_13:                             ; =>This Inner Loop Header: Depth=1
	v_ashrrev_i32_e32 v11, 31, v10
	v_add_nc_u32_e32 v26, -5, v20
	v_mov_b32_e32 v27, v23
	v_mov_b32_e32 v71, v23
	v_lshlrev_b64 v[21:22], 2, v[10:11]
	v_add_nc_u32_e32 v10, 32, v10
	v_lshlrev_b64 v[26:27], 4, v[26:27]
	v_add_co_u32 v21, vcc_lo, s10, v21
	v_add_co_ci_u32_e64 v22, null, s11, v22, vcc_lo
	global_load_dword v11, v[21:22], off
	v_add_nc_u32_e32 v22, -11, v20
	v_lshlrev_b64 v[21:22], 4, v[22:23]
	v_add_co_u32 v54, vcc_lo, s12, v21
	v_add_co_ci_u32_e64 v55, null, s13, v22, vcc_lo
	v_add_co_u32 v21, vcc_lo, s12, v26
	v_add_co_ci_u32_e64 v22, null, s13, v27, vcc_lo
	s_clause 0x2
	global_load_dwordx4 v[26:29], v[54:55], off offset:16
	global_load_dwordx4 v[30:33], v[54:55], off
	global_load_dwordx4 v[34:37], v[21:22], off
	s_waitcnt vmcnt(3)
	v_subrev_nc_u32_e32 v11, s2, v11
	v_mul_lo_u32 v70, v11, 6
	v_lshlrev_b64 v[21:22], 4, v[70:71]
	v_add_co_u32 v46, vcc_lo, s14, v21
	v_add_co_ci_u32_e64 v47, null, s15, v22, vcc_lo
	v_add_nc_u32_e32 v22, -4, v20
	global_load_dwordx4 v[38:41], v[46:47], off
	v_lshlrev_b64 v[21:22], 4, v[22:23]
	v_add_co_u32 v21, vcc_lo, s12, v21
	v_add_co_ci_u32_e64 v22, null, s13, v22, vcc_lo
	global_load_dwordx4 v[42:45], v[21:22], off
	global_load_dwordx4 v[46:49], v[46:47], off offset:16
	v_add_nc_u32_e32 v22, 2, v70
	global_load_dwordx4 v[50:53], v[54:55], off offset:48
	v_lshlrev_b64 v[56:57], 4, v[22:23]
	v_add_nc_u32_e32 v22, -3, v20
	v_lshlrev_b64 v[21:22], 4, v[22:23]
	v_add_co_u32 v66, vcc_lo, s14, v56
	v_add_co_ci_u32_e64 v67, null, s15, v57, vcc_lo
	v_add_co_u32 v21, vcc_lo, s12, v21
	v_add_co_ci_u32_e64 v22, null, s13, v22, vcc_lo
	global_load_dwordx4 v[54:57], v[54:55], off offset:32
	global_load_dwordx4 v[58:61], v[66:67], off
	global_load_dwordx4 v[62:65], v[21:22], off
	v_add_nc_u32_e32 v22, -2, v20
	global_load_dwordx4 v[66:69], v[66:67], off offset:16
	v_mov_b32_e32 v21, v23
	v_lshlrev_b64 v[71:72], 4, v[22:23]
	v_add_nc_u32_e32 v22, -7, v20
	v_lshlrev_b64 v[73:74], 4, v[22:23]
	v_add_nc_u32_e32 v22, 4, v70
	v_add_co_u32 v70, vcc_lo, s12, v71
	v_add_co_ci_u32_e64 v71, null, s13, v72, vcc_lo
	v_add_co_u32 v75, vcc_lo, s12, v73
	v_lshlrev_b64 v[78:79], 4, v[22:23]
	global_load_dwordx4 v[70:73], v[70:71], off
	v_add_nc_u32_e32 v22, -1, v20
	v_add_co_ci_u32_e64 v76, null, s13, v74, vcc_lo
	v_add_co_u32 v82, vcc_lo, s14, v78
	v_lshlrev_b64 v[80:81], 4, v[22:23]
	v_add_co_ci_u32_e64 v83, null, s15, v79, vcc_lo
	global_load_dwordx4 v[74:77], v[75:76], off
	v_add_nc_u32_e32 v22, -6, v20
	v_add_co_u32 v84, vcc_lo, s12, v80
	v_add_co_ci_u32_e64 v85, null, s13, v81, vcc_lo
	global_load_dwordx4 v[78:81], v[82:83], off offset:16
	s_waitcnt vmcnt(10)
	v_fma_f64 v[18:19], v[30:31], v[38:39], v[18:19]
	v_fma_f64 v[11:12], v[32:33], v[38:39], v[12:13]
	v_fma_f64 v[18:19], -v[32:33], v[40:41], v[18:19]
	v_fma_f64 v[86:87], v[30:31], v[40:41], v[11:12]
	global_load_dwordx4 v[30:33], v[82:83], off
	global_load_dwordx4 v[82:85], v[84:85], off
	v_fma_f64 v[11:12], v[34:35], v[38:39], v[14:15]
	v_fma_f64 v[13:14], v[36:37], v[38:39], v[16:17]
	s_waitcnt vmcnt(10)
	v_fma_f64 v[17:18], v[26:27], v[46:47], v[18:19]
	v_fma_f64 v[15:16], -v[36:37], v[40:41], v[11:12]
	v_lshlrev_b64 v[11:12], 4, v[20:21]
	v_fma_f64 v[38:39], v[34:35], v[40:41], v[13:14]
	v_lshlrev_b64 v[13:14], 4, v[22:23]
	v_fma_f64 v[21:22], v[28:29], v[46:47], v[86:87]
	v_add_nc_u32_e32 v20, 0x180, v20
	v_add_co_u32 v11, vcc_lo, s12, v11
	v_add_co_ci_u32_e64 v12, null, s13, v12, vcc_lo
	v_add_co_u32 v13, vcc_lo, s12, v13
	v_add_co_ci_u32_e64 v14, null, s13, v14, vcc_lo
	s_clause 0x1
	global_load_dwordx4 v[34:37], v[11:12], off
	global_load_dwordx4 v[11:14], v[13:14], off
	v_cmp_ge_i32_e32 vcc_lo, v10, v25
	v_fma_f64 v[17:18], -v[28:29], v[48:49], v[17:18]
	v_fma_f64 v[15:16], v[42:43], v[46:47], v[15:16]
	s_or_b32 s0, vcc_lo, s0
	v_fma_f64 v[38:39], v[44:45], v[46:47], v[38:39]
	v_fma_f64 v[21:22], v[26:27], v[48:49], v[21:22]
	s_waitcnt vmcnt(9)
	v_fma_f64 v[17:18], v[54:55], v[58:59], v[17:18]
	v_fma_f64 v[15:16], -v[44:45], v[48:49], v[15:16]
	v_fma_f64 v[26:27], v[42:43], v[48:49], v[38:39]
	v_fma_f64 v[21:22], v[56:57], v[58:59], v[21:22]
	v_fma_f64 v[17:18], -v[56:57], v[60:61], v[17:18]
	s_waitcnt vmcnt(8)
	v_fma_f64 v[15:16], v[62:63], v[58:59], v[15:16]
	v_fma_f64 v[26:27], v[64:65], v[58:59], v[26:27]
	;; [unrolled: 1-line block ×3, first 2 shown]
	s_waitcnt vmcnt(7)
	v_fma_f64 v[17:18], v[50:51], v[66:67], v[17:18]
	v_fma_f64 v[15:16], -v[64:65], v[60:61], v[15:16]
	v_fma_f64 v[26:27], v[62:63], v[60:61], v[26:27]
	v_fma_f64 v[21:22], v[52:53], v[66:67], v[21:22]
	v_fma_f64 v[17:18], -v[52:53], v[68:69], v[17:18]
	s_waitcnt vmcnt(6)
	v_fma_f64 v[15:16], v[70:71], v[66:67], v[15:16]
	v_fma_f64 v[26:27], v[72:73], v[66:67], v[26:27]
	v_fma_f64 v[21:22], v[50:51], v[68:69], v[21:22]
	v_fma_f64 v[15:16], -v[72:73], v[68:69], v[15:16]
	v_fma_f64 v[26:27], v[70:71], v[68:69], v[26:27]
	s_waitcnt vmcnt(3)
	v_fma_f64 v[17:18], v[74:75], v[30:31], v[17:18]
	v_fma_f64 v[21:22], v[76:77], v[30:31], v[21:22]
	s_waitcnt vmcnt(2)
	v_fma_f64 v[15:16], v[82:83], v[30:31], v[15:16]
	v_fma_f64 v[26:27], v[84:85], v[30:31], v[26:27]
	v_fma_f64 v[17:18], -v[76:77], v[32:33], v[17:18]
	v_fma_f64 v[21:22], v[74:75], v[32:33], v[21:22]
	v_fma_f64 v[15:16], -v[84:85], v[32:33], v[15:16]
	v_fma_f64 v[26:27], v[82:83], v[32:33], v[26:27]
	s_waitcnt vmcnt(0)
	v_fma_f64 v[17:18], v[11:12], v[78:79], v[17:18]
	v_fma_f64 v[21:22], v[13:14], v[78:79], v[21:22]
	;; [unrolled: 1-line block ×4, first 2 shown]
	v_fma_f64 v[18:19], -v[13:14], v[80:81], v[17:18]
	v_fma_f64 v[12:13], v[11:12], v[80:81], v[21:22]
	v_fma_f64 v[14:15], -v[36:37], v[80:81], v[15:16]
	v_fma_f64 v[16:17], v[34:35], v[80:81], v[26:27]
	s_andn2_b32 exec_lo, exec_lo, s0
	s_cbranch_execnz .LBB251_13
; %bb.14:
	s_or_b32 exec_lo, exec_lo, s0
.LBB251_15:
	s_or_b32 exec_lo, exec_lo, s1
.LBB251_16:
	v_mbcnt_lo_u32_b32 v26, -1, 0
	v_xor_b32_e32 v10, 16, v26
	v_cmp_gt_i32_e32 vcc_lo, 32, v10
	v_cndmask_b32_e32 v10, v26, v10, vcc_lo
	v_lshlrev_b32_e32 v25, 2, v10
	ds_bpermute_b32 v10, v25, v18
	ds_bpermute_b32 v11, v25, v19
	;; [unrolled: 1-line block ×8, first 2 shown]
	s_waitcnt lgkmcnt(6)
	v_add_f64 v[10:11], v[18:19], v[10:11]
	v_xor_b32_e32 v18, 8, v26
	s_waitcnt lgkmcnt(4)
	v_add_f64 v[12:13], v[12:13], v[20:21]
	s_waitcnt lgkmcnt(2)
	v_add_f64 v[14:15], v[14:15], v[22:23]
	s_waitcnt lgkmcnt(0)
	v_add_f64 v[16:17], v[16:17], v[24:25]
	v_cmp_gt_i32_e32 vcc_lo, 32, v18
	v_cndmask_b32_e32 v18, v26, v18, vcc_lo
	v_lshlrev_b32_e32 v25, 2, v18
	ds_bpermute_b32 v18, v25, v10
	ds_bpermute_b32 v19, v25, v11
	;; [unrolled: 1-line block ×8, first 2 shown]
	s_waitcnt lgkmcnt(6)
	v_add_f64 v[10:11], v[10:11], v[18:19]
	v_xor_b32_e32 v18, 4, v26
	s_waitcnt lgkmcnt(4)
	v_add_f64 v[12:13], v[12:13], v[20:21]
	s_waitcnt lgkmcnt(2)
	v_add_f64 v[14:15], v[14:15], v[22:23]
	;; [unrolled: 2-line block ×3, first 2 shown]
	v_cmp_gt_i32_e32 vcc_lo, 32, v18
	v_cndmask_b32_e32 v18, v26, v18, vcc_lo
	v_lshlrev_b32_e32 v25, 2, v18
	ds_bpermute_b32 v18, v25, v10
	ds_bpermute_b32 v19, v25, v11
	;; [unrolled: 1-line block ×8, first 2 shown]
	s_waitcnt lgkmcnt(6)
	v_add_f64 v[10:11], v[10:11], v[18:19]
	s_waitcnt lgkmcnt(4)
	v_add_f64 v[12:13], v[12:13], v[20:21]
	;; [unrolled: 2-line block ×4, first 2 shown]
	v_xor_b32_e32 v16, 2, v26
	v_cmp_gt_i32_e32 vcc_lo, 32, v16
	v_cndmask_b32_e32 v16, v26, v16, vcc_lo
	v_lshlrev_b32_e32 v25, 2, v16
	ds_bpermute_b32 v16, v25, v10
	ds_bpermute_b32 v17, v25, v11
	;; [unrolled: 1-line block ×8, first 2 shown]
	s_waitcnt lgkmcnt(6)
	v_add_f64 v[10:11], v[10:11], v[16:17]
	s_waitcnt lgkmcnt(4)
	v_add_f64 v[16:17], v[12:13], v[20:21]
	;; [unrolled: 2-line block ×4, first 2 shown]
	v_xor_b32_e32 v18, 1, v26
	v_cmp_gt_i32_e32 vcc_lo, 32, v18
	v_cndmask_b32_e32 v18, v26, v18, vcc_lo
	v_cmp_eq_u32_e32 vcc_lo, 31, v0
	v_lshlrev_b32_e32 v21, 2, v18
	ds_bpermute_b32 v24, v21, v10
	ds_bpermute_b32 v25, v21, v11
	;; [unrolled: 1-line block ×8, first 2 shown]
	s_and_b32 exec_lo, exec_lo, vcc_lo
	s_cbranch_execz .LBB251_21
; %bb.17:
	v_cmp_eq_f64_e32 vcc_lo, 0, v[5:6]
	v_cmp_eq_f64_e64 s0, 0, v[7:8]
	s_waitcnt lgkmcnt(6)
	v_add_f64 v[10:11], v[10:11], v[24:25]
	s_waitcnt lgkmcnt(4)
	v_add_f64 v[16:17], v[16:17], v[22:23]
	;; [unrolled: 2-line block ×4, first 2 shown]
	s_load_dwordx2 s[2:3], s[4:5], 0x48
	s_and_b32 s0, vcc_lo, s0
	s_and_saveexec_b32 s1, s0
	s_xor_b32 s0, exec_lo, s1
	s_cbranch_execz .LBB251_19
; %bb.18:
	v_mul_f64 v[5:6], v[16:17], -v[3:4]
	v_mul_f64 v[7:8], v[1:2], v[16:17]
	v_mul_f64 v[16:17], v[14:15], -v[3:4]
	v_mul_f64 v[14:15], v[1:2], v[14:15]
	v_lshlrev_b32_e32 v9, 1, v9
	v_fma_f64 v[5:6], v[1:2], v[10:11], v[5:6]
	v_fma_f64 v[7:8], v[3:4], v[10:11], v[7:8]
	;; [unrolled: 1-line block ×4, first 2 shown]
	v_ashrrev_i32_e32 v10, 31, v9
                                        ; implicit-def: $vgpr16_vgpr17
                                        ; implicit-def: $vgpr12_vgpr13
                                        ; implicit-def: $vgpr14_vgpr15
	v_lshlrev_b64 v[9:10], 4, v[9:10]
	s_waitcnt lgkmcnt(0)
	v_add_co_u32 v9, vcc_lo, s2, v9
	v_add_co_ci_u32_e64 v10, null, s3, v10, vcc_lo
	global_store_dwordx4 v[9:10], v[5:8], off
	global_store_dwordx4 v[9:10], v[0:3], off offset:16
                                        ; implicit-def: $vgpr9
                                        ; implicit-def: $vgpr10_vgpr11
                                        ; implicit-def: $vgpr7_vgpr8
                                        ; implicit-def: $vgpr3_vgpr4
.LBB251_19:
	s_andn2_saveexec_b32 s0, s0
	s_cbranch_execz .LBB251_21
; %bb.20:
	v_lshlrev_b32_e32 v18, 1, v9
	v_mul_f64 v[28:29], v[16:17], -v[3:4]
	v_mul_f64 v[16:17], v[1:2], v[16:17]
	v_mul_f64 v[30:31], v[14:15], -v[3:4]
	v_mul_f64 v[14:15], v[1:2], v[14:15]
	v_ashrrev_i32_e32 v19, 31, v18
	v_lshlrev_b64 v[18:19], 4, v[18:19]
	s_waitcnt lgkmcnt(0)
	v_add_co_u32 v26, vcc_lo, s2, v18
	v_add_co_ci_u32_e64 v27, null, s3, v19, vcc_lo
	s_clause 0x1
	global_load_dwordx4 v[18:21], v[26:27], off
	global_load_dwordx4 v[22:25], v[26:27], off offset:16
	v_fma_f64 v[28:29], v[1:2], v[10:11], v[28:29]
	v_fma_f64 v[9:10], v[3:4], v[10:11], v[16:17]
	;; [unrolled: 1-line block ×4, first 2 shown]
	s_waitcnt vmcnt(1)
	v_fma_f64 v[11:12], v[5:6], v[18:19], v[28:29]
	v_fma_f64 v[9:10], v[7:8], v[18:19], v[9:10]
	s_waitcnt vmcnt(0)
	v_fma_f64 v[13:14], v[5:6], v[22:23], v[0:1]
	v_fma_f64 v[15:16], v[7:8], v[22:23], v[2:3]
	v_fma_f64 v[0:1], -v[7:8], v[20:21], v[11:12]
	v_fma_f64 v[2:3], v[5:6], v[20:21], v[9:10]
	v_fma_f64 v[7:8], -v[7:8], v[24:25], v[13:14]
	v_fma_f64 v[9:10], v[5:6], v[24:25], v[15:16]
	global_store_dwordx4 v[26:27], v[0:3], off
	global_store_dwordx4 v[26:27], v[7:10], off offset:16
.LBB251_21:
	s_endpgm
	.section	.rodata,"a",@progbits
	.p2align	6, 0x0
	.amdhsa_kernel _ZN9rocsparseL19gebsrmvn_2xn_kernelILj128ELj6ELj32E21rocsparse_complex_numIdEEEvi20rocsparse_direction_NS_24const_host_device_scalarIT2_EEPKiS8_PKS5_SA_S6_PS5_21rocsparse_index_base_b
		.amdhsa_group_segment_fixed_size 0
		.amdhsa_private_segment_fixed_size 0
		.amdhsa_kernarg_size 88
		.amdhsa_user_sgpr_count 6
		.amdhsa_user_sgpr_private_segment_buffer 1
		.amdhsa_user_sgpr_dispatch_ptr 0
		.amdhsa_user_sgpr_queue_ptr 0
		.amdhsa_user_sgpr_kernarg_segment_ptr 1
		.amdhsa_user_sgpr_dispatch_id 0
		.amdhsa_user_sgpr_flat_scratch_init 0
		.amdhsa_user_sgpr_private_segment_size 0
		.amdhsa_wavefront_size32 1
		.amdhsa_uses_dynamic_stack 0
		.amdhsa_system_sgpr_private_segment_wavefront_offset 0
		.amdhsa_system_sgpr_workgroup_id_x 1
		.amdhsa_system_sgpr_workgroup_id_y 0
		.amdhsa_system_sgpr_workgroup_id_z 0
		.amdhsa_system_sgpr_workgroup_info 0
		.amdhsa_system_vgpr_workitem_id 0
		.amdhsa_next_free_vgpr 98
		.amdhsa_next_free_sgpr 16
		.amdhsa_reserve_vcc 1
		.amdhsa_reserve_flat_scratch 0
		.amdhsa_float_round_mode_32 0
		.amdhsa_float_round_mode_16_64 0
		.amdhsa_float_denorm_mode_32 3
		.amdhsa_float_denorm_mode_16_64 3
		.amdhsa_dx10_clamp 1
		.amdhsa_ieee_mode 1
		.amdhsa_fp16_overflow 0
		.amdhsa_workgroup_processor_mode 1
		.amdhsa_memory_ordered 1
		.amdhsa_forward_progress 1
		.amdhsa_shared_vgpr_count 0
		.amdhsa_exception_fp_ieee_invalid_op 0
		.amdhsa_exception_fp_denorm_src 0
		.amdhsa_exception_fp_ieee_div_zero 0
		.amdhsa_exception_fp_ieee_overflow 0
		.amdhsa_exception_fp_ieee_underflow 0
		.amdhsa_exception_fp_ieee_inexact 0
		.amdhsa_exception_int_div_zero 0
	.end_amdhsa_kernel
	.section	.text._ZN9rocsparseL19gebsrmvn_2xn_kernelILj128ELj6ELj32E21rocsparse_complex_numIdEEEvi20rocsparse_direction_NS_24const_host_device_scalarIT2_EEPKiS8_PKS5_SA_S6_PS5_21rocsparse_index_base_b,"axG",@progbits,_ZN9rocsparseL19gebsrmvn_2xn_kernelILj128ELj6ELj32E21rocsparse_complex_numIdEEEvi20rocsparse_direction_NS_24const_host_device_scalarIT2_EEPKiS8_PKS5_SA_S6_PS5_21rocsparse_index_base_b,comdat
.Lfunc_end251:
	.size	_ZN9rocsparseL19gebsrmvn_2xn_kernelILj128ELj6ELj32E21rocsparse_complex_numIdEEEvi20rocsparse_direction_NS_24const_host_device_scalarIT2_EEPKiS8_PKS5_SA_S6_PS5_21rocsparse_index_base_b, .Lfunc_end251-_ZN9rocsparseL19gebsrmvn_2xn_kernelILj128ELj6ELj32E21rocsparse_complex_numIdEEEvi20rocsparse_direction_NS_24const_host_device_scalarIT2_EEPKiS8_PKS5_SA_S6_PS5_21rocsparse_index_base_b
                                        ; -- End function
	.set _ZN9rocsparseL19gebsrmvn_2xn_kernelILj128ELj6ELj32E21rocsparse_complex_numIdEEEvi20rocsparse_direction_NS_24const_host_device_scalarIT2_EEPKiS8_PKS5_SA_S6_PS5_21rocsparse_index_base_b.num_vgpr, 98
	.set _ZN9rocsparseL19gebsrmvn_2xn_kernelILj128ELj6ELj32E21rocsparse_complex_numIdEEEvi20rocsparse_direction_NS_24const_host_device_scalarIT2_EEPKiS8_PKS5_SA_S6_PS5_21rocsparse_index_base_b.num_agpr, 0
	.set _ZN9rocsparseL19gebsrmvn_2xn_kernelILj128ELj6ELj32E21rocsparse_complex_numIdEEEvi20rocsparse_direction_NS_24const_host_device_scalarIT2_EEPKiS8_PKS5_SA_S6_PS5_21rocsparse_index_base_b.numbered_sgpr, 16
	.set _ZN9rocsparseL19gebsrmvn_2xn_kernelILj128ELj6ELj32E21rocsparse_complex_numIdEEEvi20rocsparse_direction_NS_24const_host_device_scalarIT2_EEPKiS8_PKS5_SA_S6_PS5_21rocsparse_index_base_b.num_named_barrier, 0
	.set _ZN9rocsparseL19gebsrmvn_2xn_kernelILj128ELj6ELj32E21rocsparse_complex_numIdEEEvi20rocsparse_direction_NS_24const_host_device_scalarIT2_EEPKiS8_PKS5_SA_S6_PS5_21rocsparse_index_base_b.private_seg_size, 0
	.set _ZN9rocsparseL19gebsrmvn_2xn_kernelILj128ELj6ELj32E21rocsparse_complex_numIdEEEvi20rocsparse_direction_NS_24const_host_device_scalarIT2_EEPKiS8_PKS5_SA_S6_PS5_21rocsparse_index_base_b.uses_vcc, 1
	.set _ZN9rocsparseL19gebsrmvn_2xn_kernelILj128ELj6ELj32E21rocsparse_complex_numIdEEEvi20rocsparse_direction_NS_24const_host_device_scalarIT2_EEPKiS8_PKS5_SA_S6_PS5_21rocsparse_index_base_b.uses_flat_scratch, 0
	.set _ZN9rocsparseL19gebsrmvn_2xn_kernelILj128ELj6ELj32E21rocsparse_complex_numIdEEEvi20rocsparse_direction_NS_24const_host_device_scalarIT2_EEPKiS8_PKS5_SA_S6_PS5_21rocsparse_index_base_b.has_dyn_sized_stack, 0
	.set _ZN9rocsparseL19gebsrmvn_2xn_kernelILj128ELj6ELj32E21rocsparse_complex_numIdEEEvi20rocsparse_direction_NS_24const_host_device_scalarIT2_EEPKiS8_PKS5_SA_S6_PS5_21rocsparse_index_base_b.has_recursion, 0
	.set _ZN9rocsparseL19gebsrmvn_2xn_kernelILj128ELj6ELj32E21rocsparse_complex_numIdEEEvi20rocsparse_direction_NS_24const_host_device_scalarIT2_EEPKiS8_PKS5_SA_S6_PS5_21rocsparse_index_base_b.has_indirect_call, 0
	.section	.AMDGPU.csdata,"",@progbits
; Kernel info:
; codeLenInByte = 3396
; TotalNumSgprs: 18
; NumVgprs: 98
; ScratchSize: 0
; MemoryBound: 0
; FloatMode: 240
; IeeeMode: 1
; LDSByteSize: 0 bytes/workgroup (compile time only)
; SGPRBlocks: 0
; VGPRBlocks: 12
; NumSGPRsForWavesPerEU: 18
; NumVGPRsForWavesPerEU: 98
; Occupancy: 9
; WaveLimiterHint : 1
; COMPUTE_PGM_RSRC2:SCRATCH_EN: 0
; COMPUTE_PGM_RSRC2:USER_SGPR: 6
; COMPUTE_PGM_RSRC2:TRAP_HANDLER: 0
; COMPUTE_PGM_RSRC2:TGID_X_EN: 1
; COMPUTE_PGM_RSRC2:TGID_Y_EN: 0
; COMPUTE_PGM_RSRC2:TGID_Z_EN: 0
; COMPUTE_PGM_RSRC2:TIDIG_COMP_CNT: 0
	.section	.text._ZN9rocsparseL19gebsrmvn_2xn_kernelILj128ELj6ELj64E21rocsparse_complex_numIdEEEvi20rocsparse_direction_NS_24const_host_device_scalarIT2_EEPKiS8_PKS5_SA_S6_PS5_21rocsparse_index_base_b,"axG",@progbits,_ZN9rocsparseL19gebsrmvn_2xn_kernelILj128ELj6ELj64E21rocsparse_complex_numIdEEEvi20rocsparse_direction_NS_24const_host_device_scalarIT2_EEPKiS8_PKS5_SA_S6_PS5_21rocsparse_index_base_b,comdat
	.globl	_ZN9rocsparseL19gebsrmvn_2xn_kernelILj128ELj6ELj64E21rocsparse_complex_numIdEEEvi20rocsparse_direction_NS_24const_host_device_scalarIT2_EEPKiS8_PKS5_SA_S6_PS5_21rocsparse_index_base_b ; -- Begin function _ZN9rocsparseL19gebsrmvn_2xn_kernelILj128ELj6ELj64E21rocsparse_complex_numIdEEEvi20rocsparse_direction_NS_24const_host_device_scalarIT2_EEPKiS8_PKS5_SA_S6_PS5_21rocsparse_index_base_b
	.p2align	8
	.type	_ZN9rocsparseL19gebsrmvn_2xn_kernelILj128ELj6ELj64E21rocsparse_complex_numIdEEEvi20rocsparse_direction_NS_24const_host_device_scalarIT2_EEPKiS8_PKS5_SA_S6_PS5_21rocsparse_index_base_b,@function
_ZN9rocsparseL19gebsrmvn_2xn_kernelILj128ELj6ELj64E21rocsparse_complex_numIdEEEvi20rocsparse_direction_NS_24const_host_device_scalarIT2_EEPKiS8_PKS5_SA_S6_PS5_21rocsparse_index_base_b: ; @_ZN9rocsparseL19gebsrmvn_2xn_kernelILj128ELj6ELj64E21rocsparse_complex_numIdEEEvi20rocsparse_direction_NS_24const_host_device_scalarIT2_EEPKiS8_PKS5_SA_S6_PS5_21rocsparse_index_base_b
; %bb.0:
	s_clause 0x1
	s_load_dwordx2 s[2:3], s[4:5], 0x50
	s_load_dwordx2 s[0:1], s[4:5], 0x8
	s_add_u32 s7, s4, 8
	s_addc_u32 s10, s5, 0
	s_add_u32 s11, s4, 56
	s_addc_u32 s12, s5, 0
	s_load_dwordx2 s[8:9], s[4:5], 0x38
	s_waitcnt lgkmcnt(0)
	s_bitcmp1_b32 s3, 0
	s_cselect_b32 s0, s7, s0
	s_cselect_b32 s1, s10, s1
	v_mov_b32_e32 v1, s0
	v_mov_b32_e32 v2, s1
	s_cselect_b32 s0, s11, s8
	s_cselect_b32 s1, s12, s9
	v_mov_b32_e32 v5, s0
	v_mov_b32_e32 v6, s1
	flat_load_dwordx4 v[1:4], v[1:2]
	flat_load_dwordx4 v[5:8], v[5:6]
	s_waitcnt vmcnt(1) lgkmcnt(1)
	v_cmp_eq_f64_e32 vcc_lo, 0, v[1:2]
	v_cmp_eq_f64_e64 s0, 0, v[3:4]
	s_and_b32 s3, vcc_lo, s0
	s_mov_b32 s0, -1
	s_and_saveexec_b32 s1, s3
	s_cbranch_execz .LBB252_2
; %bb.1:
	s_waitcnt vmcnt(0) lgkmcnt(0)
	v_cmp_neq_f64_e32 vcc_lo, 1.0, v[5:6]
	v_cmp_neq_f64_e64 s0, 0, v[7:8]
	s_or_b32 s0, vcc_lo, s0
	s_orn2_b32 s0, s0, exec_lo
.LBB252_2:
	s_or_b32 exec_lo, exec_lo, s1
	s_and_saveexec_b32 s1, s0
	s_cbranch_execz .LBB252_21
; %bb.3:
	s_load_dwordx2 s[0:1], s[4:5], 0x0
	v_lshrrev_b32_e32 v9, 6, v0
	v_lshl_or_b32 v9, s6, 1, v9
	s_waitcnt lgkmcnt(0)
	v_cmp_gt_i32_e32 vcc_lo, s0, v9
	s_and_b32 exec_lo, exec_lo, vcc_lo
	s_cbranch_execz .LBB252_21
; %bb.4:
	s_load_dwordx8 s[8:15], s[4:5], 0x18
	v_ashrrev_i32_e32 v10, 31, v9
	v_and_b32_e32 v0, 63, v0
	s_cmp_lg_u32 s1, 0
	v_lshlrev_b64 v[10:11], 2, v[9:10]
	s_waitcnt lgkmcnt(0)
	v_add_co_u32 v10, vcc_lo, s8, v10
	v_add_co_ci_u32_e64 v11, null, s9, v11, vcc_lo
	global_load_dwordx2 v[10:11], v[10:11], off
	s_waitcnt vmcnt(0)
	v_subrev_nc_u32_e32 v10, s2, v10
	v_subrev_nc_u32_e32 v25, s2, v11
	v_add_nc_u32_e32 v10, v10, v0
	v_cmp_lt_i32_e64 s0, v10, v25
	s_cbranch_scc0 .LBB252_10
; %bb.5:
	v_mov_b32_e32 v12, 0
	v_mov_b32_e32 v18, 0
	v_mov_b32_e32 v14, 0
	v_mov_b32_e32 v16, 0
	v_mov_b32_e32 v13, 0
	v_mov_b32_e32 v19, 0
	v_mov_b32_e32 v15, 0
	v_mov_b32_e32 v17, 0
	s_and_saveexec_b32 s1, s0
	s_cbranch_execz .LBB252_9
; %bb.6:
	v_mad_u64_u32 v[20:21], null, v10, 12, 10
	v_mov_b32_e32 v12, 0
	v_mov_b32_e32 v18, 0
	;; [unrolled: 1-line block ×10, first 2 shown]
	s_mov_b32 s3, 0
.LBB252_7:                              ; =>This Inner Loop Header: Depth=1
	v_ashrrev_i32_e32 v24, 31, v23
	v_add_nc_u32_e32 v21, -10, v20
	v_mov_b32_e32 v75, v22
	v_lshlrev_b64 v[26:27], 2, v[23:24]
	v_add_nc_u32_e32 v23, 64, v23
	v_add_co_u32 v26, vcc_lo, s10, v26
	v_add_co_ci_u32_e64 v27, null, s11, v27, vcc_lo
	global_load_dword v11, v[26:27], off
	v_lshlrev_b64 v[26:27], 4, v[21:22]
	v_add_nc_u32_e32 v21, -6, v20
	v_lshlrev_b64 v[50:51], 4, v[21:22]
	v_add_co_u32 v42, vcc_lo, s12, v26
	v_add_co_ci_u32_e64 v43, null, s13, v27, vcc_lo
	global_load_dwordx4 v[26:29], v[42:43], off offset:16
	s_waitcnt vmcnt(1)
	v_subrev_nc_u32_e32 v11, s2, v11
	v_mul_lo_u32 v74, v11, 6
	v_lshlrev_b64 v[30:31], 4, v[74:75]
	v_add_nc_u32_e32 v21, 2, v74
	v_lshlrev_b64 v[56:57], 4, v[21:22]
	v_add_co_u32 v46, vcc_lo, s14, v30
	v_add_co_ci_u32_e64 v47, null, s15, v31, vcc_lo
	v_add_co_u32 v54, vcc_lo, s12, v50
	global_load_dwordx4 v[30:33], v[42:43], off
	global_load_dwordx4 v[34:37], v[46:47], off
	s_clause 0x1
	global_load_dwordx4 v[38:41], v[42:43], off offset:32
	global_load_dwordx4 v[42:45], v[42:43], off offset:48
	;; [unrolled: 1-line block ×3, first 2 shown]
	v_add_co_ci_u32_e64 v55, null, s13, v51, vcc_lo
	v_add_co_u32 v62, vcc_lo, s14, v56
	v_add_co_ci_u32_e64 v63, null, s15, v57, vcc_lo
	s_clause 0x1
	global_load_dwordx4 v[50:53], v[54:55], off offset:16
	global_load_dwordx4 v[54:57], v[54:55], off
	global_load_dwordx4 v[58:61], v[62:63], off
	v_add_nc_u32_e32 v21, -4, v20
	v_lshlrev_b64 v[64:65], 4, v[21:22]
	v_add_nc_u32_e32 v21, -2, v20
	v_add_co_u32 v70, vcc_lo, s12, v64
	v_add_co_ci_u32_e64 v71, null, s13, v65, vcc_lo
	global_load_dwordx4 v[62:65], v[62:63], off offset:16
	s_clause 0x1
	global_load_dwordx4 v[66:69], v[70:71], off
	global_load_dwordx4 v[70:73], v[70:71], off offset:16
	v_lshlrev_b64 v[75:76], 4, v[21:22]
	v_add_nc_u32_e32 v21, 4, v74
	v_lshlrev_b64 v[77:78], 4, v[21:22]
	v_add_co_u32 v79, vcc_lo, s12, v75
	v_add_co_ci_u32_e64 v80, null, s13, v76, vcc_lo
	v_mov_b32_e32 v21, v22
	v_add_co_u32 v94, vcc_lo, s14, v77
	v_add_co_ci_u32_e64 v95, null, s15, v78, vcc_lo
	s_clause 0x1
	global_load_dwordx4 v[74:77], v[79:80], off offset:16
	global_load_dwordx4 v[78:81], v[79:80], off
	global_load_dwordx4 v[82:85], v[94:95], off
	v_lshlrev_b64 v[86:87], 4, v[20:21]
	v_add_nc_u32_e32 v20, 0x300, v20
	v_add_co_u32 v90, vcc_lo, s12, v86
	v_add_co_ci_u32_e64 v91, null, s13, v87, vcc_lo
	s_clause 0x1
	global_load_dwordx4 v[86:89], v[90:91], off
	global_load_dwordx4 v[90:93], v[90:91], off offset:16
	global_load_dwordx4 v[94:97], v[94:95], off offset:16
	v_cmp_ge_i32_e32 vcc_lo, v23, v25
	s_or_b32 s3, vcc_lo, s3
	s_waitcnt vmcnt(15)
	v_fma_f64 v[18:19], v[30:31], v[34:35], v[18:19]
	v_fma_f64 v[11:12], v[32:33], v[34:35], v[12:13]
	v_fma_f64 v[13:14], v[26:27], v[34:35], v[14:15]
	v_fma_f64 v[15:16], v[28:29], v[34:35], v[16:17]
	v_fma_f64 v[17:18], -v[32:33], v[36:37], v[18:19]
	v_fma_f64 v[11:12], v[30:31], v[36:37], v[11:12]
	v_fma_f64 v[13:14], -v[28:29], v[36:37], v[13:14]
	v_fma_f64 v[15:16], v[26:27], v[36:37], v[15:16]
	s_waitcnt vmcnt(12)
	v_fma_f64 v[17:18], v[38:39], v[46:47], v[17:18]
	v_fma_f64 v[11:12], v[40:41], v[46:47], v[11:12]
	v_fma_f64 v[13:14], v[42:43], v[46:47], v[13:14]
	v_fma_f64 v[15:16], v[44:45], v[46:47], v[15:16]
	v_fma_f64 v[17:18], -v[40:41], v[48:49], v[17:18]
	v_fma_f64 v[11:12], v[38:39], v[48:49], v[11:12]
	v_fma_f64 v[13:14], -v[44:45], v[48:49], v[13:14]
	v_fma_f64 v[15:16], v[42:43], v[48:49], v[15:16]
	;; [unrolled: 9-line block ×3, first 2 shown]
	s_waitcnt vmcnt(7)
	v_fma_f64 v[17:18], v[66:67], v[62:63], v[17:18]
	v_fma_f64 v[11:12], v[68:69], v[62:63], v[11:12]
	s_waitcnt vmcnt(6)
	v_fma_f64 v[13:14], v[70:71], v[62:63], v[13:14]
	v_fma_f64 v[15:16], v[72:73], v[62:63], v[15:16]
	v_fma_f64 v[17:18], -v[68:69], v[64:65], v[17:18]
	v_fma_f64 v[11:12], v[66:67], v[64:65], v[11:12]
	v_fma_f64 v[13:14], -v[72:73], v[64:65], v[13:14]
	v_fma_f64 v[15:16], v[70:71], v[64:65], v[15:16]
	s_waitcnt vmcnt(3)
	v_fma_f64 v[17:18], v[78:79], v[82:83], v[17:18]
	v_fma_f64 v[11:12], v[80:81], v[82:83], v[11:12]
	;; [unrolled: 1-line block ×4, first 2 shown]
	v_fma_f64 v[17:18], -v[80:81], v[84:85], v[17:18]
	v_fma_f64 v[11:12], v[78:79], v[84:85], v[11:12]
	v_fma_f64 v[13:14], -v[76:77], v[84:85], v[13:14]
	v_fma_f64 v[15:16], v[74:75], v[84:85], v[15:16]
	s_waitcnt vmcnt(0)
	v_fma_f64 v[17:18], v[86:87], v[94:95], v[17:18]
	v_fma_f64 v[11:12], v[88:89], v[94:95], v[11:12]
	;; [unrolled: 1-line block ×4, first 2 shown]
	v_fma_f64 v[18:19], -v[88:89], v[96:97], v[17:18]
	v_fma_f64 v[12:13], v[86:87], v[96:97], v[11:12]
	v_fma_f64 v[14:15], -v[92:93], v[96:97], v[26:27]
	v_fma_f64 v[16:17], v[90:91], v[96:97], v[28:29]
	s_andn2_b32 exec_lo, exec_lo, s3
	s_cbranch_execnz .LBB252_7
; %bb.8:
	s_or_b32 exec_lo, exec_lo, s3
.LBB252_9:
	s_or_b32 exec_lo, exec_lo, s1
	s_cbranch_execz .LBB252_11
	s_branch .LBB252_16
.LBB252_10:
                                        ; implicit-def: $vgpr12_vgpr13
                                        ; implicit-def: $vgpr18_vgpr19
                                        ; implicit-def: $vgpr14_vgpr15
                                        ; implicit-def: $vgpr16_vgpr17
.LBB252_11:
	v_mov_b32_e32 v12, 0
	v_mov_b32_e32 v18, 0
	;; [unrolled: 1-line block ×8, first 2 shown]
	s_and_saveexec_b32 s1, s0
	s_cbranch_execz .LBB252_15
; %bb.12:
	v_mad_u64_u32 v[20:21], null, v10, 12, 11
	v_mov_b32_e32 v12, 0
	v_mov_b32_e32 v18, 0
	;; [unrolled: 1-line block ×9, first 2 shown]
	s_mov_b32 s0, 0
.LBB252_13:                             ; =>This Inner Loop Header: Depth=1
	v_ashrrev_i32_e32 v11, 31, v10
	v_add_nc_u32_e32 v26, -5, v20
	v_mov_b32_e32 v27, v23
	v_mov_b32_e32 v71, v23
	v_lshlrev_b64 v[21:22], 2, v[10:11]
	v_add_nc_u32_e32 v10, 64, v10
	v_lshlrev_b64 v[26:27], 4, v[26:27]
	v_add_co_u32 v21, vcc_lo, s10, v21
	v_add_co_ci_u32_e64 v22, null, s11, v22, vcc_lo
	global_load_dword v11, v[21:22], off
	v_add_nc_u32_e32 v22, -11, v20
	v_lshlrev_b64 v[21:22], 4, v[22:23]
	v_add_co_u32 v54, vcc_lo, s12, v21
	v_add_co_ci_u32_e64 v55, null, s13, v22, vcc_lo
	v_add_co_u32 v21, vcc_lo, s12, v26
	v_add_co_ci_u32_e64 v22, null, s13, v27, vcc_lo
	s_clause 0x2
	global_load_dwordx4 v[26:29], v[54:55], off offset:16
	global_load_dwordx4 v[30:33], v[54:55], off
	global_load_dwordx4 v[34:37], v[21:22], off
	s_waitcnt vmcnt(3)
	v_subrev_nc_u32_e32 v11, s2, v11
	v_mul_lo_u32 v70, v11, 6
	v_lshlrev_b64 v[21:22], 4, v[70:71]
	v_add_co_u32 v46, vcc_lo, s14, v21
	v_add_co_ci_u32_e64 v47, null, s15, v22, vcc_lo
	v_add_nc_u32_e32 v22, -4, v20
	global_load_dwordx4 v[38:41], v[46:47], off
	v_lshlrev_b64 v[21:22], 4, v[22:23]
	v_add_co_u32 v21, vcc_lo, s12, v21
	v_add_co_ci_u32_e64 v22, null, s13, v22, vcc_lo
	global_load_dwordx4 v[42:45], v[21:22], off
	global_load_dwordx4 v[46:49], v[46:47], off offset:16
	v_add_nc_u32_e32 v22, 2, v70
	global_load_dwordx4 v[50:53], v[54:55], off offset:48
	v_lshlrev_b64 v[56:57], 4, v[22:23]
	v_add_nc_u32_e32 v22, -3, v20
	v_lshlrev_b64 v[21:22], 4, v[22:23]
	v_add_co_u32 v66, vcc_lo, s14, v56
	v_add_co_ci_u32_e64 v67, null, s15, v57, vcc_lo
	v_add_co_u32 v21, vcc_lo, s12, v21
	v_add_co_ci_u32_e64 v22, null, s13, v22, vcc_lo
	global_load_dwordx4 v[54:57], v[54:55], off offset:32
	global_load_dwordx4 v[58:61], v[66:67], off
	global_load_dwordx4 v[62:65], v[21:22], off
	v_add_nc_u32_e32 v22, -2, v20
	global_load_dwordx4 v[66:69], v[66:67], off offset:16
	v_mov_b32_e32 v21, v23
	v_lshlrev_b64 v[71:72], 4, v[22:23]
	v_add_nc_u32_e32 v22, -7, v20
	v_lshlrev_b64 v[73:74], 4, v[22:23]
	v_add_nc_u32_e32 v22, 4, v70
	v_add_co_u32 v70, vcc_lo, s12, v71
	v_add_co_ci_u32_e64 v71, null, s13, v72, vcc_lo
	v_add_co_u32 v75, vcc_lo, s12, v73
	v_lshlrev_b64 v[78:79], 4, v[22:23]
	global_load_dwordx4 v[70:73], v[70:71], off
	v_add_nc_u32_e32 v22, -1, v20
	v_add_co_ci_u32_e64 v76, null, s13, v74, vcc_lo
	v_add_co_u32 v82, vcc_lo, s14, v78
	v_lshlrev_b64 v[80:81], 4, v[22:23]
	v_add_co_ci_u32_e64 v83, null, s15, v79, vcc_lo
	global_load_dwordx4 v[74:77], v[75:76], off
	v_add_nc_u32_e32 v22, -6, v20
	v_add_co_u32 v84, vcc_lo, s12, v80
	v_add_co_ci_u32_e64 v85, null, s13, v81, vcc_lo
	global_load_dwordx4 v[78:81], v[82:83], off offset:16
	s_waitcnt vmcnt(10)
	v_fma_f64 v[18:19], v[30:31], v[38:39], v[18:19]
	v_fma_f64 v[11:12], v[32:33], v[38:39], v[12:13]
	v_fma_f64 v[18:19], -v[32:33], v[40:41], v[18:19]
	v_fma_f64 v[86:87], v[30:31], v[40:41], v[11:12]
	global_load_dwordx4 v[30:33], v[82:83], off
	global_load_dwordx4 v[82:85], v[84:85], off
	v_fma_f64 v[11:12], v[34:35], v[38:39], v[14:15]
	v_fma_f64 v[13:14], v[36:37], v[38:39], v[16:17]
	s_waitcnt vmcnt(10)
	v_fma_f64 v[17:18], v[26:27], v[46:47], v[18:19]
	v_fma_f64 v[15:16], -v[36:37], v[40:41], v[11:12]
	v_lshlrev_b64 v[11:12], 4, v[20:21]
	v_fma_f64 v[38:39], v[34:35], v[40:41], v[13:14]
	v_lshlrev_b64 v[13:14], 4, v[22:23]
	v_fma_f64 v[21:22], v[28:29], v[46:47], v[86:87]
	v_add_nc_u32_e32 v20, 0x300, v20
	v_add_co_u32 v11, vcc_lo, s12, v11
	v_add_co_ci_u32_e64 v12, null, s13, v12, vcc_lo
	v_add_co_u32 v13, vcc_lo, s12, v13
	v_add_co_ci_u32_e64 v14, null, s13, v14, vcc_lo
	s_clause 0x1
	global_load_dwordx4 v[34:37], v[11:12], off
	global_load_dwordx4 v[11:14], v[13:14], off
	v_cmp_ge_i32_e32 vcc_lo, v10, v25
	v_fma_f64 v[17:18], -v[28:29], v[48:49], v[17:18]
	v_fma_f64 v[15:16], v[42:43], v[46:47], v[15:16]
	s_or_b32 s0, vcc_lo, s0
	v_fma_f64 v[38:39], v[44:45], v[46:47], v[38:39]
	v_fma_f64 v[21:22], v[26:27], v[48:49], v[21:22]
	s_waitcnt vmcnt(9)
	v_fma_f64 v[17:18], v[54:55], v[58:59], v[17:18]
	v_fma_f64 v[15:16], -v[44:45], v[48:49], v[15:16]
	v_fma_f64 v[26:27], v[42:43], v[48:49], v[38:39]
	v_fma_f64 v[21:22], v[56:57], v[58:59], v[21:22]
	v_fma_f64 v[17:18], -v[56:57], v[60:61], v[17:18]
	s_waitcnt vmcnt(8)
	v_fma_f64 v[15:16], v[62:63], v[58:59], v[15:16]
	v_fma_f64 v[26:27], v[64:65], v[58:59], v[26:27]
	;; [unrolled: 1-line block ×3, first 2 shown]
	s_waitcnt vmcnt(7)
	v_fma_f64 v[17:18], v[50:51], v[66:67], v[17:18]
	v_fma_f64 v[15:16], -v[64:65], v[60:61], v[15:16]
	v_fma_f64 v[26:27], v[62:63], v[60:61], v[26:27]
	v_fma_f64 v[21:22], v[52:53], v[66:67], v[21:22]
	v_fma_f64 v[17:18], -v[52:53], v[68:69], v[17:18]
	s_waitcnt vmcnt(6)
	v_fma_f64 v[15:16], v[70:71], v[66:67], v[15:16]
	v_fma_f64 v[26:27], v[72:73], v[66:67], v[26:27]
	;; [unrolled: 1-line block ×3, first 2 shown]
	v_fma_f64 v[15:16], -v[72:73], v[68:69], v[15:16]
	v_fma_f64 v[26:27], v[70:71], v[68:69], v[26:27]
	s_waitcnt vmcnt(3)
	v_fma_f64 v[17:18], v[74:75], v[30:31], v[17:18]
	v_fma_f64 v[21:22], v[76:77], v[30:31], v[21:22]
	s_waitcnt vmcnt(2)
	v_fma_f64 v[15:16], v[82:83], v[30:31], v[15:16]
	v_fma_f64 v[26:27], v[84:85], v[30:31], v[26:27]
	v_fma_f64 v[17:18], -v[76:77], v[32:33], v[17:18]
	v_fma_f64 v[21:22], v[74:75], v[32:33], v[21:22]
	v_fma_f64 v[15:16], -v[84:85], v[32:33], v[15:16]
	v_fma_f64 v[26:27], v[82:83], v[32:33], v[26:27]
	s_waitcnt vmcnt(0)
	v_fma_f64 v[17:18], v[11:12], v[78:79], v[17:18]
	v_fma_f64 v[21:22], v[13:14], v[78:79], v[21:22]
	;; [unrolled: 1-line block ×4, first 2 shown]
	v_fma_f64 v[18:19], -v[13:14], v[80:81], v[17:18]
	v_fma_f64 v[12:13], v[11:12], v[80:81], v[21:22]
	v_fma_f64 v[14:15], -v[36:37], v[80:81], v[15:16]
	v_fma_f64 v[16:17], v[34:35], v[80:81], v[26:27]
	s_andn2_b32 exec_lo, exec_lo, s0
	s_cbranch_execnz .LBB252_13
; %bb.14:
	s_or_b32 exec_lo, exec_lo, s0
.LBB252_15:
	s_or_b32 exec_lo, exec_lo, s1
.LBB252_16:
	v_mbcnt_lo_u32_b32 v26, -1, 0
	v_or_b32_e32 v10, 32, v26
	v_cmp_gt_i32_e32 vcc_lo, 32, v10
	v_cndmask_b32_e32 v10, v26, v10, vcc_lo
	v_lshlrev_b32_e32 v25, 2, v10
	ds_bpermute_b32 v10, v25, v18
	ds_bpermute_b32 v11, v25, v19
	ds_bpermute_b32 v20, v25, v12
	ds_bpermute_b32 v21, v25, v13
	ds_bpermute_b32 v22, v25, v14
	ds_bpermute_b32 v23, v25, v15
	ds_bpermute_b32 v24, v25, v16
	ds_bpermute_b32 v25, v25, v17
	s_waitcnt lgkmcnt(6)
	v_add_f64 v[10:11], v[18:19], v[10:11]
	v_xor_b32_e32 v18, 16, v26
	s_waitcnt lgkmcnt(4)
	v_add_f64 v[12:13], v[12:13], v[20:21]
	s_waitcnt lgkmcnt(2)
	v_add_f64 v[14:15], v[14:15], v[22:23]
	s_waitcnt lgkmcnt(0)
	v_add_f64 v[16:17], v[16:17], v[24:25]
	v_cmp_gt_i32_e32 vcc_lo, 32, v18
	v_cndmask_b32_e32 v18, v26, v18, vcc_lo
	v_lshlrev_b32_e32 v25, 2, v18
	ds_bpermute_b32 v18, v25, v10
	ds_bpermute_b32 v19, v25, v11
	ds_bpermute_b32 v20, v25, v12
	ds_bpermute_b32 v21, v25, v13
	ds_bpermute_b32 v22, v25, v14
	ds_bpermute_b32 v23, v25, v15
	ds_bpermute_b32 v24, v25, v16
	ds_bpermute_b32 v25, v25, v17
	s_waitcnt lgkmcnt(6)
	v_add_f64 v[10:11], v[10:11], v[18:19]
	v_xor_b32_e32 v18, 8, v26
	s_waitcnt lgkmcnt(4)
	v_add_f64 v[12:13], v[12:13], v[20:21]
	s_waitcnt lgkmcnt(2)
	v_add_f64 v[14:15], v[14:15], v[22:23]
	s_waitcnt lgkmcnt(0)
	v_add_f64 v[16:17], v[16:17], v[24:25]
	;; [unrolled: 20-line block ×3, first 2 shown]
	v_cmp_gt_i32_e32 vcc_lo, 32, v18
	v_cndmask_b32_e32 v18, v26, v18, vcc_lo
	v_lshlrev_b32_e32 v25, 2, v18
	ds_bpermute_b32 v18, v25, v10
	ds_bpermute_b32 v19, v25, v11
	;; [unrolled: 1-line block ×8, first 2 shown]
	s_waitcnt lgkmcnt(6)
	v_add_f64 v[10:11], v[10:11], v[18:19]
	s_waitcnt lgkmcnt(4)
	v_add_f64 v[12:13], v[12:13], v[20:21]
	;; [unrolled: 2-line block ×4, first 2 shown]
	v_xor_b32_e32 v16, 2, v26
	v_cmp_gt_i32_e32 vcc_lo, 32, v16
	v_cndmask_b32_e32 v16, v26, v16, vcc_lo
	v_lshlrev_b32_e32 v25, 2, v16
	ds_bpermute_b32 v16, v25, v10
	ds_bpermute_b32 v17, v25, v11
	;; [unrolled: 1-line block ×8, first 2 shown]
	s_waitcnt lgkmcnt(6)
	v_add_f64 v[10:11], v[10:11], v[16:17]
	s_waitcnt lgkmcnt(4)
	v_add_f64 v[16:17], v[12:13], v[20:21]
	;; [unrolled: 2-line block ×4, first 2 shown]
	v_xor_b32_e32 v18, 1, v26
	v_cmp_gt_i32_e32 vcc_lo, 32, v18
	v_cndmask_b32_e32 v18, v26, v18, vcc_lo
	v_cmp_eq_u32_e32 vcc_lo, 63, v0
	v_lshlrev_b32_e32 v21, 2, v18
	ds_bpermute_b32 v24, v21, v10
	ds_bpermute_b32 v25, v21, v11
	;; [unrolled: 1-line block ×8, first 2 shown]
	s_and_b32 exec_lo, exec_lo, vcc_lo
	s_cbranch_execz .LBB252_21
; %bb.17:
	v_cmp_eq_f64_e32 vcc_lo, 0, v[5:6]
	v_cmp_eq_f64_e64 s0, 0, v[7:8]
	s_waitcnt lgkmcnt(6)
	v_add_f64 v[10:11], v[10:11], v[24:25]
	s_waitcnt lgkmcnt(4)
	v_add_f64 v[16:17], v[16:17], v[22:23]
	;; [unrolled: 2-line block ×4, first 2 shown]
	s_load_dwordx2 s[2:3], s[4:5], 0x48
	s_and_b32 s0, vcc_lo, s0
	s_and_saveexec_b32 s1, s0
	s_xor_b32 s0, exec_lo, s1
	s_cbranch_execz .LBB252_19
; %bb.18:
	v_mul_f64 v[5:6], v[16:17], -v[3:4]
	v_mul_f64 v[7:8], v[1:2], v[16:17]
	v_mul_f64 v[16:17], v[14:15], -v[3:4]
	v_mul_f64 v[14:15], v[1:2], v[14:15]
	v_lshlrev_b32_e32 v9, 1, v9
	v_fma_f64 v[5:6], v[1:2], v[10:11], v[5:6]
	v_fma_f64 v[7:8], v[3:4], v[10:11], v[7:8]
	;; [unrolled: 1-line block ×4, first 2 shown]
	v_ashrrev_i32_e32 v10, 31, v9
                                        ; implicit-def: $vgpr16_vgpr17
                                        ; implicit-def: $vgpr12_vgpr13
                                        ; implicit-def: $vgpr14_vgpr15
	v_lshlrev_b64 v[9:10], 4, v[9:10]
	s_waitcnt lgkmcnt(0)
	v_add_co_u32 v9, vcc_lo, s2, v9
	v_add_co_ci_u32_e64 v10, null, s3, v10, vcc_lo
	global_store_dwordx4 v[9:10], v[5:8], off
	global_store_dwordx4 v[9:10], v[0:3], off offset:16
                                        ; implicit-def: $vgpr9
                                        ; implicit-def: $vgpr10_vgpr11
                                        ; implicit-def: $vgpr7_vgpr8
                                        ; implicit-def: $vgpr3_vgpr4
.LBB252_19:
	s_andn2_saveexec_b32 s0, s0
	s_cbranch_execz .LBB252_21
; %bb.20:
	v_lshlrev_b32_e32 v18, 1, v9
	v_mul_f64 v[28:29], v[16:17], -v[3:4]
	v_mul_f64 v[16:17], v[1:2], v[16:17]
	v_mul_f64 v[30:31], v[14:15], -v[3:4]
	v_mul_f64 v[14:15], v[1:2], v[14:15]
	v_ashrrev_i32_e32 v19, 31, v18
	v_lshlrev_b64 v[18:19], 4, v[18:19]
	s_waitcnt lgkmcnt(0)
	v_add_co_u32 v26, vcc_lo, s2, v18
	v_add_co_ci_u32_e64 v27, null, s3, v19, vcc_lo
	s_clause 0x1
	global_load_dwordx4 v[18:21], v[26:27], off
	global_load_dwordx4 v[22:25], v[26:27], off offset:16
	v_fma_f64 v[28:29], v[1:2], v[10:11], v[28:29]
	v_fma_f64 v[9:10], v[3:4], v[10:11], v[16:17]
	;; [unrolled: 1-line block ×4, first 2 shown]
	s_waitcnt vmcnt(1)
	v_fma_f64 v[11:12], v[5:6], v[18:19], v[28:29]
	v_fma_f64 v[9:10], v[7:8], v[18:19], v[9:10]
	s_waitcnt vmcnt(0)
	v_fma_f64 v[13:14], v[5:6], v[22:23], v[0:1]
	v_fma_f64 v[15:16], v[7:8], v[22:23], v[2:3]
	v_fma_f64 v[0:1], -v[7:8], v[20:21], v[11:12]
	v_fma_f64 v[2:3], v[5:6], v[20:21], v[9:10]
	v_fma_f64 v[7:8], -v[7:8], v[24:25], v[13:14]
	v_fma_f64 v[9:10], v[5:6], v[24:25], v[15:16]
	global_store_dwordx4 v[26:27], v[0:3], off
	global_store_dwordx4 v[26:27], v[7:10], off offset:16
.LBB252_21:
	s_endpgm
	.section	.rodata,"a",@progbits
	.p2align	6, 0x0
	.amdhsa_kernel _ZN9rocsparseL19gebsrmvn_2xn_kernelILj128ELj6ELj64E21rocsparse_complex_numIdEEEvi20rocsparse_direction_NS_24const_host_device_scalarIT2_EEPKiS8_PKS5_SA_S6_PS5_21rocsparse_index_base_b
		.amdhsa_group_segment_fixed_size 0
		.amdhsa_private_segment_fixed_size 0
		.amdhsa_kernarg_size 88
		.amdhsa_user_sgpr_count 6
		.amdhsa_user_sgpr_private_segment_buffer 1
		.amdhsa_user_sgpr_dispatch_ptr 0
		.amdhsa_user_sgpr_queue_ptr 0
		.amdhsa_user_sgpr_kernarg_segment_ptr 1
		.amdhsa_user_sgpr_dispatch_id 0
		.amdhsa_user_sgpr_flat_scratch_init 0
		.amdhsa_user_sgpr_private_segment_size 0
		.amdhsa_wavefront_size32 1
		.amdhsa_uses_dynamic_stack 0
		.amdhsa_system_sgpr_private_segment_wavefront_offset 0
		.amdhsa_system_sgpr_workgroup_id_x 1
		.amdhsa_system_sgpr_workgroup_id_y 0
		.amdhsa_system_sgpr_workgroup_id_z 0
		.amdhsa_system_sgpr_workgroup_info 0
		.amdhsa_system_vgpr_workitem_id 0
		.amdhsa_next_free_vgpr 98
		.amdhsa_next_free_sgpr 16
		.amdhsa_reserve_vcc 1
		.amdhsa_reserve_flat_scratch 0
		.amdhsa_float_round_mode_32 0
		.amdhsa_float_round_mode_16_64 0
		.amdhsa_float_denorm_mode_32 3
		.amdhsa_float_denorm_mode_16_64 3
		.amdhsa_dx10_clamp 1
		.amdhsa_ieee_mode 1
		.amdhsa_fp16_overflow 0
		.amdhsa_workgroup_processor_mode 1
		.amdhsa_memory_ordered 1
		.amdhsa_forward_progress 1
		.amdhsa_shared_vgpr_count 0
		.amdhsa_exception_fp_ieee_invalid_op 0
		.amdhsa_exception_fp_denorm_src 0
		.amdhsa_exception_fp_ieee_div_zero 0
		.amdhsa_exception_fp_ieee_overflow 0
		.amdhsa_exception_fp_ieee_underflow 0
		.amdhsa_exception_fp_ieee_inexact 0
		.amdhsa_exception_int_div_zero 0
	.end_amdhsa_kernel
	.section	.text._ZN9rocsparseL19gebsrmvn_2xn_kernelILj128ELj6ELj64E21rocsparse_complex_numIdEEEvi20rocsparse_direction_NS_24const_host_device_scalarIT2_EEPKiS8_PKS5_SA_S6_PS5_21rocsparse_index_base_b,"axG",@progbits,_ZN9rocsparseL19gebsrmvn_2xn_kernelILj128ELj6ELj64E21rocsparse_complex_numIdEEEvi20rocsparse_direction_NS_24const_host_device_scalarIT2_EEPKiS8_PKS5_SA_S6_PS5_21rocsparse_index_base_b,comdat
.Lfunc_end252:
	.size	_ZN9rocsparseL19gebsrmvn_2xn_kernelILj128ELj6ELj64E21rocsparse_complex_numIdEEEvi20rocsparse_direction_NS_24const_host_device_scalarIT2_EEPKiS8_PKS5_SA_S6_PS5_21rocsparse_index_base_b, .Lfunc_end252-_ZN9rocsparseL19gebsrmvn_2xn_kernelILj128ELj6ELj64E21rocsparse_complex_numIdEEEvi20rocsparse_direction_NS_24const_host_device_scalarIT2_EEPKiS8_PKS5_SA_S6_PS5_21rocsparse_index_base_b
                                        ; -- End function
	.set _ZN9rocsparseL19gebsrmvn_2xn_kernelILj128ELj6ELj64E21rocsparse_complex_numIdEEEvi20rocsparse_direction_NS_24const_host_device_scalarIT2_EEPKiS8_PKS5_SA_S6_PS5_21rocsparse_index_base_b.num_vgpr, 98
	.set _ZN9rocsparseL19gebsrmvn_2xn_kernelILj128ELj6ELj64E21rocsparse_complex_numIdEEEvi20rocsparse_direction_NS_24const_host_device_scalarIT2_EEPKiS8_PKS5_SA_S6_PS5_21rocsparse_index_base_b.num_agpr, 0
	.set _ZN9rocsparseL19gebsrmvn_2xn_kernelILj128ELj6ELj64E21rocsparse_complex_numIdEEEvi20rocsparse_direction_NS_24const_host_device_scalarIT2_EEPKiS8_PKS5_SA_S6_PS5_21rocsparse_index_base_b.numbered_sgpr, 16
	.set _ZN9rocsparseL19gebsrmvn_2xn_kernelILj128ELj6ELj64E21rocsparse_complex_numIdEEEvi20rocsparse_direction_NS_24const_host_device_scalarIT2_EEPKiS8_PKS5_SA_S6_PS5_21rocsparse_index_base_b.num_named_barrier, 0
	.set _ZN9rocsparseL19gebsrmvn_2xn_kernelILj128ELj6ELj64E21rocsparse_complex_numIdEEEvi20rocsparse_direction_NS_24const_host_device_scalarIT2_EEPKiS8_PKS5_SA_S6_PS5_21rocsparse_index_base_b.private_seg_size, 0
	.set _ZN9rocsparseL19gebsrmvn_2xn_kernelILj128ELj6ELj64E21rocsparse_complex_numIdEEEvi20rocsparse_direction_NS_24const_host_device_scalarIT2_EEPKiS8_PKS5_SA_S6_PS5_21rocsparse_index_base_b.uses_vcc, 1
	.set _ZN9rocsparseL19gebsrmvn_2xn_kernelILj128ELj6ELj64E21rocsparse_complex_numIdEEEvi20rocsparse_direction_NS_24const_host_device_scalarIT2_EEPKiS8_PKS5_SA_S6_PS5_21rocsparse_index_base_b.uses_flat_scratch, 0
	.set _ZN9rocsparseL19gebsrmvn_2xn_kernelILj128ELj6ELj64E21rocsparse_complex_numIdEEEvi20rocsparse_direction_NS_24const_host_device_scalarIT2_EEPKiS8_PKS5_SA_S6_PS5_21rocsparse_index_base_b.has_dyn_sized_stack, 0
	.set _ZN9rocsparseL19gebsrmvn_2xn_kernelILj128ELj6ELj64E21rocsparse_complex_numIdEEEvi20rocsparse_direction_NS_24const_host_device_scalarIT2_EEPKiS8_PKS5_SA_S6_PS5_21rocsparse_index_base_b.has_recursion, 0
	.set _ZN9rocsparseL19gebsrmvn_2xn_kernelILj128ELj6ELj64E21rocsparse_complex_numIdEEEvi20rocsparse_direction_NS_24const_host_device_scalarIT2_EEPKiS8_PKS5_SA_S6_PS5_21rocsparse_index_base_b.has_indirect_call, 0
	.section	.AMDGPU.csdata,"",@progbits
; Kernel info:
; codeLenInByte = 3524
; TotalNumSgprs: 18
; NumVgprs: 98
; ScratchSize: 0
; MemoryBound: 0
; FloatMode: 240
; IeeeMode: 1
; LDSByteSize: 0 bytes/workgroup (compile time only)
; SGPRBlocks: 0
; VGPRBlocks: 12
; NumSGPRsForWavesPerEU: 18
; NumVGPRsForWavesPerEU: 98
; Occupancy: 9
; WaveLimiterHint : 1
; COMPUTE_PGM_RSRC2:SCRATCH_EN: 0
; COMPUTE_PGM_RSRC2:USER_SGPR: 6
; COMPUTE_PGM_RSRC2:TRAP_HANDLER: 0
; COMPUTE_PGM_RSRC2:TGID_X_EN: 1
; COMPUTE_PGM_RSRC2:TGID_Y_EN: 0
; COMPUTE_PGM_RSRC2:TGID_Z_EN: 0
; COMPUTE_PGM_RSRC2:TIDIG_COMP_CNT: 0
	.section	.text._ZN9rocsparseL19gebsrmvn_2xn_kernelILj128ELj7ELj4E21rocsparse_complex_numIdEEEvi20rocsparse_direction_NS_24const_host_device_scalarIT2_EEPKiS8_PKS5_SA_S6_PS5_21rocsparse_index_base_b,"axG",@progbits,_ZN9rocsparseL19gebsrmvn_2xn_kernelILj128ELj7ELj4E21rocsparse_complex_numIdEEEvi20rocsparse_direction_NS_24const_host_device_scalarIT2_EEPKiS8_PKS5_SA_S6_PS5_21rocsparse_index_base_b,comdat
	.globl	_ZN9rocsparseL19gebsrmvn_2xn_kernelILj128ELj7ELj4E21rocsparse_complex_numIdEEEvi20rocsparse_direction_NS_24const_host_device_scalarIT2_EEPKiS8_PKS5_SA_S6_PS5_21rocsparse_index_base_b ; -- Begin function _ZN9rocsparseL19gebsrmvn_2xn_kernelILj128ELj7ELj4E21rocsparse_complex_numIdEEEvi20rocsparse_direction_NS_24const_host_device_scalarIT2_EEPKiS8_PKS5_SA_S6_PS5_21rocsparse_index_base_b
	.p2align	8
	.type	_ZN9rocsparseL19gebsrmvn_2xn_kernelILj128ELj7ELj4E21rocsparse_complex_numIdEEEvi20rocsparse_direction_NS_24const_host_device_scalarIT2_EEPKiS8_PKS5_SA_S6_PS5_21rocsparse_index_base_b,@function
_ZN9rocsparseL19gebsrmvn_2xn_kernelILj128ELj7ELj4E21rocsparse_complex_numIdEEEvi20rocsparse_direction_NS_24const_host_device_scalarIT2_EEPKiS8_PKS5_SA_S6_PS5_21rocsparse_index_base_b: ; @_ZN9rocsparseL19gebsrmvn_2xn_kernelILj128ELj7ELj4E21rocsparse_complex_numIdEEEvi20rocsparse_direction_NS_24const_host_device_scalarIT2_EEPKiS8_PKS5_SA_S6_PS5_21rocsparse_index_base_b
; %bb.0:
	s_clause 0x1
	s_load_dwordx2 s[2:3], s[4:5], 0x50
	s_load_dwordx2 s[0:1], s[4:5], 0x8
	s_add_u32 s7, s4, 8
	s_addc_u32 s10, s5, 0
	s_add_u32 s11, s4, 56
	s_addc_u32 s12, s5, 0
	s_load_dwordx2 s[8:9], s[4:5], 0x38
	s_waitcnt lgkmcnt(0)
	s_bitcmp1_b32 s3, 0
	s_cselect_b32 s0, s7, s0
	s_cselect_b32 s1, s10, s1
	v_mov_b32_e32 v1, s0
	v_mov_b32_e32 v2, s1
	s_cselect_b32 s0, s11, s8
	s_cselect_b32 s1, s12, s9
	v_mov_b32_e32 v5, s0
	v_mov_b32_e32 v6, s1
	flat_load_dwordx4 v[1:4], v[1:2]
	flat_load_dwordx4 v[5:8], v[5:6]
	s_waitcnt vmcnt(1) lgkmcnt(1)
	v_cmp_eq_f64_e32 vcc_lo, 0, v[1:2]
	v_cmp_eq_f64_e64 s0, 0, v[3:4]
	s_and_b32 s3, vcc_lo, s0
	s_mov_b32 s0, -1
	s_and_saveexec_b32 s1, s3
	s_cbranch_execz .LBB253_2
; %bb.1:
	s_waitcnt vmcnt(0) lgkmcnt(0)
	v_cmp_neq_f64_e32 vcc_lo, 1.0, v[5:6]
	v_cmp_neq_f64_e64 s0, 0, v[7:8]
	s_or_b32 s0, vcc_lo, s0
	s_orn2_b32 s0, s0, exec_lo
.LBB253_2:
	s_or_b32 exec_lo, exec_lo, s1
	s_and_saveexec_b32 s1, s0
	s_cbranch_execz .LBB253_21
; %bb.3:
	s_load_dwordx2 s[0:1], s[4:5], 0x0
	v_lshrrev_b32_e32 v9, 2, v0
	v_lshl_or_b32 v9, s6, 5, v9
	s_waitcnt lgkmcnt(0)
	v_cmp_gt_i32_e32 vcc_lo, s0, v9
	s_and_b32 exec_lo, exec_lo, vcc_lo
	s_cbranch_execz .LBB253_21
; %bb.4:
	s_load_dwordx8 s[8:15], s[4:5], 0x18
	v_ashrrev_i32_e32 v10, 31, v9
	v_and_b32_e32 v0, 3, v0
	s_cmp_lg_u32 s1, 0
	v_lshlrev_b64 v[10:11], 2, v[9:10]
	s_waitcnt lgkmcnt(0)
	v_add_co_u32 v10, vcc_lo, s8, v10
	v_add_co_ci_u32_e64 v11, null, s9, v11, vcc_lo
	global_load_dwordx2 v[10:11], v[10:11], off
	s_waitcnt vmcnt(0)
	v_subrev_nc_u32_e32 v10, s2, v10
	v_subrev_nc_u32_e32 v26, s2, v11
	v_add_nc_u32_e32 v10, v10, v0
	v_cmp_lt_i32_e64 s0, v10, v26
	s_cbranch_scc0 .LBB253_10
; %bb.5:
	v_mov_b32_e32 v12, 0
	v_mov_b32_e32 v18, 0
	v_mov_b32_e32 v14, 0
	v_mov_b32_e32 v16, 0
	v_mov_b32_e32 v13, 0
	v_mov_b32_e32 v19, 0
	v_mov_b32_e32 v15, 0
	v_mov_b32_e32 v17, 0
	s_and_saveexec_b32 s1, s0
	s_cbranch_execz .LBB253_9
; %bb.6:
	v_mad_u64_u32 v[20:21], null, v10, 14, 12
	v_mov_b32_e32 v12, 0
	v_mov_b32_e32 v18, 0
	;; [unrolled: 1-line block ×10, first 2 shown]
	s_mov_b32 s3, 0
.LBB253_7:                              ; =>This Inner Loop Header: Depth=1
	v_ashrrev_i32_e32 v25, 31, v24
	v_mov_b32_e32 v88, v23
	v_lshlrev_b64 v[21:22], 2, v[24:25]
	v_add_nc_u32_e32 v24, 4, v24
	v_add_co_u32 v21, vcc_lo, s10, v21
	v_add_co_ci_u32_e64 v22, null, s11, v22, vcc_lo
	global_load_dword v11, v[21:22], off
	v_add_nc_u32_e32 v22, -12, v20
	v_lshlrev_b64 v[21:22], 4, v[22:23]
	v_add_co_u32 v21, vcc_lo, s12, v21
	v_add_co_ci_u32_e64 v22, null, s13, v22, vcc_lo
	s_clause 0x1
	global_load_dwordx4 v[27:30], v[21:22], off offset:16
	global_load_dwordx4 v[31:34], v[21:22], off
	s_waitcnt vmcnt(2)
	v_subrev_nc_u32_e32 v11, s2, v11
	v_mul_lo_u32 v87, v11, 7
	v_lshlrev_b64 v[21:22], 4, v[87:88]
	v_add_co_u32 v21, vcc_lo, s14, v21
	v_add_co_ci_u32_e64 v22, null, s15, v22, vcc_lo
	global_load_dwordx4 v[35:38], v[21:22], off
	v_add_nc_u32_e32 v22, -10, v20
	v_lshlrev_b64 v[21:22], 4, v[22:23]
	v_add_co_u32 v43, vcc_lo, s12, v21
	v_add_co_ci_u32_e64 v44, null, s13, v22, vcc_lo
	v_add_nc_u32_e32 v22, 1, v87
	global_load_dwordx4 v[39:42], v[43:44], off offset:16
	v_lshlrev_b64 v[21:22], 4, v[22:23]
	v_add_co_u32 v21, vcc_lo, s14, v21
	v_add_co_ci_u32_e64 v22, null, s15, v22, vcc_lo
	global_load_dwordx4 v[43:46], v[43:44], off
	global_load_dwordx4 v[47:50], v[21:22], off
	v_add_nc_u32_e32 v22, -8, v20
	v_lshlrev_b64 v[51:52], 4, v[22:23]
	v_add_nc_u32_e32 v22, 2, v87
	v_lshlrev_b64 v[21:22], 4, v[22:23]
	v_add_co_u32 v55, vcc_lo, s12, v51
	v_add_co_ci_u32_e64 v56, null, s13, v52, vcc_lo
	v_add_co_u32 v21, vcc_lo, s14, v21
	v_add_co_ci_u32_e64 v22, null, s15, v22, vcc_lo
	s_clause 0x1
	global_load_dwordx4 v[51:54], v[55:56], off offset:16
	global_load_dwordx4 v[55:58], v[55:56], off
	global_load_dwordx4 v[59:62], v[21:22], off
	v_add_nc_u32_e32 v22, -6, v20
	v_lshlrev_b64 v[63:64], 4, v[22:23]
	v_add_nc_u32_e32 v22, 3, v87
	v_lshlrev_b64 v[21:22], 4, v[22:23]
	v_add_co_u32 v67, vcc_lo, s12, v63
	v_add_co_ci_u32_e64 v68, null, s13, v64, vcc_lo
	v_add_co_u32 v21, vcc_lo, s14, v21
	v_add_co_ci_u32_e64 v22, null, s15, v22, vcc_lo
	s_clause 0x1
	global_load_dwordx4 v[63:66], v[67:68], off offset:16
	global_load_dwordx4 v[67:70], v[67:68], off
	global_load_dwordx4 v[71:74], v[21:22], off
	v_add_nc_u32_e32 v22, -4, v20
	v_mov_b32_e32 v21, v23
	v_lshlrev_b64 v[75:76], 4, v[22:23]
	v_add_nc_u32_e32 v22, 4, v87
	v_lshlrev_b64 v[77:78], 4, v[22:23]
	v_add_co_u32 v79, vcc_lo, s12, v75
	v_add_co_ci_u32_e64 v80, null, s13, v76, vcc_lo
	v_lshlrev_b64 v[21:22], 4, v[20:21]
	v_add_co_u32 v83, vcc_lo, s14, v77
	v_add_co_ci_u32_e64 v84, null, s15, v78, vcc_lo
	s_clause 0x1
	global_load_dwordx4 v[75:78], v[79:80], off offset:16
	global_load_dwordx4 v[79:82], v[79:80], off
	global_load_dwordx4 v[83:86], v[83:84], off
	v_add_co_u32 v99, vcc_lo, s12, v21
	v_add_co_ci_u32_e64 v100, null, s13, v22, vcc_lo
	v_add_nc_u32_e32 v22, -2, v20
	v_add_nc_u32_e32 v20, 56, v20
	v_lshlrev_b64 v[88:89], 4, v[22:23]
	v_add_nc_u32_e32 v22, 5, v87
	v_lshlrev_b64 v[90:91], 4, v[22:23]
	v_add_co_u32 v92, vcc_lo, s12, v88
	v_add_co_ci_u32_e64 v93, null, s13, v89, vcc_lo
	v_add_nc_u32_e32 v22, 6, v87
	v_add_co_u32 v95, vcc_lo, s14, v90
	v_add_co_ci_u32_e64 v96, null, s15, v91, vcc_lo
	s_clause 0x1
	global_load_dwordx4 v[87:90], v[92:93], off offset:16
	global_load_dwordx4 v[91:94], v[92:93], off
	v_lshlrev_b64 v[21:22], 4, v[22:23]
	global_load_dwordx4 v[95:98], v[95:96], off
	v_add_co_u32 v21, vcc_lo, s14, v21
	v_add_co_ci_u32_e64 v22, null, s15, v22, vcc_lo
	v_cmp_ge_i32_e32 vcc_lo, v24, v26
	s_or_b32 s3, vcc_lo, s3
	s_waitcnt vmcnt(15)
	v_fma_f64 v[11:12], v[33:34], v[35:36], v[12:13]
	v_fma_f64 v[18:19], v[31:32], v[35:36], v[18:19]
	;; [unrolled: 1-line block ×5, first 2 shown]
	v_fma_f64 v[18:19], -v[33:34], v[37:38], v[18:19]
	global_load_dwordx4 v[31:34], v[99:100], off offset:16
	v_fma_f64 v[15:16], -v[29:30], v[37:38], v[11:12]
	v_fma_f64 v[35:36], v[27:28], v[37:38], v[13:14]
	global_load_dwordx4 v[11:14], v[99:100], off
	global_load_dwordx4 v[27:30], v[21:22], off
	s_waitcnt vmcnt(15)
	v_fma_f64 v[17:18], v[43:44], v[47:48], v[18:19]
	v_fma_f64 v[21:22], v[45:46], v[47:48], v[101:102]
	v_fma_f64 v[15:16], v[39:40], v[47:48], v[15:16]
	v_fma_f64 v[35:36], v[41:42], v[47:48], v[35:36]
	v_fma_f64 v[17:18], -v[45:46], v[49:50], v[17:18]
	v_fma_f64 v[21:22], v[43:44], v[49:50], v[21:22]
	v_fma_f64 v[15:16], -v[41:42], v[49:50], v[15:16]
	v_fma_f64 v[35:36], v[39:40], v[49:50], v[35:36]
	s_waitcnt vmcnt(12)
	v_fma_f64 v[17:18], v[55:56], v[59:60], v[17:18]
	v_fma_f64 v[21:22], v[57:58], v[59:60], v[21:22]
	v_fma_f64 v[15:16], v[51:52], v[59:60], v[15:16]
	v_fma_f64 v[35:36], v[53:54], v[59:60], v[35:36]
	v_fma_f64 v[17:18], -v[57:58], v[61:62], v[17:18]
	v_fma_f64 v[21:22], v[55:56], v[61:62], v[21:22]
	v_fma_f64 v[15:16], -v[53:54], v[61:62], v[15:16]
	v_fma_f64 v[35:36], v[51:52], v[61:62], v[35:36]
	;; [unrolled: 9-line block ×6, first 2 shown]
	s_andn2_b32 exec_lo, exec_lo, s3
	s_cbranch_execnz .LBB253_7
; %bb.8:
	s_or_b32 exec_lo, exec_lo, s3
.LBB253_9:
	s_or_b32 exec_lo, exec_lo, s1
	s_cbranch_execz .LBB253_11
	s_branch .LBB253_16
.LBB253_10:
                                        ; implicit-def: $vgpr12_vgpr13
                                        ; implicit-def: $vgpr18_vgpr19
                                        ; implicit-def: $vgpr14_vgpr15
                                        ; implicit-def: $vgpr16_vgpr17
.LBB253_11:
	v_mov_b32_e32 v12, 0
	v_mov_b32_e32 v18, 0
	;; [unrolled: 1-line block ×8, first 2 shown]
	s_and_saveexec_b32 s1, s0
	s_cbranch_execz .LBB253_15
; %bb.12:
	v_mad_u64_u32 v[20:21], null, v10, 14, 13
	v_mov_b32_e32 v12, 0
	v_mov_b32_e32 v18, 0
	;; [unrolled: 1-line block ×9, first 2 shown]
	s_mov_b32 s3, 0
.LBB253_13:                             ; =>This Inner Loop Header: Depth=1
	v_ashrrev_i32_e32 v11, 31, v10
	v_add_nc_u32_e32 v24, -6, v20
	v_mov_b32_e32 v25, v23
	v_mov_b32_e32 v80, v23
	v_lshlrev_b64 v[21:22], 2, v[10:11]
	v_add_nc_u32_e32 v10, 4, v10
	v_lshlrev_b64 v[24:25], 4, v[24:25]
	v_add_co_u32 v21, vcc_lo, s10, v21
	v_add_co_ci_u32_e64 v22, null, s11, v22, vcc_lo
	global_load_dword v11, v[21:22], off
	v_add_nc_u32_e32 v22, -13, v20
	v_mov_b32_e32 v21, v23
	v_lshlrev_b64 v[27:28], 4, v[22:23]
	v_lshlrev_b64 v[50:51], 4, v[20:21]
	v_add_co_u32 v21, vcc_lo, s12, v27
	v_add_co_ci_u32_e64 v22, null, s13, v28, vcc_lo
	v_add_co_u32 v24, vcc_lo, s12, v24
	v_add_co_ci_u32_e64 v25, null, s13, v25, vcc_lo
	s_clause 0x2
	global_load_dwordx4 v[27:30], v[21:22], off offset:16
	global_load_dwordx4 v[31:34], v[21:22], off
	global_load_dwordx4 v[35:38], v[24:25], off
	v_add_co_u32 v81, vcc_lo, s12, v50
	v_add_co_ci_u32_e64 v82, null, s13, v51, vcc_lo
	s_waitcnt vmcnt(3)
	v_subrev_nc_u32_e32 v11, s2, v11
	v_mul_lo_u32 v79, v11, 7
	v_lshlrev_b64 v[24:25], 4, v[79:80]
	v_add_nc_u32_e32 v22, 1, v79
	v_lshlrev_b64 v[43:44], 4, v[22:23]
	v_add_co_u32 v24, s0, s14, v24
	v_add_co_ci_u32_e64 v25, null, s15, v25, s0
	v_add_nc_u32_e32 v22, -5, v20
	global_load_dwordx4 v[39:42], v[24:25], off
	v_add_co_u32 v24, s0, s14, v43
	v_add_co_ci_u32_e64 v25, null, s15, v44, s0
	v_lshlrev_b64 v[21:22], 4, v[22:23]
	global_load_dwordx4 v[43:46], v[24:25], off
	v_add_co_u32 v21, s0, s12, v21
	v_add_co_ci_u32_e64 v22, null, s13, v22, s0
	global_load_dwordx4 v[47:50], v[21:22], off
	v_add_nc_u32_e32 v22, -11, v20
	v_lshlrev_b64 v[24:25], 4, v[22:23]
	v_add_nc_u32_e32 v22, 2, v79
	v_lshlrev_b64 v[51:52], 4, v[22:23]
	v_add_nc_u32_e32 v22, -4, v20
	v_add_co_u32 v24, vcc_lo, s12, v24
	v_add_co_ci_u32_e64 v25, null, s13, v25, vcc_lo
	v_lshlrev_b64 v[59:60], 4, v[22:23]
	v_add_co_u32 v55, vcc_lo, s14, v51
	v_add_co_ci_u32_e64 v56, null, s15, v52, vcc_lo
	global_load_dwordx4 v[51:54], v[24:25], off
	v_add_co_u32 v59, vcc_lo, s12, v59
	v_add_co_ci_u32_e64 v60, null, s13, v60, vcc_lo
	global_load_dwordx4 v[55:58], v[55:56], off
	v_add_nc_u32_e32 v22, -10, v20
	global_load_dwordx4 v[59:62], v[59:60], off
	v_lshlrev_b64 v[24:25], 4, v[22:23]
	v_add_nc_u32_e32 v22, 3, v79
	v_lshlrev_b64 v[63:64], 4, v[22:23]
	v_add_nc_u32_e32 v22, -3, v20
	v_add_co_u32 v24, vcc_lo, s12, v24
	v_add_co_ci_u32_e64 v25, null, s13, v25, vcc_lo
	v_lshlrev_b64 v[71:72], 4, v[22:23]
	v_add_co_u32 v67, vcc_lo, s14, v63
	v_add_co_ci_u32_e64 v68, null, s15, v64, vcc_lo
	global_load_dwordx4 v[63:66], v[24:25], off
	v_add_co_u32 v71, vcc_lo, s12, v71
	v_add_co_ci_u32_e64 v72, null, s13, v72, vcc_lo
	global_load_dwordx4 v[67:70], v[67:68], off
	v_add_nc_u32_e32 v22, -9, v20
	global_load_dwordx4 v[71:74], v[71:72], off
	v_lshlrev_b64 v[24:25], 4, v[22:23]
	v_add_nc_u32_e32 v22, 4, v79
	v_lshlrev_b64 v[75:76], 4, v[22:23]
	v_add_nc_u32_e32 v22, -2, v20
	v_add_co_u32 v24, vcc_lo, s12, v24
	v_add_co_ci_u32_e64 v25, null, s13, v25, vcc_lo
	v_lshlrev_b64 v[83:84], 4, v[22:23]
	v_add_nc_u32_e32 v22, -8, v20
	v_add_co_u32 v85, vcc_lo, s14, v75
	v_add_co_ci_u32_e64 v86, null, s15, v76, vcc_lo
	global_load_dwordx4 v[75:78], v[24:25], off
	s_waitcnt vmcnt(9)
	v_fma_f64 v[11:12], v[33:34], v[39:40], v[12:13]
	v_fma_f64 v[18:19], v[31:32], v[39:40], v[18:19]
	;; [unrolled: 1-line block ×5, first 2 shown]
	v_lshlrev_b64 v[11:12], 4, v[22:23]
	v_fma_f64 v[24:25], -v[33:34], v[41:42], v[18:19]
	v_add_co_u32 v18, vcc_lo, s12, v83
	v_add_co_ci_u32_e64 v19, null, s13, v84, vcc_lo
	v_fma_f64 v[39:40], -v[37:38], v[41:42], v[13:14]
	v_fma_f64 v[41:42], v[35:36], v[41:42], v[15:16]
	v_add_co_u32 v35, vcc_lo, s12, v11
	global_load_dwordx4 v[31:34], v[85:86], off
	v_add_co_ci_u32_e64 v36, null, s13, v12, vcc_lo
	global_load_dwordx4 v[11:14], v[18:19], off
	v_add_nc_u32_e32 v22, 5, v79
	v_lshlrev_b64 v[15:16], 4, v[22:23]
	v_add_nc_u32_e32 v22, -1, v20
	s_waitcnt vmcnt(10)
	v_fma_f64 v[24:25], v[27:28], v[43:44], v[24:25]
	v_lshlrev_b64 v[17:18], 4, v[22:23]
	v_add_co_u32 v21, vcc_lo, s14, v15
	v_add_co_ci_u32_e64 v22, null, s15, v16, vcc_lo
	v_add_co_u32 v37, vcc_lo, s12, v17
	v_add_co_ci_u32_e64 v38, null, s13, v18, vcc_lo
	global_load_dwordx4 v[15:18], v[35:36], off
	v_fma_f64 v[35:36], v[29:30], v[43:44], v[87:88]
	v_fma_f64 v[24:25], -v[29:30], v[45:46], v[24:25]
	v_fma_f64 v[83:84], v[27:28], v[45:46], v[35:36]
	global_load_dwordx4 v[27:30], v[21:22], off
	global_load_dwordx4 v[35:38], v[37:38], off
	s_waitcnt vmcnt(12)
	v_fma_f64 v[21:22], v[47:48], v[43:44], v[39:40]
	v_fma_f64 v[39:40], v[49:50], v[43:44], v[41:42]
	v_fma_f64 v[85:86], -v[49:50], v[45:46], v[21:22]
	v_add_nc_u32_e32 v22, -7, v20
	v_fma_f64 v[87:88], v[47:48], v[45:46], v[39:40]
	global_load_dwordx4 v[39:42], v[81:82], off
	v_add_nc_u32_e32 v20, 56, v20
	v_lshlrev_b64 v[43:44], 4, v[22:23]
	v_add_nc_u32_e32 v22, 6, v79
	v_lshlrev_b64 v[21:22], 4, v[22:23]
	v_add_co_u32 v43, vcc_lo, s12, v43
	v_add_co_ci_u32_e64 v44, null, s13, v44, vcc_lo
	v_add_co_u32 v21, vcc_lo, s14, v21
	v_add_co_ci_u32_e64 v22, null, s15, v22, vcc_lo
	global_load_dwordx4 v[43:46], v[43:44], off
	global_load_dwordx4 v[47:50], v[21:22], off
	s_waitcnt vmcnt(13)
	v_fma_f64 v[21:22], v[51:52], v[55:56], v[24:25]
	v_fma_f64 v[24:25], v[53:54], v[55:56], v[83:84]
	s_waitcnt vmcnt(12)
	v_fma_f64 v[79:80], v[59:60], v[55:56], v[85:86]
	v_fma_f64 v[55:56], v[61:62], v[55:56], v[87:88]
	v_cmp_ge_i32_e32 vcc_lo, v10, v26
	s_or_b32 s3, vcc_lo, s3
	v_fma_f64 v[21:22], -v[53:54], v[57:58], v[21:22]
	v_fma_f64 v[24:25], v[51:52], v[57:58], v[24:25]
	v_fma_f64 v[51:52], -v[61:62], v[57:58], v[79:80]
	v_fma_f64 v[53:54], v[59:60], v[57:58], v[55:56]
	s_waitcnt vmcnt(10)
	v_fma_f64 v[21:22], v[63:64], v[67:68], v[21:22]
	v_fma_f64 v[24:25], v[65:66], v[67:68], v[24:25]
	s_waitcnt vmcnt(9)
	v_fma_f64 v[51:52], v[71:72], v[67:68], v[51:52]
	v_fma_f64 v[53:54], v[73:74], v[67:68], v[53:54]
	v_fma_f64 v[21:22], -v[65:66], v[69:70], v[21:22]
	v_fma_f64 v[24:25], v[63:64], v[69:70], v[24:25]
	v_fma_f64 v[51:52], -v[73:74], v[69:70], v[51:52]
	v_fma_f64 v[53:54], v[71:72], v[69:70], v[53:54]
	s_waitcnt vmcnt(7)
	v_fma_f64 v[21:22], v[75:76], v[31:32], v[21:22]
	v_fma_f64 v[24:25], v[77:78], v[31:32], v[24:25]
	s_waitcnt vmcnt(6)
	v_fma_f64 v[51:52], v[11:12], v[31:32], v[51:52]
	v_fma_f64 v[31:32], v[13:14], v[31:32], v[53:54]
	;; [unrolled: 10-line block ×3, first 2 shown]
	v_fma_f64 v[17:18], -v[17:18], v[29:30], v[21:22]
	v_fma_f64 v[15:16], v[15:16], v[29:30], v[24:25]
	v_fma_f64 v[13:14], -v[37:38], v[29:30], v[13:14]
	v_fma_f64 v[11:12], v[35:36], v[29:30], v[11:12]
	s_waitcnt vmcnt(0)
	v_fma_f64 v[17:18], v[43:44], v[47:48], v[17:18]
	v_fma_f64 v[15:16], v[45:46], v[47:48], v[15:16]
	;; [unrolled: 1-line block ×4, first 2 shown]
	v_fma_f64 v[18:19], -v[45:46], v[49:50], v[17:18]
	v_fma_f64 v[12:13], v[43:44], v[49:50], v[15:16]
	v_fma_f64 v[14:15], -v[41:42], v[49:50], v[21:22]
	v_fma_f64 v[16:17], v[39:40], v[49:50], v[24:25]
	s_andn2_b32 exec_lo, exec_lo, s3
	s_cbranch_execnz .LBB253_13
; %bb.14:
	s_or_b32 exec_lo, exec_lo, s3
.LBB253_15:
	s_or_b32 exec_lo, exec_lo, s1
.LBB253_16:
	v_mbcnt_lo_u32_b32 v26, -1, 0
	v_xor_b32_e32 v10, 2, v26
	v_cmp_gt_i32_e32 vcc_lo, 32, v10
	v_cndmask_b32_e32 v10, v26, v10, vcc_lo
	v_lshlrev_b32_e32 v25, 2, v10
	ds_bpermute_b32 v10, v25, v18
	ds_bpermute_b32 v11, v25, v19
	;; [unrolled: 1-line block ×8, first 2 shown]
	s_waitcnt lgkmcnt(6)
	v_add_f64 v[10:11], v[18:19], v[10:11]
	s_waitcnt lgkmcnt(4)
	v_add_f64 v[18:19], v[12:13], v[20:21]
	;; [unrolled: 2-line block ×4, first 2 shown]
	v_xor_b32_e32 v16, 1, v26
	v_cmp_gt_i32_e32 vcc_lo, 32, v16
	v_cndmask_b32_e32 v16, v26, v16, vcc_lo
	v_cmp_eq_u32_e32 vcc_lo, 3, v0
	v_lshlrev_b32_e32 v23, 2, v16
	ds_bpermute_b32 v24, v23, v10
	ds_bpermute_b32 v25, v23, v11
	;; [unrolled: 1-line block ×8, first 2 shown]
	s_and_b32 exec_lo, exec_lo, vcc_lo
	s_cbranch_execz .LBB253_21
; %bb.17:
	v_cmp_eq_f64_e32 vcc_lo, 0, v[5:6]
	v_cmp_eq_f64_e64 s0, 0, v[7:8]
	s_waitcnt lgkmcnt(6)
	v_add_f64 v[10:11], v[10:11], v[24:25]
	s_waitcnt lgkmcnt(4)
	v_add_f64 v[16:17], v[18:19], v[16:17]
	;; [unrolled: 2-line block ×4, first 2 shown]
	s_load_dwordx2 s[2:3], s[4:5], 0x48
	s_and_b32 s0, vcc_lo, s0
	s_and_saveexec_b32 s1, s0
	s_xor_b32 s0, exec_lo, s1
	s_cbranch_execz .LBB253_19
; %bb.18:
	v_mul_f64 v[5:6], v[16:17], -v[3:4]
	v_mul_f64 v[7:8], v[1:2], v[16:17]
	v_mul_f64 v[16:17], v[14:15], -v[3:4]
	v_mul_f64 v[14:15], v[1:2], v[14:15]
	v_lshlrev_b32_e32 v9, 1, v9
	v_fma_f64 v[5:6], v[1:2], v[10:11], v[5:6]
	v_fma_f64 v[7:8], v[3:4], v[10:11], v[7:8]
	;; [unrolled: 1-line block ×4, first 2 shown]
	v_ashrrev_i32_e32 v10, 31, v9
                                        ; implicit-def: $vgpr16_vgpr17
                                        ; implicit-def: $vgpr12_vgpr13
                                        ; implicit-def: $vgpr14_vgpr15
	v_lshlrev_b64 v[9:10], 4, v[9:10]
	s_waitcnt lgkmcnt(0)
	v_add_co_u32 v9, vcc_lo, s2, v9
	v_add_co_ci_u32_e64 v10, null, s3, v10, vcc_lo
	global_store_dwordx4 v[9:10], v[5:8], off
	global_store_dwordx4 v[9:10], v[0:3], off offset:16
                                        ; implicit-def: $vgpr9
                                        ; implicit-def: $vgpr10_vgpr11
                                        ; implicit-def: $vgpr7_vgpr8
                                        ; implicit-def: $vgpr3_vgpr4
.LBB253_19:
	s_andn2_saveexec_b32 s0, s0
	s_cbranch_execz .LBB253_21
; %bb.20:
	v_lshlrev_b32_e32 v18, 1, v9
	v_mul_f64 v[28:29], v[16:17], -v[3:4]
	v_mul_f64 v[16:17], v[1:2], v[16:17]
	v_mul_f64 v[30:31], v[14:15], -v[3:4]
	v_mul_f64 v[14:15], v[1:2], v[14:15]
	v_ashrrev_i32_e32 v19, 31, v18
	v_lshlrev_b64 v[18:19], 4, v[18:19]
	s_waitcnt lgkmcnt(0)
	v_add_co_u32 v26, vcc_lo, s2, v18
	v_add_co_ci_u32_e64 v27, null, s3, v19, vcc_lo
	s_clause 0x1
	global_load_dwordx4 v[18:21], v[26:27], off
	global_load_dwordx4 v[22:25], v[26:27], off offset:16
	v_fma_f64 v[28:29], v[1:2], v[10:11], v[28:29]
	v_fma_f64 v[9:10], v[3:4], v[10:11], v[16:17]
	;; [unrolled: 1-line block ×4, first 2 shown]
	s_waitcnt vmcnt(1)
	v_fma_f64 v[11:12], v[5:6], v[18:19], v[28:29]
	v_fma_f64 v[9:10], v[7:8], v[18:19], v[9:10]
	s_waitcnt vmcnt(0)
	v_fma_f64 v[13:14], v[5:6], v[22:23], v[0:1]
	v_fma_f64 v[15:16], v[7:8], v[22:23], v[2:3]
	v_fma_f64 v[0:1], -v[7:8], v[20:21], v[11:12]
	v_fma_f64 v[2:3], v[5:6], v[20:21], v[9:10]
	v_fma_f64 v[7:8], -v[7:8], v[24:25], v[13:14]
	v_fma_f64 v[9:10], v[5:6], v[24:25], v[15:16]
	global_store_dwordx4 v[26:27], v[0:3], off
	global_store_dwordx4 v[26:27], v[7:10], off offset:16
.LBB253_21:
	s_endpgm
	.section	.rodata,"a",@progbits
	.p2align	6, 0x0
	.amdhsa_kernel _ZN9rocsparseL19gebsrmvn_2xn_kernelILj128ELj7ELj4E21rocsparse_complex_numIdEEEvi20rocsparse_direction_NS_24const_host_device_scalarIT2_EEPKiS8_PKS5_SA_S6_PS5_21rocsparse_index_base_b
		.amdhsa_group_segment_fixed_size 0
		.amdhsa_private_segment_fixed_size 0
		.amdhsa_kernarg_size 88
		.amdhsa_user_sgpr_count 6
		.amdhsa_user_sgpr_private_segment_buffer 1
		.amdhsa_user_sgpr_dispatch_ptr 0
		.amdhsa_user_sgpr_queue_ptr 0
		.amdhsa_user_sgpr_kernarg_segment_ptr 1
		.amdhsa_user_sgpr_dispatch_id 0
		.amdhsa_user_sgpr_flat_scratch_init 0
		.amdhsa_user_sgpr_private_segment_size 0
		.amdhsa_wavefront_size32 1
		.amdhsa_uses_dynamic_stack 0
		.amdhsa_system_sgpr_private_segment_wavefront_offset 0
		.amdhsa_system_sgpr_workgroup_id_x 1
		.amdhsa_system_sgpr_workgroup_id_y 0
		.amdhsa_system_sgpr_workgroup_id_z 0
		.amdhsa_system_sgpr_workgroup_info 0
		.amdhsa_system_vgpr_workitem_id 0
		.amdhsa_next_free_vgpr 103
		.amdhsa_next_free_sgpr 16
		.amdhsa_reserve_vcc 1
		.amdhsa_reserve_flat_scratch 0
		.amdhsa_float_round_mode_32 0
		.amdhsa_float_round_mode_16_64 0
		.amdhsa_float_denorm_mode_32 3
		.amdhsa_float_denorm_mode_16_64 3
		.amdhsa_dx10_clamp 1
		.amdhsa_ieee_mode 1
		.amdhsa_fp16_overflow 0
		.amdhsa_workgroup_processor_mode 1
		.amdhsa_memory_ordered 1
		.amdhsa_forward_progress 1
		.amdhsa_shared_vgpr_count 0
		.amdhsa_exception_fp_ieee_invalid_op 0
		.amdhsa_exception_fp_denorm_src 0
		.amdhsa_exception_fp_ieee_div_zero 0
		.amdhsa_exception_fp_ieee_overflow 0
		.amdhsa_exception_fp_ieee_underflow 0
		.amdhsa_exception_fp_ieee_inexact 0
		.amdhsa_exception_int_div_zero 0
	.end_amdhsa_kernel
	.section	.text._ZN9rocsparseL19gebsrmvn_2xn_kernelILj128ELj7ELj4E21rocsparse_complex_numIdEEEvi20rocsparse_direction_NS_24const_host_device_scalarIT2_EEPKiS8_PKS5_SA_S6_PS5_21rocsparse_index_base_b,"axG",@progbits,_ZN9rocsparseL19gebsrmvn_2xn_kernelILj128ELj7ELj4E21rocsparse_complex_numIdEEEvi20rocsparse_direction_NS_24const_host_device_scalarIT2_EEPKiS8_PKS5_SA_S6_PS5_21rocsparse_index_base_b,comdat
.Lfunc_end253:
	.size	_ZN9rocsparseL19gebsrmvn_2xn_kernelILj128ELj7ELj4E21rocsparse_complex_numIdEEEvi20rocsparse_direction_NS_24const_host_device_scalarIT2_EEPKiS8_PKS5_SA_S6_PS5_21rocsparse_index_base_b, .Lfunc_end253-_ZN9rocsparseL19gebsrmvn_2xn_kernelILj128ELj7ELj4E21rocsparse_complex_numIdEEEvi20rocsparse_direction_NS_24const_host_device_scalarIT2_EEPKiS8_PKS5_SA_S6_PS5_21rocsparse_index_base_b
                                        ; -- End function
	.set _ZN9rocsparseL19gebsrmvn_2xn_kernelILj128ELj7ELj4E21rocsparse_complex_numIdEEEvi20rocsparse_direction_NS_24const_host_device_scalarIT2_EEPKiS8_PKS5_SA_S6_PS5_21rocsparse_index_base_b.num_vgpr, 103
	.set _ZN9rocsparseL19gebsrmvn_2xn_kernelILj128ELj7ELj4E21rocsparse_complex_numIdEEEvi20rocsparse_direction_NS_24const_host_device_scalarIT2_EEPKiS8_PKS5_SA_S6_PS5_21rocsparse_index_base_b.num_agpr, 0
	.set _ZN9rocsparseL19gebsrmvn_2xn_kernelILj128ELj7ELj4E21rocsparse_complex_numIdEEEvi20rocsparse_direction_NS_24const_host_device_scalarIT2_EEPKiS8_PKS5_SA_S6_PS5_21rocsparse_index_base_b.numbered_sgpr, 16
	.set _ZN9rocsparseL19gebsrmvn_2xn_kernelILj128ELj7ELj4E21rocsparse_complex_numIdEEEvi20rocsparse_direction_NS_24const_host_device_scalarIT2_EEPKiS8_PKS5_SA_S6_PS5_21rocsparse_index_base_b.num_named_barrier, 0
	.set _ZN9rocsparseL19gebsrmvn_2xn_kernelILj128ELj7ELj4E21rocsparse_complex_numIdEEEvi20rocsparse_direction_NS_24const_host_device_scalarIT2_EEPKiS8_PKS5_SA_S6_PS5_21rocsparse_index_base_b.private_seg_size, 0
	.set _ZN9rocsparseL19gebsrmvn_2xn_kernelILj128ELj7ELj4E21rocsparse_complex_numIdEEEvi20rocsparse_direction_NS_24const_host_device_scalarIT2_EEPKiS8_PKS5_SA_S6_PS5_21rocsparse_index_base_b.uses_vcc, 1
	.set _ZN9rocsparseL19gebsrmvn_2xn_kernelILj128ELj7ELj4E21rocsparse_complex_numIdEEEvi20rocsparse_direction_NS_24const_host_device_scalarIT2_EEPKiS8_PKS5_SA_S6_PS5_21rocsparse_index_base_b.uses_flat_scratch, 0
	.set _ZN9rocsparseL19gebsrmvn_2xn_kernelILj128ELj7ELj4E21rocsparse_complex_numIdEEEvi20rocsparse_direction_NS_24const_host_device_scalarIT2_EEPKiS8_PKS5_SA_S6_PS5_21rocsparse_index_base_b.has_dyn_sized_stack, 0
	.set _ZN9rocsparseL19gebsrmvn_2xn_kernelILj128ELj7ELj4E21rocsparse_complex_numIdEEEvi20rocsparse_direction_NS_24const_host_device_scalarIT2_EEPKiS8_PKS5_SA_S6_PS5_21rocsparse_index_base_b.has_recursion, 0
	.set _ZN9rocsparseL19gebsrmvn_2xn_kernelILj128ELj7ELj4E21rocsparse_complex_numIdEEEvi20rocsparse_direction_NS_24const_host_device_scalarIT2_EEPKiS8_PKS5_SA_S6_PS5_21rocsparse_index_base_b.has_indirect_call, 0
	.section	.AMDGPU.csdata,"",@progbits
; Kernel info:
; codeLenInByte = 3580
; TotalNumSgprs: 18
; NumVgprs: 103
; ScratchSize: 0
; MemoryBound: 0
; FloatMode: 240
; IeeeMode: 1
; LDSByteSize: 0 bytes/workgroup (compile time only)
; SGPRBlocks: 0
; VGPRBlocks: 12
; NumSGPRsForWavesPerEU: 18
; NumVGPRsForWavesPerEU: 103
; Occupancy: 9
; WaveLimiterHint : 1
; COMPUTE_PGM_RSRC2:SCRATCH_EN: 0
; COMPUTE_PGM_RSRC2:USER_SGPR: 6
; COMPUTE_PGM_RSRC2:TRAP_HANDLER: 0
; COMPUTE_PGM_RSRC2:TGID_X_EN: 1
; COMPUTE_PGM_RSRC2:TGID_Y_EN: 0
; COMPUTE_PGM_RSRC2:TGID_Z_EN: 0
; COMPUTE_PGM_RSRC2:TIDIG_COMP_CNT: 0
	.section	.text._ZN9rocsparseL19gebsrmvn_2xn_kernelILj128ELj7ELj8E21rocsparse_complex_numIdEEEvi20rocsparse_direction_NS_24const_host_device_scalarIT2_EEPKiS8_PKS5_SA_S6_PS5_21rocsparse_index_base_b,"axG",@progbits,_ZN9rocsparseL19gebsrmvn_2xn_kernelILj128ELj7ELj8E21rocsparse_complex_numIdEEEvi20rocsparse_direction_NS_24const_host_device_scalarIT2_EEPKiS8_PKS5_SA_S6_PS5_21rocsparse_index_base_b,comdat
	.globl	_ZN9rocsparseL19gebsrmvn_2xn_kernelILj128ELj7ELj8E21rocsparse_complex_numIdEEEvi20rocsparse_direction_NS_24const_host_device_scalarIT2_EEPKiS8_PKS5_SA_S6_PS5_21rocsparse_index_base_b ; -- Begin function _ZN9rocsparseL19gebsrmvn_2xn_kernelILj128ELj7ELj8E21rocsparse_complex_numIdEEEvi20rocsparse_direction_NS_24const_host_device_scalarIT2_EEPKiS8_PKS5_SA_S6_PS5_21rocsparse_index_base_b
	.p2align	8
	.type	_ZN9rocsparseL19gebsrmvn_2xn_kernelILj128ELj7ELj8E21rocsparse_complex_numIdEEEvi20rocsparse_direction_NS_24const_host_device_scalarIT2_EEPKiS8_PKS5_SA_S6_PS5_21rocsparse_index_base_b,@function
_ZN9rocsparseL19gebsrmvn_2xn_kernelILj128ELj7ELj8E21rocsparse_complex_numIdEEEvi20rocsparse_direction_NS_24const_host_device_scalarIT2_EEPKiS8_PKS5_SA_S6_PS5_21rocsparse_index_base_b: ; @_ZN9rocsparseL19gebsrmvn_2xn_kernelILj128ELj7ELj8E21rocsparse_complex_numIdEEEvi20rocsparse_direction_NS_24const_host_device_scalarIT2_EEPKiS8_PKS5_SA_S6_PS5_21rocsparse_index_base_b
; %bb.0:
	s_clause 0x1
	s_load_dwordx2 s[2:3], s[4:5], 0x50
	s_load_dwordx2 s[0:1], s[4:5], 0x8
	s_add_u32 s7, s4, 8
	s_addc_u32 s10, s5, 0
	s_add_u32 s11, s4, 56
	s_addc_u32 s12, s5, 0
	s_load_dwordx2 s[8:9], s[4:5], 0x38
	s_waitcnt lgkmcnt(0)
	s_bitcmp1_b32 s3, 0
	s_cselect_b32 s0, s7, s0
	s_cselect_b32 s1, s10, s1
	v_mov_b32_e32 v1, s0
	v_mov_b32_e32 v2, s1
	s_cselect_b32 s0, s11, s8
	s_cselect_b32 s1, s12, s9
	v_mov_b32_e32 v5, s0
	v_mov_b32_e32 v6, s1
	flat_load_dwordx4 v[1:4], v[1:2]
	flat_load_dwordx4 v[5:8], v[5:6]
	s_waitcnt vmcnt(1) lgkmcnt(1)
	v_cmp_eq_f64_e32 vcc_lo, 0, v[1:2]
	v_cmp_eq_f64_e64 s0, 0, v[3:4]
	s_and_b32 s3, vcc_lo, s0
	s_mov_b32 s0, -1
	s_and_saveexec_b32 s1, s3
	s_cbranch_execz .LBB254_2
; %bb.1:
	s_waitcnt vmcnt(0) lgkmcnt(0)
	v_cmp_neq_f64_e32 vcc_lo, 1.0, v[5:6]
	v_cmp_neq_f64_e64 s0, 0, v[7:8]
	s_or_b32 s0, vcc_lo, s0
	s_orn2_b32 s0, s0, exec_lo
.LBB254_2:
	s_or_b32 exec_lo, exec_lo, s1
	s_and_saveexec_b32 s1, s0
	s_cbranch_execz .LBB254_21
; %bb.3:
	s_load_dwordx2 s[0:1], s[4:5], 0x0
	v_lshrrev_b32_e32 v9, 3, v0
	v_lshl_or_b32 v9, s6, 4, v9
	s_waitcnt lgkmcnt(0)
	v_cmp_gt_i32_e32 vcc_lo, s0, v9
	s_and_b32 exec_lo, exec_lo, vcc_lo
	s_cbranch_execz .LBB254_21
; %bb.4:
	s_load_dwordx8 s[8:15], s[4:5], 0x18
	v_ashrrev_i32_e32 v10, 31, v9
	v_and_b32_e32 v0, 7, v0
	s_cmp_lg_u32 s1, 0
	v_lshlrev_b64 v[10:11], 2, v[9:10]
	s_waitcnt lgkmcnt(0)
	v_add_co_u32 v10, vcc_lo, s8, v10
	v_add_co_ci_u32_e64 v11, null, s9, v11, vcc_lo
	global_load_dwordx2 v[10:11], v[10:11], off
	s_waitcnt vmcnt(0)
	v_subrev_nc_u32_e32 v10, s2, v10
	v_subrev_nc_u32_e32 v26, s2, v11
	v_add_nc_u32_e32 v10, v10, v0
	v_cmp_lt_i32_e64 s0, v10, v26
	s_cbranch_scc0 .LBB254_10
; %bb.5:
	v_mov_b32_e32 v12, 0
	v_mov_b32_e32 v18, 0
	;; [unrolled: 1-line block ×8, first 2 shown]
	s_and_saveexec_b32 s1, s0
	s_cbranch_execz .LBB254_9
; %bb.6:
	v_mad_u64_u32 v[20:21], null, v10, 14, 12
	v_mov_b32_e32 v12, 0
	v_mov_b32_e32 v18, 0
	;; [unrolled: 1-line block ×10, first 2 shown]
	s_mov_b32 s3, 0
.LBB254_7:                              ; =>This Inner Loop Header: Depth=1
	v_ashrrev_i32_e32 v25, 31, v24
	v_mov_b32_e32 v88, v23
	v_lshlrev_b64 v[21:22], 2, v[24:25]
	v_add_nc_u32_e32 v24, 8, v24
	v_add_co_u32 v21, vcc_lo, s10, v21
	v_add_co_ci_u32_e64 v22, null, s11, v22, vcc_lo
	global_load_dword v11, v[21:22], off
	v_add_nc_u32_e32 v22, -12, v20
	v_lshlrev_b64 v[21:22], 4, v[22:23]
	v_add_co_u32 v21, vcc_lo, s12, v21
	v_add_co_ci_u32_e64 v22, null, s13, v22, vcc_lo
	s_clause 0x1
	global_load_dwordx4 v[27:30], v[21:22], off offset:16
	global_load_dwordx4 v[31:34], v[21:22], off
	s_waitcnt vmcnt(2)
	v_subrev_nc_u32_e32 v11, s2, v11
	v_mul_lo_u32 v87, v11, 7
	v_lshlrev_b64 v[21:22], 4, v[87:88]
	v_add_co_u32 v21, vcc_lo, s14, v21
	v_add_co_ci_u32_e64 v22, null, s15, v22, vcc_lo
	global_load_dwordx4 v[35:38], v[21:22], off
	v_add_nc_u32_e32 v22, -10, v20
	v_lshlrev_b64 v[21:22], 4, v[22:23]
	v_add_co_u32 v43, vcc_lo, s12, v21
	v_add_co_ci_u32_e64 v44, null, s13, v22, vcc_lo
	v_add_nc_u32_e32 v22, 1, v87
	global_load_dwordx4 v[39:42], v[43:44], off offset:16
	v_lshlrev_b64 v[21:22], 4, v[22:23]
	v_add_co_u32 v21, vcc_lo, s14, v21
	v_add_co_ci_u32_e64 v22, null, s15, v22, vcc_lo
	global_load_dwordx4 v[43:46], v[43:44], off
	global_load_dwordx4 v[47:50], v[21:22], off
	v_add_nc_u32_e32 v22, -8, v20
	v_lshlrev_b64 v[51:52], 4, v[22:23]
	v_add_nc_u32_e32 v22, 2, v87
	v_lshlrev_b64 v[21:22], 4, v[22:23]
	v_add_co_u32 v55, vcc_lo, s12, v51
	v_add_co_ci_u32_e64 v56, null, s13, v52, vcc_lo
	v_add_co_u32 v21, vcc_lo, s14, v21
	v_add_co_ci_u32_e64 v22, null, s15, v22, vcc_lo
	s_clause 0x1
	global_load_dwordx4 v[51:54], v[55:56], off offset:16
	global_load_dwordx4 v[55:58], v[55:56], off
	global_load_dwordx4 v[59:62], v[21:22], off
	v_add_nc_u32_e32 v22, -6, v20
	v_lshlrev_b64 v[63:64], 4, v[22:23]
	v_add_nc_u32_e32 v22, 3, v87
	v_lshlrev_b64 v[21:22], 4, v[22:23]
	v_add_co_u32 v67, vcc_lo, s12, v63
	v_add_co_ci_u32_e64 v68, null, s13, v64, vcc_lo
	v_add_co_u32 v21, vcc_lo, s14, v21
	v_add_co_ci_u32_e64 v22, null, s15, v22, vcc_lo
	s_clause 0x1
	global_load_dwordx4 v[63:66], v[67:68], off offset:16
	global_load_dwordx4 v[67:70], v[67:68], off
	global_load_dwordx4 v[71:74], v[21:22], off
	v_add_nc_u32_e32 v22, -4, v20
	v_mov_b32_e32 v21, v23
	v_lshlrev_b64 v[75:76], 4, v[22:23]
	v_add_nc_u32_e32 v22, 4, v87
	v_lshlrev_b64 v[77:78], 4, v[22:23]
	v_add_co_u32 v79, vcc_lo, s12, v75
	v_add_co_ci_u32_e64 v80, null, s13, v76, vcc_lo
	v_lshlrev_b64 v[21:22], 4, v[20:21]
	v_add_co_u32 v83, vcc_lo, s14, v77
	v_add_co_ci_u32_e64 v84, null, s15, v78, vcc_lo
	s_clause 0x1
	global_load_dwordx4 v[75:78], v[79:80], off offset:16
	global_load_dwordx4 v[79:82], v[79:80], off
	global_load_dwordx4 v[83:86], v[83:84], off
	v_add_co_u32 v99, vcc_lo, s12, v21
	v_add_co_ci_u32_e64 v100, null, s13, v22, vcc_lo
	v_add_nc_u32_e32 v22, -2, v20
	v_add_nc_u32_e32 v20, 0x70, v20
	v_lshlrev_b64 v[88:89], 4, v[22:23]
	v_add_nc_u32_e32 v22, 5, v87
	v_lshlrev_b64 v[90:91], 4, v[22:23]
	v_add_co_u32 v92, vcc_lo, s12, v88
	v_add_co_ci_u32_e64 v93, null, s13, v89, vcc_lo
	v_add_nc_u32_e32 v22, 6, v87
	v_add_co_u32 v95, vcc_lo, s14, v90
	v_add_co_ci_u32_e64 v96, null, s15, v91, vcc_lo
	s_clause 0x1
	global_load_dwordx4 v[87:90], v[92:93], off offset:16
	global_load_dwordx4 v[91:94], v[92:93], off
	v_lshlrev_b64 v[21:22], 4, v[22:23]
	global_load_dwordx4 v[95:98], v[95:96], off
	v_add_co_u32 v21, vcc_lo, s14, v21
	v_add_co_ci_u32_e64 v22, null, s15, v22, vcc_lo
	v_cmp_ge_i32_e32 vcc_lo, v24, v26
	s_or_b32 s3, vcc_lo, s3
	s_waitcnt vmcnt(15)
	v_fma_f64 v[11:12], v[33:34], v[35:36], v[12:13]
	v_fma_f64 v[18:19], v[31:32], v[35:36], v[18:19]
	;; [unrolled: 1-line block ×5, first 2 shown]
	v_fma_f64 v[18:19], -v[33:34], v[37:38], v[18:19]
	global_load_dwordx4 v[31:34], v[99:100], off offset:16
	v_fma_f64 v[15:16], -v[29:30], v[37:38], v[11:12]
	v_fma_f64 v[35:36], v[27:28], v[37:38], v[13:14]
	global_load_dwordx4 v[11:14], v[99:100], off
	global_load_dwordx4 v[27:30], v[21:22], off
	s_waitcnt vmcnt(15)
	v_fma_f64 v[17:18], v[43:44], v[47:48], v[18:19]
	v_fma_f64 v[21:22], v[45:46], v[47:48], v[101:102]
	v_fma_f64 v[15:16], v[39:40], v[47:48], v[15:16]
	v_fma_f64 v[35:36], v[41:42], v[47:48], v[35:36]
	v_fma_f64 v[17:18], -v[45:46], v[49:50], v[17:18]
	v_fma_f64 v[21:22], v[43:44], v[49:50], v[21:22]
	v_fma_f64 v[15:16], -v[41:42], v[49:50], v[15:16]
	v_fma_f64 v[35:36], v[39:40], v[49:50], v[35:36]
	s_waitcnt vmcnt(12)
	v_fma_f64 v[17:18], v[55:56], v[59:60], v[17:18]
	v_fma_f64 v[21:22], v[57:58], v[59:60], v[21:22]
	v_fma_f64 v[15:16], v[51:52], v[59:60], v[15:16]
	v_fma_f64 v[35:36], v[53:54], v[59:60], v[35:36]
	v_fma_f64 v[17:18], -v[57:58], v[61:62], v[17:18]
	v_fma_f64 v[21:22], v[55:56], v[61:62], v[21:22]
	v_fma_f64 v[15:16], -v[53:54], v[61:62], v[15:16]
	v_fma_f64 v[35:36], v[51:52], v[61:62], v[35:36]
	;; [unrolled: 9-line block ×6, first 2 shown]
	s_andn2_b32 exec_lo, exec_lo, s3
	s_cbranch_execnz .LBB254_7
; %bb.8:
	s_or_b32 exec_lo, exec_lo, s3
.LBB254_9:
	s_or_b32 exec_lo, exec_lo, s1
	s_cbranch_execz .LBB254_11
	s_branch .LBB254_16
.LBB254_10:
                                        ; implicit-def: $vgpr12_vgpr13
                                        ; implicit-def: $vgpr18_vgpr19
                                        ; implicit-def: $vgpr14_vgpr15
                                        ; implicit-def: $vgpr16_vgpr17
.LBB254_11:
	v_mov_b32_e32 v12, 0
	v_mov_b32_e32 v18, 0
	;; [unrolled: 1-line block ×8, first 2 shown]
	s_and_saveexec_b32 s1, s0
	s_cbranch_execz .LBB254_15
; %bb.12:
	v_mad_u64_u32 v[20:21], null, v10, 14, 13
	v_mov_b32_e32 v12, 0
	v_mov_b32_e32 v18, 0
	;; [unrolled: 1-line block ×9, first 2 shown]
	s_mov_b32 s3, 0
.LBB254_13:                             ; =>This Inner Loop Header: Depth=1
	v_ashrrev_i32_e32 v11, 31, v10
	v_add_nc_u32_e32 v24, -6, v20
	v_mov_b32_e32 v25, v23
	v_mov_b32_e32 v80, v23
	v_lshlrev_b64 v[21:22], 2, v[10:11]
	v_add_nc_u32_e32 v10, 8, v10
	v_lshlrev_b64 v[24:25], 4, v[24:25]
	v_add_co_u32 v21, vcc_lo, s10, v21
	v_add_co_ci_u32_e64 v22, null, s11, v22, vcc_lo
	global_load_dword v11, v[21:22], off
	v_add_nc_u32_e32 v22, -13, v20
	v_mov_b32_e32 v21, v23
	v_lshlrev_b64 v[27:28], 4, v[22:23]
	v_lshlrev_b64 v[50:51], 4, v[20:21]
	v_add_co_u32 v21, vcc_lo, s12, v27
	v_add_co_ci_u32_e64 v22, null, s13, v28, vcc_lo
	v_add_co_u32 v24, vcc_lo, s12, v24
	v_add_co_ci_u32_e64 v25, null, s13, v25, vcc_lo
	s_clause 0x2
	global_load_dwordx4 v[27:30], v[21:22], off offset:16
	global_load_dwordx4 v[31:34], v[21:22], off
	global_load_dwordx4 v[35:38], v[24:25], off
	v_add_co_u32 v81, vcc_lo, s12, v50
	v_add_co_ci_u32_e64 v82, null, s13, v51, vcc_lo
	s_waitcnt vmcnt(3)
	v_subrev_nc_u32_e32 v11, s2, v11
	v_mul_lo_u32 v79, v11, 7
	v_lshlrev_b64 v[24:25], 4, v[79:80]
	v_add_nc_u32_e32 v22, 1, v79
	v_lshlrev_b64 v[43:44], 4, v[22:23]
	v_add_co_u32 v24, s0, s14, v24
	v_add_co_ci_u32_e64 v25, null, s15, v25, s0
	v_add_nc_u32_e32 v22, -5, v20
	global_load_dwordx4 v[39:42], v[24:25], off
	v_add_co_u32 v24, s0, s14, v43
	v_add_co_ci_u32_e64 v25, null, s15, v44, s0
	v_lshlrev_b64 v[21:22], 4, v[22:23]
	global_load_dwordx4 v[43:46], v[24:25], off
	v_add_co_u32 v21, s0, s12, v21
	v_add_co_ci_u32_e64 v22, null, s13, v22, s0
	global_load_dwordx4 v[47:50], v[21:22], off
	v_add_nc_u32_e32 v22, -11, v20
	v_lshlrev_b64 v[24:25], 4, v[22:23]
	v_add_nc_u32_e32 v22, 2, v79
	v_lshlrev_b64 v[51:52], 4, v[22:23]
	v_add_nc_u32_e32 v22, -4, v20
	v_add_co_u32 v24, vcc_lo, s12, v24
	v_add_co_ci_u32_e64 v25, null, s13, v25, vcc_lo
	v_lshlrev_b64 v[59:60], 4, v[22:23]
	v_add_co_u32 v55, vcc_lo, s14, v51
	v_add_co_ci_u32_e64 v56, null, s15, v52, vcc_lo
	global_load_dwordx4 v[51:54], v[24:25], off
	v_add_co_u32 v59, vcc_lo, s12, v59
	v_add_co_ci_u32_e64 v60, null, s13, v60, vcc_lo
	global_load_dwordx4 v[55:58], v[55:56], off
	v_add_nc_u32_e32 v22, -10, v20
	global_load_dwordx4 v[59:62], v[59:60], off
	v_lshlrev_b64 v[24:25], 4, v[22:23]
	v_add_nc_u32_e32 v22, 3, v79
	v_lshlrev_b64 v[63:64], 4, v[22:23]
	v_add_nc_u32_e32 v22, -3, v20
	v_add_co_u32 v24, vcc_lo, s12, v24
	v_add_co_ci_u32_e64 v25, null, s13, v25, vcc_lo
	v_lshlrev_b64 v[71:72], 4, v[22:23]
	v_add_co_u32 v67, vcc_lo, s14, v63
	v_add_co_ci_u32_e64 v68, null, s15, v64, vcc_lo
	global_load_dwordx4 v[63:66], v[24:25], off
	v_add_co_u32 v71, vcc_lo, s12, v71
	v_add_co_ci_u32_e64 v72, null, s13, v72, vcc_lo
	global_load_dwordx4 v[67:70], v[67:68], off
	v_add_nc_u32_e32 v22, -9, v20
	global_load_dwordx4 v[71:74], v[71:72], off
	v_lshlrev_b64 v[24:25], 4, v[22:23]
	v_add_nc_u32_e32 v22, 4, v79
	v_lshlrev_b64 v[75:76], 4, v[22:23]
	v_add_nc_u32_e32 v22, -2, v20
	v_add_co_u32 v24, vcc_lo, s12, v24
	v_add_co_ci_u32_e64 v25, null, s13, v25, vcc_lo
	v_lshlrev_b64 v[83:84], 4, v[22:23]
	v_add_nc_u32_e32 v22, -8, v20
	v_add_co_u32 v85, vcc_lo, s14, v75
	v_add_co_ci_u32_e64 v86, null, s15, v76, vcc_lo
	global_load_dwordx4 v[75:78], v[24:25], off
	s_waitcnt vmcnt(9)
	v_fma_f64 v[11:12], v[33:34], v[39:40], v[12:13]
	v_fma_f64 v[18:19], v[31:32], v[39:40], v[18:19]
	;; [unrolled: 1-line block ×5, first 2 shown]
	v_lshlrev_b64 v[11:12], 4, v[22:23]
	v_fma_f64 v[24:25], -v[33:34], v[41:42], v[18:19]
	v_add_co_u32 v18, vcc_lo, s12, v83
	v_add_co_ci_u32_e64 v19, null, s13, v84, vcc_lo
	v_fma_f64 v[39:40], -v[37:38], v[41:42], v[13:14]
	v_fma_f64 v[41:42], v[35:36], v[41:42], v[15:16]
	v_add_co_u32 v35, vcc_lo, s12, v11
	global_load_dwordx4 v[31:34], v[85:86], off
	v_add_co_ci_u32_e64 v36, null, s13, v12, vcc_lo
	global_load_dwordx4 v[11:14], v[18:19], off
	v_add_nc_u32_e32 v22, 5, v79
	v_lshlrev_b64 v[15:16], 4, v[22:23]
	v_add_nc_u32_e32 v22, -1, v20
	s_waitcnt vmcnt(10)
	v_fma_f64 v[24:25], v[27:28], v[43:44], v[24:25]
	v_lshlrev_b64 v[17:18], 4, v[22:23]
	v_add_co_u32 v21, vcc_lo, s14, v15
	v_add_co_ci_u32_e64 v22, null, s15, v16, vcc_lo
	v_add_co_u32 v37, vcc_lo, s12, v17
	v_add_co_ci_u32_e64 v38, null, s13, v18, vcc_lo
	global_load_dwordx4 v[15:18], v[35:36], off
	v_fma_f64 v[35:36], v[29:30], v[43:44], v[87:88]
	v_fma_f64 v[24:25], -v[29:30], v[45:46], v[24:25]
	v_fma_f64 v[83:84], v[27:28], v[45:46], v[35:36]
	global_load_dwordx4 v[27:30], v[21:22], off
	global_load_dwordx4 v[35:38], v[37:38], off
	s_waitcnt vmcnt(12)
	v_fma_f64 v[21:22], v[47:48], v[43:44], v[39:40]
	v_fma_f64 v[39:40], v[49:50], v[43:44], v[41:42]
	v_fma_f64 v[85:86], -v[49:50], v[45:46], v[21:22]
	v_add_nc_u32_e32 v22, -7, v20
	v_fma_f64 v[87:88], v[47:48], v[45:46], v[39:40]
	global_load_dwordx4 v[39:42], v[81:82], off
	v_add_nc_u32_e32 v20, 0x70, v20
	v_lshlrev_b64 v[43:44], 4, v[22:23]
	v_add_nc_u32_e32 v22, 6, v79
	v_lshlrev_b64 v[21:22], 4, v[22:23]
	v_add_co_u32 v43, vcc_lo, s12, v43
	v_add_co_ci_u32_e64 v44, null, s13, v44, vcc_lo
	v_add_co_u32 v21, vcc_lo, s14, v21
	v_add_co_ci_u32_e64 v22, null, s15, v22, vcc_lo
	global_load_dwordx4 v[43:46], v[43:44], off
	global_load_dwordx4 v[47:50], v[21:22], off
	s_waitcnt vmcnt(13)
	v_fma_f64 v[21:22], v[51:52], v[55:56], v[24:25]
	v_fma_f64 v[24:25], v[53:54], v[55:56], v[83:84]
	s_waitcnt vmcnt(12)
	v_fma_f64 v[79:80], v[59:60], v[55:56], v[85:86]
	v_fma_f64 v[55:56], v[61:62], v[55:56], v[87:88]
	v_cmp_ge_i32_e32 vcc_lo, v10, v26
	s_or_b32 s3, vcc_lo, s3
	v_fma_f64 v[21:22], -v[53:54], v[57:58], v[21:22]
	v_fma_f64 v[24:25], v[51:52], v[57:58], v[24:25]
	v_fma_f64 v[51:52], -v[61:62], v[57:58], v[79:80]
	v_fma_f64 v[53:54], v[59:60], v[57:58], v[55:56]
	s_waitcnt vmcnt(10)
	v_fma_f64 v[21:22], v[63:64], v[67:68], v[21:22]
	v_fma_f64 v[24:25], v[65:66], v[67:68], v[24:25]
	s_waitcnt vmcnt(9)
	v_fma_f64 v[51:52], v[71:72], v[67:68], v[51:52]
	v_fma_f64 v[53:54], v[73:74], v[67:68], v[53:54]
	v_fma_f64 v[21:22], -v[65:66], v[69:70], v[21:22]
	v_fma_f64 v[24:25], v[63:64], v[69:70], v[24:25]
	v_fma_f64 v[51:52], -v[73:74], v[69:70], v[51:52]
	v_fma_f64 v[53:54], v[71:72], v[69:70], v[53:54]
	s_waitcnt vmcnt(7)
	v_fma_f64 v[21:22], v[75:76], v[31:32], v[21:22]
	v_fma_f64 v[24:25], v[77:78], v[31:32], v[24:25]
	s_waitcnt vmcnt(6)
	v_fma_f64 v[51:52], v[11:12], v[31:32], v[51:52]
	v_fma_f64 v[31:32], v[13:14], v[31:32], v[53:54]
	;; [unrolled: 10-line block ×3, first 2 shown]
	v_fma_f64 v[17:18], -v[17:18], v[29:30], v[21:22]
	v_fma_f64 v[15:16], v[15:16], v[29:30], v[24:25]
	v_fma_f64 v[13:14], -v[37:38], v[29:30], v[13:14]
	v_fma_f64 v[11:12], v[35:36], v[29:30], v[11:12]
	s_waitcnt vmcnt(0)
	v_fma_f64 v[17:18], v[43:44], v[47:48], v[17:18]
	v_fma_f64 v[15:16], v[45:46], v[47:48], v[15:16]
	;; [unrolled: 1-line block ×4, first 2 shown]
	v_fma_f64 v[18:19], -v[45:46], v[49:50], v[17:18]
	v_fma_f64 v[12:13], v[43:44], v[49:50], v[15:16]
	v_fma_f64 v[14:15], -v[41:42], v[49:50], v[21:22]
	v_fma_f64 v[16:17], v[39:40], v[49:50], v[24:25]
	s_andn2_b32 exec_lo, exec_lo, s3
	s_cbranch_execnz .LBB254_13
; %bb.14:
	s_or_b32 exec_lo, exec_lo, s3
.LBB254_15:
	s_or_b32 exec_lo, exec_lo, s1
.LBB254_16:
	v_mbcnt_lo_u32_b32 v26, -1, 0
	v_xor_b32_e32 v10, 4, v26
	v_cmp_gt_i32_e32 vcc_lo, 32, v10
	v_cndmask_b32_e32 v10, v26, v10, vcc_lo
	v_lshlrev_b32_e32 v25, 2, v10
	ds_bpermute_b32 v10, v25, v18
	ds_bpermute_b32 v11, v25, v19
	;; [unrolled: 1-line block ×8, first 2 shown]
	s_waitcnt lgkmcnt(6)
	v_add_f64 v[10:11], v[18:19], v[10:11]
	s_waitcnt lgkmcnt(4)
	v_add_f64 v[12:13], v[12:13], v[20:21]
	;; [unrolled: 2-line block ×4, first 2 shown]
	v_xor_b32_e32 v16, 2, v26
	v_cmp_gt_i32_e32 vcc_lo, 32, v16
	v_cndmask_b32_e32 v16, v26, v16, vcc_lo
	v_lshlrev_b32_e32 v25, 2, v16
	ds_bpermute_b32 v16, v25, v10
	ds_bpermute_b32 v17, v25, v11
	;; [unrolled: 1-line block ×8, first 2 shown]
	s_waitcnt lgkmcnt(6)
	v_add_f64 v[10:11], v[10:11], v[16:17]
	s_waitcnt lgkmcnt(4)
	v_add_f64 v[16:17], v[12:13], v[20:21]
	s_waitcnt lgkmcnt(2)
	v_add_f64 v[12:13], v[14:15], v[22:23]
	s_waitcnt lgkmcnt(0)
	v_add_f64 v[14:15], v[18:19], v[24:25]
	v_xor_b32_e32 v18, 1, v26
	v_cmp_gt_i32_e32 vcc_lo, 32, v18
	v_cndmask_b32_e32 v18, v26, v18, vcc_lo
	v_cmp_eq_u32_e32 vcc_lo, 7, v0
	v_lshlrev_b32_e32 v21, 2, v18
	ds_bpermute_b32 v24, v21, v10
	ds_bpermute_b32 v25, v21, v11
	;; [unrolled: 1-line block ×8, first 2 shown]
	s_and_b32 exec_lo, exec_lo, vcc_lo
	s_cbranch_execz .LBB254_21
; %bb.17:
	v_cmp_eq_f64_e32 vcc_lo, 0, v[5:6]
	v_cmp_eq_f64_e64 s0, 0, v[7:8]
	s_waitcnt lgkmcnt(6)
	v_add_f64 v[10:11], v[10:11], v[24:25]
	s_waitcnt lgkmcnt(4)
	v_add_f64 v[16:17], v[16:17], v[22:23]
	;; [unrolled: 2-line block ×4, first 2 shown]
	s_load_dwordx2 s[2:3], s[4:5], 0x48
	s_and_b32 s0, vcc_lo, s0
	s_and_saveexec_b32 s1, s0
	s_xor_b32 s0, exec_lo, s1
	s_cbranch_execz .LBB254_19
; %bb.18:
	v_mul_f64 v[5:6], v[16:17], -v[3:4]
	v_mul_f64 v[7:8], v[1:2], v[16:17]
	v_mul_f64 v[16:17], v[14:15], -v[3:4]
	v_mul_f64 v[14:15], v[1:2], v[14:15]
	v_lshlrev_b32_e32 v9, 1, v9
	v_fma_f64 v[5:6], v[1:2], v[10:11], v[5:6]
	v_fma_f64 v[7:8], v[3:4], v[10:11], v[7:8]
	;; [unrolled: 1-line block ×4, first 2 shown]
	v_ashrrev_i32_e32 v10, 31, v9
                                        ; implicit-def: $vgpr16_vgpr17
                                        ; implicit-def: $vgpr12_vgpr13
                                        ; implicit-def: $vgpr14_vgpr15
	v_lshlrev_b64 v[9:10], 4, v[9:10]
	s_waitcnt lgkmcnt(0)
	v_add_co_u32 v9, vcc_lo, s2, v9
	v_add_co_ci_u32_e64 v10, null, s3, v10, vcc_lo
	global_store_dwordx4 v[9:10], v[5:8], off
	global_store_dwordx4 v[9:10], v[0:3], off offset:16
                                        ; implicit-def: $vgpr9
                                        ; implicit-def: $vgpr10_vgpr11
                                        ; implicit-def: $vgpr7_vgpr8
                                        ; implicit-def: $vgpr3_vgpr4
.LBB254_19:
	s_andn2_saveexec_b32 s0, s0
	s_cbranch_execz .LBB254_21
; %bb.20:
	v_lshlrev_b32_e32 v18, 1, v9
	v_mul_f64 v[28:29], v[16:17], -v[3:4]
	v_mul_f64 v[16:17], v[1:2], v[16:17]
	v_mul_f64 v[30:31], v[14:15], -v[3:4]
	v_mul_f64 v[14:15], v[1:2], v[14:15]
	v_ashrrev_i32_e32 v19, 31, v18
	v_lshlrev_b64 v[18:19], 4, v[18:19]
	s_waitcnt lgkmcnt(0)
	v_add_co_u32 v26, vcc_lo, s2, v18
	v_add_co_ci_u32_e64 v27, null, s3, v19, vcc_lo
	s_clause 0x1
	global_load_dwordx4 v[18:21], v[26:27], off
	global_load_dwordx4 v[22:25], v[26:27], off offset:16
	v_fma_f64 v[28:29], v[1:2], v[10:11], v[28:29]
	v_fma_f64 v[9:10], v[3:4], v[10:11], v[16:17]
	;; [unrolled: 1-line block ×4, first 2 shown]
	s_waitcnt vmcnt(1)
	v_fma_f64 v[11:12], v[5:6], v[18:19], v[28:29]
	v_fma_f64 v[9:10], v[7:8], v[18:19], v[9:10]
	s_waitcnt vmcnt(0)
	v_fma_f64 v[13:14], v[5:6], v[22:23], v[0:1]
	v_fma_f64 v[15:16], v[7:8], v[22:23], v[2:3]
	v_fma_f64 v[0:1], -v[7:8], v[20:21], v[11:12]
	v_fma_f64 v[2:3], v[5:6], v[20:21], v[9:10]
	v_fma_f64 v[7:8], -v[7:8], v[24:25], v[13:14]
	v_fma_f64 v[9:10], v[5:6], v[24:25], v[15:16]
	global_store_dwordx4 v[26:27], v[0:3], off
	global_store_dwordx4 v[26:27], v[7:10], off offset:16
.LBB254_21:
	s_endpgm
	.section	.rodata,"a",@progbits
	.p2align	6, 0x0
	.amdhsa_kernel _ZN9rocsparseL19gebsrmvn_2xn_kernelILj128ELj7ELj8E21rocsparse_complex_numIdEEEvi20rocsparse_direction_NS_24const_host_device_scalarIT2_EEPKiS8_PKS5_SA_S6_PS5_21rocsparse_index_base_b
		.amdhsa_group_segment_fixed_size 0
		.amdhsa_private_segment_fixed_size 0
		.amdhsa_kernarg_size 88
		.amdhsa_user_sgpr_count 6
		.amdhsa_user_sgpr_private_segment_buffer 1
		.amdhsa_user_sgpr_dispatch_ptr 0
		.amdhsa_user_sgpr_queue_ptr 0
		.amdhsa_user_sgpr_kernarg_segment_ptr 1
		.amdhsa_user_sgpr_dispatch_id 0
		.amdhsa_user_sgpr_flat_scratch_init 0
		.amdhsa_user_sgpr_private_segment_size 0
		.amdhsa_wavefront_size32 1
		.amdhsa_uses_dynamic_stack 0
		.amdhsa_system_sgpr_private_segment_wavefront_offset 0
		.amdhsa_system_sgpr_workgroup_id_x 1
		.amdhsa_system_sgpr_workgroup_id_y 0
		.amdhsa_system_sgpr_workgroup_id_z 0
		.amdhsa_system_sgpr_workgroup_info 0
		.amdhsa_system_vgpr_workitem_id 0
		.amdhsa_next_free_vgpr 103
		.amdhsa_next_free_sgpr 16
		.amdhsa_reserve_vcc 1
		.amdhsa_reserve_flat_scratch 0
		.amdhsa_float_round_mode_32 0
		.amdhsa_float_round_mode_16_64 0
		.amdhsa_float_denorm_mode_32 3
		.amdhsa_float_denorm_mode_16_64 3
		.amdhsa_dx10_clamp 1
		.amdhsa_ieee_mode 1
		.amdhsa_fp16_overflow 0
		.amdhsa_workgroup_processor_mode 1
		.amdhsa_memory_ordered 1
		.amdhsa_forward_progress 1
		.amdhsa_shared_vgpr_count 0
		.amdhsa_exception_fp_ieee_invalid_op 0
		.amdhsa_exception_fp_denorm_src 0
		.amdhsa_exception_fp_ieee_div_zero 0
		.amdhsa_exception_fp_ieee_overflow 0
		.amdhsa_exception_fp_ieee_underflow 0
		.amdhsa_exception_fp_ieee_inexact 0
		.amdhsa_exception_int_div_zero 0
	.end_amdhsa_kernel
	.section	.text._ZN9rocsparseL19gebsrmvn_2xn_kernelILj128ELj7ELj8E21rocsparse_complex_numIdEEEvi20rocsparse_direction_NS_24const_host_device_scalarIT2_EEPKiS8_PKS5_SA_S6_PS5_21rocsparse_index_base_b,"axG",@progbits,_ZN9rocsparseL19gebsrmvn_2xn_kernelILj128ELj7ELj8E21rocsparse_complex_numIdEEEvi20rocsparse_direction_NS_24const_host_device_scalarIT2_EEPKiS8_PKS5_SA_S6_PS5_21rocsparse_index_base_b,comdat
.Lfunc_end254:
	.size	_ZN9rocsparseL19gebsrmvn_2xn_kernelILj128ELj7ELj8E21rocsparse_complex_numIdEEEvi20rocsparse_direction_NS_24const_host_device_scalarIT2_EEPKiS8_PKS5_SA_S6_PS5_21rocsparse_index_base_b, .Lfunc_end254-_ZN9rocsparseL19gebsrmvn_2xn_kernelILj128ELj7ELj8E21rocsparse_complex_numIdEEEvi20rocsparse_direction_NS_24const_host_device_scalarIT2_EEPKiS8_PKS5_SA_S6_PS5_21rocsparse_index_base_b
                                        ; -- End function
	.set _ZN9rocsparseL19gebsrmvn_2xn_kernelILj128ELj7ELj8E21rocsparse_complex_numIdEEEvi20rocsparse_direction_NS_24const_host_device_scalarIT2_EEPKiS8_PKS5_SA_S6_PS5_21rocsparse_index_base_b.num_vgpr, 103
	.set _ZN9rocsparseL19gebsrmvn_2xn_kernelILj128ELj7ELj8E21rocsparse_complex_numIdEEEvi20rocsparse_direction_NS_24const_host_device_scalarIT2_EEPKiS8_PKS5_SA_S6_PS5_21rocsparse_index_base_b.num_agpr, 0
	.set _ZN9rocsparseL19gebsrmvn_2xn_kernelILj128ELj7ELj8E21rocsparse_complex_numIdEEEvi20rocsparse_direction_NS_24const_host_device_scalarIT2_EEPKiS8_PKS5_SA_S6_PS5_21rocsparse_index_base_b.numbered_sgpr, 16
	.set _ZN9rocsparseL19gebsrmvn_2xn_kernelILj128ELj7ELj8E21rocsparse_complex_numIdEEEvi20rocsparse_direction_NS_24const_host_device_scalarIT2_EEPKiS8_PKS5_SA_S6_PS5_21rocsparse_index_base_b.num_named_barrier, 0
	.set _ZN9rocsparseL19gebsrmvn_2xn_kernelILj128ELj7ELj8E21rocsparse_complex_numIdEEEvi20rocsparse_direction_NS_24const_host_device_scalarIT2_EEPKiS8_PKS5_SA_S6_PS5_21rocsparse_index_base_b.private_seg_size, 0
	.set _ZN9rocsparseL19gebsrmvn_2xn_kernelILj128ELj7ELj8E21rocsparse_complex_numIdEEEvi20rocsparse_direction_NS_24const_host_device_scalarIT2_EEPKiS8_PKS5_SA_S6_PS5_21rocsparse_index_base_b.uses_vcc, 1
	.set _ZN9rocsparseL19gebsrmvn_2xn_kernelILj128ELj7ELj8E21rocsparse_complex_numIdEEEvi20rocsparse_direction_NS_24const_host_device_scalarIT2_EEPKiS8_PKS5_SA_S6_PS5_21rocsparse_index_base_b.uses_flat_scratch, 0
	.set _ZN9rocsparseL19gebsrmvn_2xn_kernelILj128ELj7ELj8E21rocsparse_complex_numIdEEEvi20rocsparse_direction_NS_24const_host_device_scalarIT2_EEPKiS8_PKS5_SA_S6_PS5_21rocsparse_index_base_b.has_dyn_sized_stack, 0
	.set _ZN9rocsparseL19gebsrmvn_2xn_kernelILj128ELj7ELj8E21rocsparse_complex_numIdEEEvi20rocsparse_direction_NS_24const_host_device_scalarIT2_EEPKiS8_PKS5_SA_S6_PS5_21rocsparse_index_base_b.has_recursion, 0
	.set _ZN9rocsparseL19gebsrmvn_2xn_kernelILj128ELj7ELj8E21rocsparse_complex_numIdEEEvi20rocsparse_direction_NS_24const_host_device_scalarIT2_EEPKiS8_PKS5_SA_S6_PS5_21rocsparse_index_base_b.has_indirect_call, 0
	.section	.AMDGPU.csdata,"",@progbits
; Kernel info:
; codeLenInByte = 3716
; TotalNumSgprs: 18
; NumVgprs: 103
; ScratchSize: 0
; MemoryBound: 0
; FloatMode: 240
; IeeeMode: 1
; LDSByteSize: 0 bytes/workgroup (compile time only)
; SGPRBlocks: 0
; VGPRBlocks: 12
; NumSGPRsForWavesPerEU: 18
; NumVGPRsForWavesPerEU: 103
; Occupancy: 9
; WaveLimiterHint : 1
; COMPUTE_PGM_RSRC2:SCRATCH_EN: 0
; COMPUTE_PGM_RSRC2:USER_SGPR: 6
; COMPUTE_PGM_RSRC2:TRAP_HANDLER: 0
; COMPUTE_PGM_RSRC2:TGID_X_EN: 1
; COMPUTE_PGM_RSRC2:TGID_Y_EN: 0
; COMPUTE_PGM_RSRC2:TGID_Z_EN: 0
; COMPUTE_PGM_RSRC2:TIDIG_COMP_CNT: 0
	.section	.text._ZN9rocsparseL19gebsrmvn_2xn_kernelILj128ELj7ELj16E21rocsparse_complex_numIdEEEvi20rocsparse_direction_NS_24const_host_device_scalarIT2_EEPKiS8_PKS5_SA_S6_PS5_21rocsparse_index_base_b,"axG",@progbits,_ZN9rocsparseL19gebsrmvn_2xn_kernelILj128ELj7ELj16E21rocsparse_complex_numIdEEEvi20rocsparse_direction_NS_24const_host_device_scalarIT2_EEPKiS8_PKS5_SA_S6_PS5_21rocsparse_index_base_b,comdat
	.globl	_ZN9rocsparseL19gebsrmvn_2xn_kernelILj128ELj7ELj16E21rocsparse_complex_numIdEEEvi20rocsparse_direction_NS_24const_host_device_scalarIT2_EEPKiS8_PKS5_SA_S6_PS5_21rocsparse_index_base_b ; -- Begin function _ZN9rocsparseL19gebsrmvn_2xn_kernelILj128ELj7ELj16E21rocsparse_complex_numIdEEEvi20rocsparse_direction_NS_24const_host_device_scalarIT2_EEPKiS8_PKS5_SA_S6_PS5_21rocsparse_index_base_b
	.p2align	8
	.type	_ZN9rocsparseL19gebsrmvn_2xn_kernelILj128ELj7ELj16E21rocsparse_complex_numIdEEEvi20rocsparse_direction_NS_24const_host_device_scalarIT2_EEPKiS8_PKS5_SA_S6_PS5_21rocsparse_index_base_b,@function
_ZN9rocsparseL19gebsrmvn_2xn_kernelILj128ELj7ELj16E21rocsparse_complex_numIdEEEvi20rocsparse_direction_NS_24const_host_device_scalarIT2_EEPKiS8_PKS5_SA_S6_PS5_21rocsparse_index_base_b: ; @_ZN9rocsparseL19gebsrmvn_2xn_kernelILj128ELj7ELj16E21rocsparse_complex_numIdEEEvi20rocsparse_direction_NS_24const_host_device_scalarIT2_EEPKiS8_PKS5_SA_S6_PS5_21rocsparse_index_base_b
; %bb.0:
	s_clause 0x1
	s_load_dwordx2 s[2:3], s[4:5], 0x50
	s_load_dwordx2 s[0:1], s[4:5], 0x8
	s_add_u32 s7, s4, 8
	s_addc_u32 s10, s5, 0
	s_add_u32 s11, s4, 56
	s_addc_u32 s12, s5, 0
	s_load_dwordx2 s[8:9], s[4:5], 0x38
	s_waitcnt lgkmcnt(0)
	s_bitcmp1_b32 s3, 0
	s_cselect_b32 s0, s7, s0
	s_cselect_b32 s1, s10, s1
	v_mov_b32_e32 v1, s0
	v_mov_b32_e32 v2, s1
	s_cselect_b32 s0, s11, s8
	s_cselect_b32 s1, s12, s9
	v_mov_b32_e32 v5, s0
	v_mov_b32_e32 v6, s1
	flat_load_dwordx4 v[1:4], v[1:2]
	flat_load_dwordx4 v[5:8], v[5:6]
	s_waitcnt vmcnt(1) lgkmcnt(1)
	v_cmp_eq_f64_e32 vcc_lo, 0, v[1:2]
	v_cmp_eq_f64_e64 s0, 0, v[3:4]
	s_and_b32 s3, vcc_lo, s0
	s_mov_b32 s0, -1
	s_and_saveexec_b32 s1, s3
	s_cbranch_execz .LBB255_2
; %bb.1:
	s_waitcnt vmcnt(0) lgkmcnt(0)
	v_cmp_neq_f64_e32 vcc_lo, 1.0, v[5:6]
	v_cmp_neq_f64_e64 s0, 0, v[7:8]
	s_or_b32 s0, vcc_lo, s0
	s_orn2_b32 s0, s0, exec_lo
.LBB255_2:
	s_or_b32 exec_lo, exec_lo, s1
	s_and_saveexec_b32 s1, s0
	s_cbranch_execz .LBB255_21
; %bb.3:
	s_load_dwordx2 s[0:1], s[4:5], 0x0
	v_lshrrev_b32_e32 v9, 4, v0
	v_lshl_or_b32 v9, s6, 3, v9
	s_waitcnt lgkmcnt(0)
	v_cmp_gt_i32_e32 vcc_lo, s0, v9
	s_and_b32 exec_lo, exec_lo, vcc_lo
	s_cbranch_execz .LBB255_21
; %bb.4:
	s_load_dwordx8 s[8:15], s[4:5], 0x18
	v_ashrrev_i32_e32 v10, 31, v9
	v_and_b32_e32 v0, 15, v0
	s_cmp_lg_u32 s1, 0
	v_lshlrev_b64 v[10:11], 2, v[9:10]
	s_waitcnt lgkmcnt(0)
	v_add_co_u32 v10, vcc_lo, s8, v10
	v_add_co_ci_u32_e64 v11, null, s9, v11, vcc_lo
	global_load_dwordx2 v[10:11], v[10:11], off
	s_waitcnt vmcnt(0)
	v_subrev_nc_u32_e32 v10, s2, v10
	v_subrev_nc_u32_e32 v26, s2, v11
	v_add_nc_u32_e32 v10, v10, v0
	v_cmp_lt_i32_e64 s0, v10, v26
	s_cbranch_scc0 .LBB255_10
; %bb.5:
	v_mov_b32_e32 v12, 0
	v_mov_b32_e32 v18, 0
	;; [unrolled: 1-line block ×8, first 2 shown]
	s_and_saveexec_b32 s1, s0
	s_cbranch_execz .LBB255_9
; %bb.6:
	v_mad_u64_u32 v[20:21], null, v10, 14, 12
	v_mov_b32_e32 v12, 0
	v_mov_b32_e32 v18, 0
	;; [unrolled: 1-line block ×10, first 2 shown]
	s_mov_b32 s3, 0
.LBB255_7:                              ; =>This Inner Loop Header: Depth=1
	v_ashrrev_i32_e32 v25, 31, v24
	v_mov_b32_e32 v88, v23
	v_lshlrev_b64 v[21:22], 2, v[24:25]
	v_add_nc_u32_e32 v24, 16, v24
	v_add_co_u32 v21, vcc_lo, s10, v21
	v_add_co_ci_u32_e64 v22, null, s11, v22, vcc_lo
	global_load_dword v11, v[21:22], off
	v_add_nc_u32_e32 v22, -12, v20
	v_lshlrev_b64 v[21:22], 4, v[22:23]
	v_add_co_u32 v21, vcc_lo, s12, v21
	v_add_co_ci_u32_e64 v22, null, s13, v22, vcc_lo
	s_clause 0x1
	global_load_dwordx4 v[27:30], v[21:22], off offset:16
	global_load_dwordx4 v[31:34], v[21:22], off
	s_waitcnt vmcnt(2)
	v_subrev_nc_u32_e32 v11, s2, v11
	v_mul_lo_u32 v87, v11, 7
	v_lshlrev_b64 v[21:22], 4, v[87:88]
	v_add_co_u32 v21, vcc_lo, s14, v21
	v_add_co_ci_u32_e64 v22, null, s15, v22, vcc_lo
	global_load_dwordx4 v[35:38], v[21:22], off
	v_add_nc_u32_e32 v22, -10, v20
	v_lshlrev_b64 v[21:22], 4, v[22:23]
	v_add_co_u32 v43, vcc_lo, s12, v21
	v_add_co_ci_u32_e64 v44, null, s13, v22, vcc_lo
	v_add_nc_u32_e32 v22, 1, v87
	global_load_dwordx4 v[39:42], v[43:44], off offset:16
	v_lshlrev_b64 v[21:22], 4, v[22:23]
	v_add_co_u32 v21, vcc_lo, s14, v21
	v_add_co_ci_u32_e64 v22, null, s15, v22, vcc_lo
	global_load_dwordx4 v[43:46], v[43:44], off
	global_load_dwordx4 v[47:50], v[21:22], off
	v_add_nc_u32_e32 v22, -8, v20
	v_lshlrev_b64 v[51:52], 4, v[22:23]
	v_add_nc_u32_e32 v22, 2, v87
	v_lshlrev_b64 v[21:22], 4, v[22:23]
	v_add_co_u32 v55, vcc_lo, s12, v51
	v_add_co_ci_u32_e64 v56, null, s13, v52, vcc_lo
	v_add_co_u32 v21, vcc_lo, s14, v21
	v_add_co_ci_u32_e64 v22, null, s15, v22, vcc_lo
	s_clause 0x1
	global_load_dwordx4 v[51:54], v[55:56], off offset:16
	global_load_dwordx4 v[55:58], v[55:56], off
	global_load_dwordx4 v[59:62], v[21:22], off
	v_add_nc_u32_e32 v22, -6, v20
	v_lshlrev_b64 v[63:64], 4, v[22:23]
	v_add_nc_u32_e32 v22, 3, v87
	v_lshlrev_b64 v[21:22], 4, v[22:23]
	v_add_co_u32 v67, vcc_lo, s12, v63
	v_add_co_ci_u32_e64 v68, null, s13, v64, vcc_lo
	v_add_co_u32 v21, vcc_lo, s14, v21
	v_add_co_ci_u32_e64 v22, null, s15, v22, vcc_lo
	s_clause 0x1
	global_load_dwordx4 v[63:66], v[67:68], off offset:16
	global_load_dwordx4 v[67:70], v[67:68], off
	global_load_dwordx4 v[71:74], v[21:22], off
	v_add_nc_u32_e32 v22, -4, v20
	v_mov_b32_e32 v21, v23
	v_lshlrev_b64 v[75:76], 4, v[22:23]
	v_add_nc_u32_e32 v22, 4, v87
	v_lshlrev_b64 v[77:78], 4, v[22:23]
	v_add_co_u32 v79, vcc_lo, s12, v75
	v_add_co_ci_u32_e64 v80, null, s13, v76, vcc_lo
	v_lshlrev_b64 v[21:22], 4, v[20:21]
	v_add_co_u32 v83, vcc_lo, s14, v77
	v_add_co_ci_u32_e64 v84, null, s15, v78, vcc_lo
	s_clause 0x1
	global_load_dwordx4 v[75:78], v[79:80], off offset:16
	global_load_dwordx4 v[79:82], v[79:80], off
	global_load_dwordx4 v[83:86], v[83:84], off
	v_add_co_u32 v99, vcc_lo, s12, v21
	v_add_co_ci_u32_e64 v100, null, s13, v22, vcc_lo
	v_add_nc_u32_e32 v22, -2, v20
	v_add_nc_u32_e32 v20, 0xe0, v20
	v_lshlrev_b64 v[88:89], 4, v[22:23]
	v_add_nc_u32_e32 v22, 5, v87
	v_lshlrev_b64 v[90:91], 4, v[22:23]
	v_add_co_u32 v92, vcc_lo, s12, v88
	v_add_co_ci_u32_e64 v93, null, s13, v89, vcc_lo
	v_add_nc_u32_e32 v22, 6, v87
	v_add_co_u32 v95, vcc_lo, s14, v90
	v_add_co_ci_u32_e64 v96, null, s15, v91, vcc_lo
	s_clause 0x1
	global_load_dwordx4 v[87:90], v[92:93], off offset:16
	global_load_dwordx4 v[91:94], v[92:93], off
	v_lshlrev_b64 v[21:22], 4, v[22:23]
	global_load_dwordx4 v[95:98], v[95:96], off
	v_add_co_u32 v21, vcc_lo, s14, v21
	v_add_co_ci_u32_e64 v22, null, s15, v22, vcc_lo
	v_cmp_ge_i32_e32 vcc_lo, v24, v26
	s_or_b32 s3, vcc_lo, s3
	s_waitcnt vmcnt(15)
	v_fma_f64 v[11:12], v[33:34], v[35:36], v[12:13]
	v_fma_f64 v[18:19], v[31:32], v[35:36], v[18:19]
	;; [unrolled: 1-line block ×5, first 2 shown]
	v_fma_f64 v[18:19], -v[33:34], v[37:38], v[18:19]
	global_load_dwordx4 v[31:34], v[99:100], off offset:16
	v_fma_f64 v[15:16], -v[29:30], v[37:38], v[11:12]
	v_fma_f64 v[35:36], v[27:28], v[37:38], v[13:14]
	global_load_dwordx4 v[11:14], v[99:100], off
	global_load_dwordx4 v[27:30], v[21:22], off
	s_waitcnt vmcnt(15)
	v_fma_f64 v[17:18], v[43:44], v[47:48], v[18:19]
	v_fma_f64 v[21:22], v[45:46], v[47:48], v[101:102]
	v_fma_f64 v[15:16], v[39:40], v[47:48], v[15:16]
	v_fma_f64 v[35:36], v[41:42], v[47:48], v[35:36]
	v_fma_f64 v[17:18], -v[45:46], v[49:50], v[17:18]
	v_fma_f64 v[21:22], v[43:44], v[49:50], v[21:22]
	v_fma_f64 v[15:16], -v[41:42], v[49:50], v[15:16]
	v_fma_f64 v[35:36], v[39:40], v[49:50], v[35:36]
	s_waitcnt vmcnt(12)
	v_fma_f64 v[17:18], v[55:56], v[59:60], v[17:18]
	v_fma_f64 v[21:22], v[57:58], v[59:60], v[21:22]
	v_fma_f64 v[15:16], v[51:52], v[59:60], v[15:16]
	v_fma_f64 v[35:36], v[53:54], v[59:60], v[35:36]
	v_fma_f64 v[17:18], -v[57:58], v[61:62], v[17:18]
	v_fma_f64 v[21:22], v[55:56], v[61:62], v[21:22]
	v_fma_f64 v[15:16], -v[53:54], v[61:62], v[15:16]
	v_fma_f64 v[35:36], v[51:52], v[61:62], v[35:36]
	;; [unrolled: 9-line block ×6, first 2 shown]
	s_andn2_b32 exec_lo, exec_lo, s3
	s_cbranch_execnz .LBB255_7
; %bb.8:
	s_or_b32 exec_lo, exec_lo, s3
.LBB255_9:
	s_or_b32 exec_lo, exec_lo, s1
	s_cbranch_execz .LBB255_11
	s_branch .LBB255_16
.LBB255_10:
                                        ; implicit-def: $vgpr12_vgpr13
                                        ; implicit-def: $vgpr18_vgpr19
                                        ; implicit-def: $vgpr14_vgpr15
                                        ; implicit-def: $vgpr16_vgpr17
.LBB255_11:
	v_mov_b32_e32 v12, 0
	v_mov_b32_e32 v18, 0
	;; [unrolled: 1-line block ×8, first 2 shown]
	s_and_saveexec_b32 s1, s0
	s_cbranch_execz .LBB255_15
; %bb.12:
	v_mad_u64_u32 v[20:21], null, v10, 14, 13
	v_mov_b32_e32 v12, 0
	v_mov_b32_e32 v18, 0
	;; [unrolled: 1-line block ×9, first 2 shown]
	s_mov_b32 s3, 0
.LBB255_13:                             ; =>This Inner Loop Header: Depth=1
	v_ashrrev_i32_e32 v11, 31, v10
	v_add_nc_u32_e32 v24, -6, v20
	v_mov_b32_e32 v25, v23
	v_mov_b32_e32 v80, v23
	v_lshlrev_b64 v[21:22], 2, v[10:11]
	v_add_nc_u32_e32 v10, 16, v10
	v_lshlrev_b64 v[24:25], 4, v[24:25]
	v_add_co_u32 v21, vcc_lo, s10, v21
	v_add_co_ci_u32_e64 v22, null, s11, v22, vcc_lo
	global_load_dword v11, v[21:22], off
	v_add_nc_u32_e32 v22, -13, v20
	v_mov_b32_e32 v21, v23
	v_lshlrev_b64 v[27:28], 4, v[22:23]
	v_lshlrev_b64 v[50:51], 4, v[20:21]
	v_add_co_u32 v21, vcc_lo, s12, v27
	v_add_co_ci_u32_e64 v22, null, s13, v28, vcc_lo
	v_add_co_u32 v24, vcc_lo, s12, v24
	v_add_co_ci_u32_e64 v25, null, s13, v25, vcc_lo
	s_clause 0x2
	global_load_dwordx4 v[27:30], v[21:22], off offset:16
	global_load_dwordx4 v[31:34], v[21:22], off
	global_load_dwordx4 v[35:38], v[24:25], off
	v_add_co_u32 v81, vcc_lo, s12, v50
	v_add_co_ci_u32_e64 v82, null, s13, v51, vcc_lo
	s_waitcnt vmcnt(3)
	v_subrev_nc_u32_e32 v11, s2, v11
	v_mul_lo_u32 v79, v11, 7
	v_lshlrev_b64 v[24:25], 4, v[79:80]
	v_add_nc_u32_e32 v22, 1, v79
	v_lshlrev_b64 v[43:44], 4, v[22:23]
	v_add_co_u32 v24, s0, s14, v24
	v_add_co_ci_u32_e64 v25, null, s15, v25, s0
	v_add_nc_u32_e32 v22, -5, v20
	global_load_dwordx4 v[39:42], v[24:25], off
	v_add_co_u32 v24, s0, s14, v43
	v_add_co_ci_u32_e64 v25, null, s15, v44, s0
	v_lshlrev_b64 v[21:22], 4, v[22:23]
	global_load_dwordx4 v[43:46], v[24:25], off
	v_add_co_u32 v21, s0, s12, v21
	v_add_co_ci_u32_e64 v22, null, s13, v22, s0
	global_load_dwordx4 v[47:50], v[21:22], off
	v_add_nc_u32_e32 v22, -11, v20
	v_lshlrev_b64 v[24:25], 4, v[22:23]
	v_add_nc_u32_e32 v22, 2, v79
	v_lshlrev_b64 v[51:52], 4, v[22:23]
	v_add_nc_u32_e32 v22, -4, v20
	v_add_co_u32 v24, vcc_lo, s12, v24
	v_add_co_ci_u32_e64 v25, null, s13, v25, vcc_lo
	v_lshlrev_b64 v[59:60], 4, v[22:23]
	v_add_co_u32 v55, vcc_lo, s14, v51
	v_add_co_ci_u32_e64 v56, null, s15, v52, vcc_lo
	global_load_dwordx4 v[51:54], v[24:25], off
	v_add_co_u32 v59, vcc_lo, s12, v59
	v_add_co_ci_u32_e64 v60, null, s13, v60, vcc_lo
	global_load_dwordx4 v[55:58], v[55:56], off
	v_add_nc_u32_e32 v22, -10, v20
	global_load_dwordx4 v[59:62], v[59:60], off
	v_lshlrev_b64 v[24:25], 4, v[22:23]
	v_add_nc_u32_e32 v22, 3, v79
	v_lshlrev_b64 v[63:64], 4, v[22:23]
	v_add_nc_u32_e32 v22, -3, v20
	v_add_co_u32 v24, vcc_lo, s12, v24
	v_add_co_ci_u32_e64 v25, null, s13, v25, vcc_lo
	v_lshlrev_b64 v[71:72], 4, v[22:23]
	v_add_co_u32 v67, vcc_lo, s14, v63
	v_add_co_ci_u32_e64 v68, null, s15, v64, vcc_lo
	global_load_dwordx4 v[63:66], v[24:25], off
	v_add_co_u32 v71, vcc_lo, s12, v71
	v_add_co_ci_u32_e64 v72, null, s13, v72, vcc_lo
	global_load_dwordx4 v[67:70], v[67:68], off
	v_add_nc_u32_e32 v22, -9, v20
	global_load_dwordx4 v[71:74], v[71:72], off
	v_lshlrev_b64 v[24:25], 4, v[22:23]
	v_add_nc_u32_e32 v22, 4, v79
	v_lshlrev_b64 v[75:76], 4, v[22:23]
	v_add_nc_u32_e32 v22, -2, v20
	v_add_co_u32 v24, vcc_lo, s12, v24
	v_add_co_ci_u32_e64 v25, null, s13, v25, vcc_lo
	v_lshlrev_b64 v[83:84], 4, v[22:23]
	v_add_nc_u32_e32 v22, -8, v20
	v_add_co_u32 v85, vcc_lo, s14, v75
	v_add_co_ci_u32_e64 v86, null, s15, v76, vcc_lo
	global_load_dwordx4 v[75:78], v[24:25], off
	s_waitcnt vmcnt(9)
	v_fma_f64 v[11:12], v[33:34], v[39:40], v[12:13]
	v_fma_f64 v[18:19], v[31:32], v[39:40], v[18:19]
	;; [unrolled: 1-line block ×5, first 2 shown]
	v_lshlrev_b64 v[11:12], 4, v[22:23]
	v_fma_f64 v[24:25], -v[33:34], v[41:42], v[18:19]
	v_add_co_u32 v18, vcc_lo, s12, v83
	v_add_co_ci_u32_e64 v19, null, s13, v84, vcc_lo
	v_fma_f64 v[39:40], -v[37:38], v[41:42], v[13:14]
	v_fma_f64 v[41:42], v[35:36], v[41:42], v[15:16]
	v_add_co_u32 v35, vcc_lo, s12, v11
	global_load_dwordx4 v[31:34], v[85:86], off
	v_add_co_ci_u32_e64 v36, null, s13, v12, vcc_lo
	global_load_dwordx4 v[11:14], v[18:19], off
	v_add_nc_u32_e32 v22, 5, v79
	v_lshlrev_b64 v[15:16], 4, v[22:23]
	v_add_nc_u32_e32 v22, -1, v20
	s_waitcnt vmcnt(10)
	v_fma_f64 v[24:25], v[27:28], v[43:44], v[24:25]
	v_lshlrev_b64 v[17:18], 4, v[22:23]
	v_add_co_u32 v21, vcc_lo, s14, v15
	v_add_co_ci_u32_e64 v22, null, s15, v16, vcc_lo
	v_add_co_u32 v37, vcc_lo, s12, v17
	v_add_co_ci_u32_e64 v38, null, s13, v18, vcc_lo
	global_load_dwordx4 v[15:18], v[35:36], off
	v_fma_f64 v[35:36], v[29:30], v[43:44], v[87:88]
	v_fma_f64 v[24:25], -v[29:30], v[45:46], v[24:25]
	v_fma_f64 v[83:84], v[27:28], v[45:46], v[35:36]
	global_load_dwordx4 v[27:30], v[21:22], off
	global_load_dwordx4 v[35:38], v[37:38], off
	s_waitcnt vmcnt(12)
	v_fma_f64 v[21:22], v[47:48], v[43:44], v[39:40]
	v_fma_f64 v[39:40], v[49:50], v[43:44], v[41:42]
	v_fma_f64 v[85:86], -v[49:50], v[45:46], v[21:22]
	v_add_nc_u32_e32 v22, -7, v20
	v_fma_f64 v[87:88], v[47:48], v[45:46], v[39:40]
	global_load_dwordx4 v[39:42], v[81:82], off
	v_add_nc_u32_e32 v20, 0xe0, v20
	v_lshlrev_b64 v[43:44], 4, v[22:23]
	v_add_nc_u32_e32 v22, 6, v79
	v_lshlrev_b64 v[21:22], 4, v[22:23]
	v_add_co_u32 v43, vcc_lo, s12, v43
	v_add_co_ci_u32_e64 v44, null, s13, v44, vcc_lo
	v_add_co_u32 v21, vcc_lo, s14, v21
	v_add_co_ci_u32_e64 v22, null, s15, v22, vcc_lo
	global_load_dwordx4 v[43:46], v[43:44], off
	global_load_dwordx4 v[47:50], v[21:22], off
	s_waitcnt vmcnt(13)
	v_fma_f64 v[21:22], v[51:52], v[55:56], v[24:25]
	v_fma_f64 v[24:25], v[53:54], v[55:56], v[83:84]
	s_waitcnt vmcnt(12)
	v_fma_f64 v[79:80], v[59:60], v[55:56], v[85:86]
	v_fma_f64 v[55:56], v[61:62], v[55:56], v[87:88]
	v_cmp_ge_i32_e32 vcc_lo, v10, v26
	s_or_b32 s3, vcc_lo, s3
	v_fma_f64 v[21:22], -v[53:54], v[57:58], v[21:22]
	v_fma_f64 v[24:25], v[51:52], v[57:58], v[24:25]
	v_fma_f64 v[51:52], -v[61:62], v[57:58], v[79:80]
	v_fma_f64 v[53:54], v[59:60], v[57:58], v[55:56]
	s_waitcnt vmcnt(10)
	v_fma_f64 v[21:22], v[63:64], v[67:68], v[21:22]
	v_fma_f64 v[24:25], v[65:66], v[67:68], v[24:25]
	s_waitcnt vmcnt(9)
	v_fma_f64 v[51:52], v[71:72], v[67:68], v[51:52]
	v_fma_f64 v[53:54], v[73:74], v[67:68], v[53:54]
	v_fma_f64 v[21:22], -v[65:66], v[69:70], v[21:22]
	v_fma_f64 v[24:25], v[63:64], v[69:70], v[24:25]
	v_fma_f64 v[51:52], -v[73:74], v[69:70], v[51:52]
	v_fma_f64 v[53:54], v[71:72], v[69:70], v[53:54]
	s_waitcnt vmcnt(7)
	v_fma_f64 v[21:22], v[75:76], v[31:32], v[21:22]
	v_fma_f64 v[24:25], v[77:78], v[31:32], v[24:25]
	s_waitcnt vmcnt(6)
	v_fma_f64 v[51:52], v[11:12], v[31:32], v[51:52]
	v_fma_f64 v[31:32], v[13:14], v[31:32], v[53:54]
	;; [unrolled: 10-line block ×3, first 2 shown]
	v_fma_f64 v[17:18], -v[17:18], v[29:30], v[21:22]
	v_fma_f64 v[15:16], v[15:16], v[29:30], v[24:25]
	v_fma_f64 v[13:14], -v[37:38], v[29:30], v[13:14]
	v_fma_f64 v[11:12], v[35:36], v[29:30], v[11:12]
	s_waitcnt vmcnt(0)
	v_fma_f64 v[17:18], v[43:44], v[47:48], v[17:18]
	v_fma_f64 v[15:16], v[45:46], v[47:48], v[15:16]
	;; [unrolled: 1-line block ×4, first 2 shown]
	v_fma_f64 v[18:19], -v[45:46], v[49:50], v[17:18]
	v_fma_f64 v[12:13], v[43:44], v[49:50], v[15:16]
	v_fma_f64 v[14:15], -v[41:42], v[49:50], v[21:22]
	v_fma_f64 v[16:17], v[39:40], v[49:50], v[24:25]
	s_andn2_b32 exec_lo, exec_lo, s3
	s_cbranch_execnz .LBB255_13
; %bb.14:
	s_or_b32 exec_lo, exec_lo, s3
.LBB255_15:
	s_or_b32 exec_lo, exec_lo, s1
.LBB255_16:
	v_mbcnt_lo_u32_b32 v26, -1, 0
	v_xor_b32_e32 v10, 8, v26
	v_cmp_gt_i32_e32 vcc_lo, 32, v10
	v_cndmask_b32_e32 v10, v26, v10, vcc_lo
	v_lshlrev_b32_e32 v25, 2, v10
	ds_bpermute_b32 v10, v25, v18
	ds_bpermute_b32 v11, v25, v19
	;; [unrolled: 1-line block ×8, first 2 shown]
	s_waitcnt lgkmcnt(6)
	v_add_f64 v[10:11], v[18:19], v[10:11]
	v_xor_b32_e32 v18, 4, v26
	s_waitcnt lgkmcnt(4)
	v_add_f64 v[12:13], v[12:13], v[20:21]
	s_waitcnt lgkmcnt(2)
	v_add_f64 v[14:15], v[14:15], v[22:23]
	;; [unrolled: 2-line block ×3, first 2 shown]
	v_cmp_gt_i32_e32 vcc_lo, 32, v18
	v_cndmask_b32_e32 v18, v26, v18, vcc_lo
	v_lshlrev_b32_e32 v25, 2, v18
	ds_bpermute_b32 v18, v25, v10
	ds_bpermute_b32 v19, v25, v11
	;; [unrolled: 1-line block ×8, first 2 shown]
	s_waitcnt lgkmcnt(6)
	v_add_f64 v[10:11], v[10:11], v[18:19]
	s_waitcnt lgkmcnt(4)
	v_add_f64 v[12:13], v[12:13], v[20:21]
	;; [unrolled: 2-line block ×4, first 2 shown]
	v_xor_b32_e32 v16, 2, v26
	v_cmp_gt_i32_e32 vcc_lo, 32, v16
	v_cndmask_b32_e32 v16, v26, v16, vcc_lo
	v_lshlrev_b32_e32 v25, 2, v16
	ds_bpermute_b32 v16, v25, v10
	ds_bpermute_b32 v17, v25, v11
	;; [unrolled: 1-line block ×8, first 2 shown]
	s_waitcnt lgkmcnt(6)
	v_add_f64 v[10:11], v[10:11], v[16:17]
	s_waitcnt lgkmcnt(4)
	v_add_f64 v[16:17], v[12:13], v[20:21]
	;; [unrolled: 2-line block ×4, first 2 shown]
	v_xor_b32_e32 v18, 1, v26
	v_cmp_gt_i32_e32 vcc_lo, 32, v18
	v_cndmask_b32_e32 v18, v26, v18, vcc_lo
	v_cmp_eq_u32_e32 vcc_lo, 15, v0
	v_lshlrev_b32_e32 v21, 2, v18
	ds_bpermute_b32 v24, v21, v10
	ds_bpermute_b32 v25, v21, v11
	;; [unrolled: 1-line block ×8, first 2 shown]
	s_and_b32 exec_lo, exec_lo, vcc_lo
	s_cbranch_execz .LBB255_21
; %bb.17:
	v_cmp_eq_f64_e32 vcc_lo, 0, v[5:6]
	v_cmp_eq_f64_e64 s0, 0, v[7:8]
	s_waitcnt lgkmcnt(6)
	v_add_f64 v[10:11], v[10:11], v[24:25]
	s_waitcnt lgkmcnt(4)
	v_add_f64 v[16:17], v[16:17], v[22:23]
	;; [unrolled: 2-line block ×4, first 2 shown]
	s_load_dwordx2 s[2:3], s[4:5], 0x48
	s_and_b32 s0, vcc_lo, s0
	s_and_saveexec_b32 s1, s0
	s_xor_b32 s0, exec_lo, s1
	s_cbranch_execz .LBB255_19
; %bb.18:
	v_mul_f64 v[5:6], v[16:17], -v[3:4]
	v_mul_f64 v[7:8], v[1:2], v[16:17]
	v_mul_f64 v[16:17], v[14:15], -v[3:4]
	v_mul_f64 v[14:15], v[1:2], v[14:15]
	v_lshlrev_b32_e32 v9, 1, v9
	v_fma_f64 v[5:6], v[1:2], v[10:11], v[5:6]
	v_fma_f64 v[7:8], v[3:4], v[10:11], v[7:8]
	;; [unrolled: 1-line block ×4, first 2 shown]
	v_ashrrev_i32_e32 v10, 31, v9
                                        ; implicit-def: $vgpr16_vgpr17
                                        ; implicit-def: $vgpr12_vgpr13
                                        ; implicit-def: $vgpr14_vgpr15
	v_lshlrev_b64 v[9:10], 4, v[9:10]
	s_waitcnt lgkmcnt(0)
	v_add_co_u32 v9, vcc_lo, s2, v9
	v_add_co_ci_u32_e64 v10, null, s3, v10, vcc_lo
	global_store_dwordx4 v[9:10], v[5:8], off
	global_store_dwordx4 v[9:10], v[0:3], off offset:16
                                        ; implicit-def: $vgpr9
                                        ; implicit-def: $vgpr10_vgpr11
                                        ; implicit-def: $vgpr7_vgpr8
                                        ; implicit-def: $vgpr3_vgpr4
.LBB255_19:
	s_andn2_saveexec_b32 s0, s0
	s_cbranch_execz .LBB255_21
; %bb.20:
	v_lshlrev_b32_e32 v18, 1, v9
	v_mul_f64 v[28:29], v[16:17], -v[3:4]
	v_mul_f64 v[16:17], v[1:2], v[16:17]
	v_mul_f64 v[30:31], v[14:15], -v[3:4]
	v_mul_f64 v[14:15], v[1:2], v[14:15]
	v_ashrrev_i32_e32 v19, 31, v18
	v_lshlrev_b64 v[18:19], 4, v[18:19]
	s_waitcnt lgkmcnt(0)
	v_add_co_u32 v26, vcc_lo, s2, v18
	v_add_co_ci_u32_e64 v27, null, s3, v19, vcc_lo
	s_clause 0x1
	global_load_dwordx4 v[18:21], v[26:27], off
	global_load_dwordx4 v[22:25], v[26:27], off offset:16
	v_fma_f64 v[28:29], v[1:2], v[10:11], v[28:29]
	v_fma_f64 v[9:10], v[3:4], v[10:11], v[16:17]
	;; [unrolled: 1-line block ×4, first 2 shown]
	s_waitcnt vmcnt(1)
	v_fma_f64 v[11:12], v[5:6], v[18:19], v[28:29]
	v_fma_f64 v[9:10], v[7:8], v[18:19], v[9:10]
	s_waitcnt vmcnt(0)
	v_fma_f64 v[13:14], v[5:6], v[22:23], v[0:1]
	v_fma_f64 v[15:16], v[7:8], v[22:23], v[2:3]
	v_fma_f64 v[0:1], -v[7:8], v[20:21], v[11:12]
	v_fma_f64 v[2:3], v[5:6], v[20:21], v[9:10]
	v_fma_f64 v[7:8], -v[7:8], v[24:25], v[13:14]
	v_fma_f64 v[9:10], v[5:6], v[24:25], v[15:16]
	global_store_dwordx4 v[26:27], v[0:3], off
	global_store_dwordx4 v[26:27], v[7:10], off offset:16
.LBB255_21:
	s_endpgm
	.section	.rodata,"a",@progbits
	.p2align	6, 0x0
	.amdhsa_kernel _ZN9rocsparseL19gebsrmvn_2xn_kernelILj128ELj7ELj16E21rocsparse_complex_numIdEEEvi20rocsparse_direction_NS_24const_host_device_scalarIT2_EEPKiS8_PKS5_SA_S6_PS5_21rocsparse_index_base_b
		.amdhsa_group_segment_fixed_size 0
		.amdhsa_private_segment_fixed_size 0
		.amdhsa_kernarg_size 88
		.amdhsa_user_sgpr_count 6
		.amdhsa_user_sgpr_private_segment_buffer 1
		.amdhsa_user_sgpr_dispatch_ptr 0
		.amdhsa_user_sgpr_queue_ptr 0
		.amdhsa_user_sgpr_kernarg_segment_ptr 1
		.amdhsa_user_sgpr_dispatch_id 0
		.amdhsa_user_sgpr_flat_scratch_init 0
		.amdhsa_user_sgpr_private_segment_size 0
		.amdhsa_wavefront_size32 1
		.amdhsa_uses_dynamic_stack 0
		.amdhsa_system_sgpr_private_segment_wavefront_offset 0
		.amdhsa_system_sgpr_workgroup_id_x 1
		.amdhsa_system_sgpr_workgroup_id_y 0
		.amdhsa_system_sgpr_workgroup_id_z 0
		.amdhsa_system_sgpr_workgroup_info 0
		.amdhsa_system_vgpr_workitem_id 0
		.amdhsa_next_free_vgpr 103
		.amdhsa_next_free_sgpr 16
		.amdhsa_reserve_vcc 1
		.amdhsa_reserve_flat_scratch 0
		.amdhsa_float_round_mode_32 0
		.amdhsa_float_round_mode_16_64 0
		.amdhsa_float_denorm_mode_32 3
		.amdhsa_float_denorm_mode_16_64 3
		.amdhsa_dx10_clamp 1
		.amdhsa_ieee_mode 1
		.amdhsa_fp16_overflow 0
		.amdhsa_workgroup_processor_mode 1
		.amdhsa_memory_ordered 1
		.amdhsa_forward_progress 1
		.amdhsa_shared_vgpr_count 0
		.amdhsa_exception_fp_ieee_invalid_op 0
		.amdhsa_exception_fp_denorm_src 0
		.amdhsa_exception_fp_ieee_div_zero 0
		.amdhsa_exception_fp_ieee_overflow 0
		.amdhsa_exception_fp_ieee_underflow 0
		.amdhsa_exception_fp_ieee_inexact 0
		.amdhsa_exception_int_div_zero 0
	.end_amdhsa_kernel
	.section	.text._ZN9rocsparseL19gebsrmvn_2xn_kernelILj128ELj7ELj16E21rocsparse_complex_numIdEEEvi20rocsparse_direction_NS_24const_host_device_scalarIT2_EEPKiS8_PKS5_SA_S6_PS5_21rocsparse_index_base_b,"axG",@progbits,_ZN9rocsparseL19gebsrmvn_2xn_kernelILj128ELj7ELj16E21rocsparse_complex_numIdEEEvi20rocsparse_direction_NS_24const_host_device_scalarIT2_EEPKiS8_PKS5_SA_S6_PS5_21rocsparse_index_base_b,comdat
.Lfunc_end255:
	.size	_ZN9rocsparseL19gebsrmvn_2xn_kernelILj128ELj7ELj16E21rocsparse_complex_numIdEEEvi20rocsparse_direction_NS_24const_host_device_scalarIT2_EEPKiS8_PKS5_SA_S6_PS5_21rocsparse_index_base_b, .Lfunc_end255-_ZN9rocsparseL19gebsrmvn_2xn_kernelILj128ELj7ELj16E21rocsparse_complex_numIdEEEvi20rocsparse_direction_NS_24const_host_device_scalarIT2_EEPKiS8_PKS5_SA_S6_PS5_21rocsparse_index_base_b
                                        ; -- End function
	.set _ZN9rocsparseL19gebsrmvn_2xn_kernelILj128ELj7ELj16E21rocsparse_complex_numIdEEEvi20rocsparse_direction_NS_24const_host_device_scalarIT2_EEPKiS8_PKS5_SA_S6_PS5_21rocsparse_index_base_b.num_vgpr, 103
	.set _ZN9rocsparseL19gebsrmvn_2xn_kernelILj128ELj7ELj16E21rocsparse_complex_numIdEEEvi20rocsparse_direction_NS_24const_host_device_scalarIT2_EEPKiS8_PKS5_SA_S6_PS5_21rocsparse_index_base_b.num_agpr, 0
	.set _ZN9rocsparseL19gebsrmvn_2xn_kernelILj128ELj7ELj16E21rocsparse_complex_numIdEEEvi20rocsparse_direction_NS_24const_host_device_scalarIT2_EEPKiS8_PKS5_SA_S6_PS5_21rocsparse_index_base_b.numbered_sgpr, 16
	.set _ZN9rocsparseL19gebsrmvn_2xn_kernelILj128ELj7ELj16E21rocsparse_complex_numIdEEEvi20rocsparse_direction_NS_24const_host_device_scalarIT2_EEPKiS8_PKS5_SA_S6_PS5_21rocsparse_index_base_b.num_named_barrier, 0
	.set _ZN9rocsparseL19gebsrmvn_2xn_kernelILj128ELj7ELj16E21rocsparse_complex_numIdEEEvi20rocsparse_direction_NS_24const_host_device_scalarIT2_EEPKiS8_PKS5_SA_S6_PS5_21rocsparse_index_base_b.private_seg_size, 0
	.set _ZN9rocsparseL19gebsrmvn_2xn_kernelILj128ELj7ELj16E21rocsparse_complex_numIdEEEvi20rocsparse_direction_NS_24const_host_device_scalarIT2_EEPKiS8_PKS5_SA_S6_PS5_21rocsparse_index_base_b.uses_vcc, 1
	.set _ZN9rocsparseL19gebsrmvn_2xn_kernelILj128ELj7ELj16E21rocsparse_complex_numIdEEEvi20rocsparse_direction_NS_24const_host_device_scalarIT2_EEPKiS8_PKS5_SA_S6_PS5_21rocsparse_index_base_b.uses_flat_scratch, 0
	.set _ZN9rocsparseL19gebsrmvn_2xn_kernelILj128ELj7ELj16E21rocsparse_complex_numIdEEEvi20rocsparse_direction_NS_24const_host_device_scalarIT2_EEPKiS8_PKS5_SA_S6_PS5_21rocsparse_index_base_b.has_dyn_sized_stack, 0
	.set _ZN9rocsparseL19gebsrmvn_2xn_kernelILj128ELj7ELj16E21rocsparse_complex_numIdEEEvi20rocsparse_direction_NS_24const_host_device_scalarIT2_EEPKiS8_PKS5_SA_S6_PS5_21rocsparse_index_base_b.has_recursion, 0
	.set _ZN9rocsparseL19gebsrmvn_2xn_kernelILj128ELj7ELj16E21rocsparse_complex_numIdEEEvi20rocsparse_direction_NS_24const_host_device_scalarIT2_EEPKiS8_PKS5_SA_S6_PS5_21rocsparse_index_base_b.has_indirect_call, 0
	.section	.AMDGPU.csdata,"",@progbits
; Kernel info:
; codeLenInByte = 3844
; TotalNumSgprs: 18
; NumVgprs: 103
; ScratchSize: 0
; MemoryBound: 0
; FloatMode: 240
; IeeeMode: 1
; LDSByteSize: 0 bytes/workgroup (compile time only)
; SGPRBlocks: 0
; VGPRBlocks: 12
; NumSGPRsForWavesPerEU: 18
; NumVGPRsForWavesPerEU: 103
; Occupancy: 9
; WaveLimiterHint : 1
; COMPUTE_PGM_RSRC2:SCRATCH_EN: 0
; COMPUTE_PGM_RSRC2:USER_SGPR: 6
; COMPUTE_PGM_RSRC2:TRAP_HANDLER: 0
; COMPUTE_PGM_RSRC2:TGID_X_EN: 1
; COMPUTE_PGM_RSRC2:TGID_Y_EN: 0
; COMPUTE_PGM_RSRC2:TGID_Z_EN: 0
; COMPUTE_PGM_RSRC2:TIDIG_COMP_CNT: 0
	.section	.text._ZN9rocsparseL19gebsrmvn_2xn_kernelILj128ELj7ELj32E21rocsparse_complex_numIdEEEvi20rocsparse_direction_NS_24const_host_device_scalarIT2_EEPKiS8_PKS5_SA_S6_PS5_21rocsparse_index_base_b,"axG",@progbits,_ZN9rocsparseL19gebsrmvn_2xn_kernelILj128ELj7ELj32E21rocsparse_complex_numIdEEEvi20rocsparse_direction_NS_24const_host_device_scalarIT2_EEPKiS8_PKS5_SA_S6_PS5_21rocsparse_index_base_b,comdat
	.globl	_ZN9rocsparseL19gebsrmvn_2xn_kernelILj128ELj7ELj32E21rocsparse_complex_numIdEEEvi20rocsparse_direction_NS_24const_host_device_scalarIT2_EEPKiS8_PKS5_SA_S6_PS5_21rocsparse_index_base_b ; -- Begin function _ZN9rocsparseL19gebsrmvn_2xn_kernelILj128ELj7ELj32E21rocsparse_complex_numIdEEEvi20rocsparse_direction_NS_24const_host_device_scalarIT2_EEPKiS8_PKS5_SA_S6_PS5_21rocsparse_index_base_b
	.p2align	8
	.type	_ZN9rocsparseL19gebsrmvn_2xn_kernelILj128ELj7ELj32E21rocsparse_complex_numIdEEEvi20rocsparse_direction_NS_24const_host_device_scalarIT2_EEPKiS8_PKS5_SA_S6_PS5_21rocsparse_index_base_b,@function
_ZN9rocsparseL19gebsrmvn_2xn_kernelILj128ELj7ELj32E21rocsparse_complex_numIdEEEvi20rocsparse_direction_NS_24const_host_device_scalarIT2_EEPKiS8_PKS5_SA_S6_PS5_21rocsparse_index_base_b: ; @_ZN9rocsparseL19gebsrmvn_2xn_kernelILj128ELj7ELj32E21rocsparse_complex_numIdEEEvi20rocsparse_direction_NS_24const_host_device_scalarIT2_EEPKiS8_PKS5_SA_S6_PS5_21rocsparse_index_base_b
; %bb.0:
	s_clause 0x1
	s_load_dwordx2 s[2:3], s[4:5], 0x50
	s_load_dwordx2 s[0:1], s[4:5], 0x8
	s_add_u32 s7, s4, 8
	s_addc_u32 s10, s5, 0
	s_add_u32 s11, s4, 56
	s_addc_u32 s12, s5, 0
	s_load_dwordx2 s[8:9], s[4:5], 0x38
	s_waitcnt lgkmcnt(0)
	s_bitcmp1_b32 s3, 0
	s_cselect_b32 s0, s7, s0
	s_cselect_b32 s1, s10, s1
	v_mov_b32_e32 v1, s0
	v_mov_b32_e32 v2, s1
	s_cselect_b32 s0, s11, s8
	s_cselect_b32 s1, s12, s9
	v_mov_b32_e32 v5, s0
	v_mov_b32_e32 v6, s1
	flat_load_dwordx4 v[1:4], v[1:2]
	flat_load_dwordx4 v[5:8], v[5:6]
	s_waitcnt vmcnt(1) lgkmcnt(1)
	v_cmp_eq_f64_e32 vcc_lo, 0, v[1:2]
	v_cmp_eq_f64_e64 s0, 0, v[3:4]
	s_and_b32 s3, vcc_lo, s0
	s_mov_b32 s0, -1
	s_and_saveexec_b32 s1, s3
	s_cbranch_execz .LBB256_2
; %bb.1:
	s_waitcnt vmcnt(0) lgkmcnt(0)
	v_cmp_neq_f64_e32 vcc_lo, 1.0, v[5:6]
	v_cmp_neq_f64_e64 s0, 0, v[7:8]
	s_or_b32 s0, vcc_lo, s0
	s_orn2_b32 s0, s0, exec_lo
.LBB256_2:
	s_or_b32 exec_lo, exec_lo, s1
	s_and_saveexec_b32 s1, s0
	s_cbranch_execz .LBB256_21
; %bb.3:
	s_load_dwordx2 s[0:1], s[4:5], 0x0
	v_lshrrev_b32_e32 v9, 5, v0
	v_lshl_or_b32 v9, s6, 2, v9
	s_waitcnt lgkmcnt(0)
	v_cmp_gt_i32_e32 vcc_lo, s0, v9
	s_and_b32 exec_lo, exec_lo, vcc_lo
	s_cbranch_execz .LBB256_21
; %bb.4:
	s_load_dwordx8 s[8:15], s[4:5], 0x18
	v_ashrrev_i32_e32 v10, 31, v9
	v_and_b32_e32 v0, 31, v0
	s_cmp_lg_u32 s1, 0
	v_lshlrev_b64 v[10:11], 2, v[9:10]
	s_waitcnt lgkmcnt(0)
	v_add_co_u32 v10, vcc_lo, s8, v10
	v_add_co_ci_u32_e64 v11, null, s9, v11, vcc_lo
	global_load_dwordx2 v[10:11], v[10:11], off
	s_waitcnt vmcnt(0)
	v_subrev_nc_u32_e32 v10, s2, v10
	v_subrev_nc_u32_e32 v26, s2, v11
	v_add_nc_u32_e32 v10, v10, v0
	v_cmp_lt_i32_e64 s0, v10, v26
	s_cbranch_scc0 .LBB256_10
; %bb.5:
	v_mov_b32_e32 v12, 0
	v_mov_b32_e32 v18, 0
	;; [unrolled: 1-line block ×8, first 2 shown]
	s_and_saveexec_b32 s1, s0
	s_cbranch_execz .LBB256_9
; %bb.6:
	v_mad_u64_u32 v[20:21], null, v10, 14, 12
	v_mov_b32_e32 v12, 0
	v_mov_b32_e32 v18, 0
	;; [unrolled: 1-line block ×10, first 2 shown]
	s_mov_b32 s3, 0
.LBB256_7:                              ; =>This Inner Loop Header: Depth=1
	v_ashrrev_i32_e32 v25, 31, v24
	v_mov_b32_e32 v88, v23
	v_lshlrev_b64 v[21:22], 2, v[24:25]
	v_add_nc_u32_e32 v24, 32, v24
	v_add_co_u32 v21, vcc_lo, s10, v21
	v_add_co_ci_u32_e64 v22, null, s11, v22, vcc_lo
	global_load_dword v11, v[21:22], off
	v_add_nc_u32_e32 v22, -12, v20
	v_lshlrev_b64 v[21:22], 4, v[22:23]
	v_add_co_u32 v21, vcc_lo, s12, v21
	v_add_co_ci_u32_e64 v22, null, s13, v22, vcc_lo
	s_clause 0x1
	global_load_dwordx4 v[27:30], v[21:22], off offset:16
	global_load_dwordx4 v[31:34], v[21:22], off
	s_waitcnt vmcnt(2)
	v_subrev_nc_u32_e32 v11, s2, v11
	v_mul_lo_u32 v87, v11, 7
	v_lshlrev_b64 v[21:22], 4, v[87:88]
	v_add_co_u32 v21, vcc_lo, s14, v21
	v_add_co_ci_u32_e64 v22, null, s15, v22, vcc_lo
	global_load_dwordx4 v[35:38], v[21:22], off
	v_add_nc_u32_e32 v22, -10, v20
	v_lshlrev_b64 v[21:22], 4, v[22:23]
	v_add_co_u32 v43, vcc_lo, s12, v21
	v_add_co_ci_u32_e64 v44, null, s13, v22, vcc_lo
	v_add_nc_u32_e32 v22, 1, v87
	global_load_dwordx4 v[39:42], v[43:44], off offset:16
	v_lshlrev_b64 v[21:22], 4, v[22:23]
	v_add_co_u32 v21, vcc_lo, s14, v21
	v_add_co_ci_u32_e64 v22, null, s15, v22, vcc_lo
	global_load_dwordx4 v[43:46], v[43:44], off
	global_load_dwordx4 v[47:50], v[21:22], off
	v_add_nc_u32_e32 v22, -8, v20
	v_lshlrev_b64 v[51:52], 4, v[22:23]
	v_add_nc_u32_e32 v22, 2, v87
	v_lshlrev_b64 v[21:22], 4, v[22:23]
	v_add_co_u32 v55, vcc_lo, s12, v51
	v_add_co_ci_u32_e64 v56, null, s13, v52, vcc_lo
	v_add_co_u32 v21, vcc_lo, s14, v21
	v_add_co_ci_u32_e64 v22, null, s15, v22, vcc_lo
	s_clause 0x1
	global_load_dwordx4 v[51:54], v[55:56], off offset:16
	global_load_dwordx4 v[55:58], v[55:56], off
	global_load_dwordx4 v[59:62], v[21:22], off
	v_add_nc_u32_e32 v22, -6, v20
	v_lshlrev_b64 v[63:64], 4, v[22:23]
	v_add_nc_u32_e32 v22, 3, v87
	v_lshlrev_b64 v[21:22], 4, v[22:23]
	v_add_co_u32 v67, vcc_lo, s12, v63
	v_add_co_ci_u32_e64 v68, null, s13, v64, vcc_lo
	v_add_co_u32 v21, vcc_lo, s14, v21
	v_add_co_ci_u32_e64 v22, null, s15, v22, vcc_lo
	s_clause 0x1
	global_load_dwordx4 v[63:66], v[67:68], off offset:16
	global_load_dwordx4 v[67:70], v[67:68], off
	global_load_dwordx4 v[71:74], v[21:22], off
	v_add_nc_u32_e32 v22, -4, v20
	v_mov_b32_e32 v21, v23
	v_lshlrev_b64 v[75:76], 4, v[22:23]
	v_add_nc_u32_e32 v22, 4, v87
	v_lshlrev_b64 v[77:78], 4, v[22:23]
	v_add_co_u32 v79, vcc_lo, s12, v75
	v_add_co_ci_u32_e64 v80, null, s13, v76, vcc_lo
	v_lshlrev_b64 v[21:22], 4, v[20:21]
	v_add_co_u32 v83, vcc_lo, s14, v77
	v_add_co_ci_u32_e64 v84, null, s15, v78, vcc_lo
	s_clause 0x1
	global_load_dwordx4 v[75:78], v[79:80], off offset:16
	global_load_dwordx4 v[79:82], v[79:80], off
	global_load_dwordx4 v[83:86], v[83:84], off
	v_add_co_u32 v99, vcc_lo, s12, v21
	v_add_co_ci_u32_e64 v100, null, s13, v22, vcc_lo
	v_add_nc_u32_e32 v22, -2, v20
	v_add_nc_u32_e32 v20, 0x1c0, v20
	v_lshlrev_b64 v[88:89], 4, v[22:23]
	v_add_nc_u32_e32 v22, 5, v87
	v_lshlrev_b64 v[90:91], 4, v[22:23]
	v_add_co_u32 v92, vcc_lo, s12, v88
	v_add_co_ci_u32_e64 v93, null, s13, v89, vcc_lo
	v_add_nc_u32_e32 v22, 6, v87
	v_add_co_u32 v95, vcc_lo, s14, v90
	v_add_co_ci_u32_e64 v96, null, s15, v91, vcc_lo
	s_clause 0x1
	global_load_dwordx4 v[87:90], v[92:93], off offset:16
	global_load_dwordx4 v[91:94], v[92:93], off
	v_lshlrev_b64 v[21:22], 4, v[22:23]
	global_load_dwordx4 v[95:98], v[95:96], off
	v_add_co_u32 v21, vcc_lo, s14, v21
	v_add_co_ci_u32_e64 v22, null, s15, v22, vcc_lo
	v_cmp_ge_i32_e32 vcc_lo, v24, v26
	s_or_b32 s3, vcc_lo, s3
	s_waitcnt vmcnt(15)
	v_fma_f64 v[11:12], v[33:34], v[35:36], v[12:13]
	v_fma_f64 v[18:19], v[31:32], v[35:36], v[18:19]
	v_fma_f64 v[101:102], v[31:32], v[37:38], v[11:12]
	v_fma_f64 v[11:12], v[27:28], v[35:36], v[14:15]
	v_fma_f64 v[13:14], v[29:30], v[35:36], v[16:17]
	v_fma_f64 v[18:19], -v[33:34], v[37:38], v[18:19]
	global_load_dwordx4 v[31:34], v[99:100], off offset:16
	v_fma_f64 v[15:16], -v[29:30], v[37:38], v[11:12]
	v_fma_f64 v[35:36], v[27:28], v[37:38], v[13:14]
	global_load_dwordx4 v[11:14], v[99:100], off
	global_load_dwordx4 v[27:30], v[21:22], off
	s_waitcnt vmcnt(15)
	v_fma_f64 v[17:18], v[43:44], v[47:48], v[18:19]
	v_fma_f64 v[21:22], v[45:46], v[47:48], v[101:102]
	v_fma_f64 v[15:16], v[39:40], v[47:48], v[15:16]
	v_fma_f64 v[35:36], v[41:42], v[47:48], v[35:36]
	v_fma_f64 v[17:18], -v[45:46], v[49:50], v[17:18]
	v_fma_f64 v[21:22], v[43:44], v[49:50], v[21:22]
	v_fma_f64 v[15:16], -v[41:42], v[49:50], v[15:16]
	v_fma_f64 v[35:36], v[39:40], v[49:50], v[35:36]
	s_waitcnt vmcnt(12)
	v_fma_f64 v[17:18], v[55:56], v[59:60], v[17:18]
	v_fma_f64 v[21:22], v[57:58], v[59:60], v[21:22]
	v_fma_f64 v[15:16], v[51:52], v[59:60], v[15:16]
	v_fma_f64 v[35:36], v[53:54], v[59:60], v[35:36]
	v_fma_f64 v[17:18], -v[57:58], v[61:62], v[17:18]
	v_fma_f64 v[21:22], v[55:56], v[61:62], v[21:22]
	v_fma_f64 v[15:16], -v[53:54], v[61:62], v[15:16]
	v_fma_f64 v[35:36], v[51:52], v[61:62], v[35:36]
	;; [unrolled: 9-line block ×6, first 2 shown]
	s_andn2_b32 exec_lo, exec_lo, s3
	s_cbranch_execnz .LBB256_7
; %bb.8:
	s_or_b32 exec_lo, exec_lo, s3
.LBB256_9:
	s_or_b32 exec_lo, exec_lo, s1
	s_cbranch_execz .LBB256_11
	s_branch .LBB256_16
.LBB256_10:
                                        ; implicit-def: $vgpr12_vgpr13
                                        ; implicit-def: $vgpr18_vgpr19
                                        ; implicit-def: $vgpr14_vgpr15
                                        ; implicit-def: $vgpr16_vgpr17
.LBB256_11:
	v_mov_b32_e32 v12, 0
	v_mov_b32_e32 v18, 0
	;; [unrolled: 1-line block ×8, first 2 shown]
	s_and_saveexec_b32 s1, s0
	s_cbranch_execz .LBB256_15
; %bb.12:
	v_mad_u64_u32 v[20:21], null, v10, 14, 13
	v_mov_b32_e32 v12, 0
	v_mov_b32_e32 v18, 0
	;; [unrolled: 1-line block ×9, first 2 shown]
	s_mov_b32 s3, 0
.LBB256_13:                             ; =>This Inner Loop Header: Depth=1
	v_ashrrev_i32_e32 v11, 31, v10
	v_add_nc_u32_e32 v24, -6, v20
	v_mov_b32_e32 v25, v23
	v_mov_b32_e32 v80, v23
	v_lshlrev_b64 v[21:22], 2, v[10:11]
	v_add_nc_u32_e32 v10, 32, v10
	v_lshlrev_b64 v[24:25], 4, v[24:25]
	v_add_co_u32 v21, vcc_lo, s10, v21
	v_add_co_ci_u32_e64 v22, null, s11, v22, vcc_lo
	global_load_dword v11, v[21:22], off
	v_add_nc_u32_e32 v22, -13, v20
	v_mov_b32_e32 v21, v23
	v_lshlrev_b64 v[27:28], 4, v[22:23]
	v_lshlrev_b64 v[50:51], 4, v[20:21]
	v_add_co_u32 v21, vcc_lo, s12, v27
	v_add_co_ci_u32_e64 v22, null, s13, v28, vcc_lo
	v_add_co_u32 v24, vcc_lo, s12, v24
	v_add_co_ci_u32_e64 v25, null, s13, v25, vcc_lo
	s_clause 0x2
	global_load_dwordx4 v[27:30], v[21:22], off offset:16
	global_load_dwordx4 v[31:34], v[21:22], off
	global_load_dwordx4 v[35:38], v[24:25], off
	v_add_co_u32 v81, vcc_lo, s12, v50
	v_add_co_ci_u32_e64 v82, null, s13, v51, vcc_lo
	s_waitcnt vmcnt(3)
	v_subrev_nc_u32_e32 v11, s2, v11
	v_mul_lo_u32 v79, v11, 7
	v_lshlrev_b64 v[24:25], 4, v[79:80]
	v_add_nc_u32_e32 v22, 1, v79
	v_lshlrev_b64 v[43:44], 4, v[22:23]
	v_add_co_u32 v24, s0, s14, v24
	v_add_co_ci_u32_e64 v25, null, s15, v25, s0
	v_add_nc_u32_e32 v22, -5, v20
	global_load_dwordx4 v[39:42], v[24:25], off
	v_add_co_u32 v24, s0, s14, v43
	v_add_co_ci_u32_e64 v25, null, s15, v44, s0
	v_lshlrev_b64 v[21:22], 4, v[22:23]
	global_load_dwordx4 v[43:46], v[24:25], off
	v_add_co_u32 v21, s0, s12, v21
	v_add_co_ci_u32_e64 v22, null, s13, v22, s0
	global_load_dwordx4 v[47:50], v[21:22], off
	v_add_nc_u32_e32 v22, -11, v20
	v_lshlrev_b64 v[24:25], 4, v[22:23]
	v_add_nc_u32_e32 v22, 2, v79
	v_lshlrev_b64 v[51:52], 4, v[22:23]
	v_add_nc_u32_e32 v22, -4, v20
	v_add_co_u32 v24, vcc_lo, s12, v24
	v_add_co_ci_u32_e64 v25, null, s13, v25, vcc_lo
	v_lshlrev_b64 v[59:60], 4, v[22:23]
	v_add_co_u32 v55, vcc_lo, s14, v51
	v_add_co_ci_u32_e64 v56, null, s15, v52, vcc_lo
	global_load_dwordx4 v[51:54], v[24:25], off
	v_add_co_u32 v59, vcc_lo, s12, v59
	v_add_co_ci_u32_e64 v60, null, s13, v60, vcc_lo
	global_load_dwordx4 v[55:58], v[55:56], off
	v_add_nc_u32_e32 v22, -10, v20
	global_load_dwordx4 v[59:62], v[59:60], off
	v_lshlrev_b64 v[24:25], 4, v[22:23]
	v_add_nc_u32_e32 v22, 3, v79
	v_lshlrev_b64 v[63:64], 4, v[22:23]
	v_add_nc_u32_e32 v22, -3, v20
	v_add_co_u32 v24, vcc_lo, s12, v24
	v_add_co_ci_u32_e64 v25, null, s13, v25, vcc_lo
	v_lshlrev_b64 v[71:72], 4, v[22:23]
	v_add_co_u32 v67, vcc_lo, s14, v63
	v_add_co_ci_u32_e64 v68, null, s15, v64, vcc_lo
	global_load_dwordx4 v[63:66], v[24:25], off
	v_add_co_u32 v71, vcc_lo, s12, v71
	v_add_co_ci_u32_e64 v72, null, s13, v72, vcc_lo
	global_load_dwordx4 v[67:70], v[67:68], off
	v_add_nc_u32_e32 v22, -9, v20
	global_load_dwordx4 v[71:74], v[71:72], off
	v_lshlrev_b64 v[24:25], 4, v[22:23]
	v_add_nc_u32_e32 v22, 4, v79
	v_lshlrev_b64 v[75:76], 4, v[22:23]
	v_add_nc_u32_e32 v22, -2, v20
	v_add_co_u32 v24, vcc_lo, s12, v24
	v_add_co_ci_u32_e64 v25, null, s13, v25, vcc_lo
	v_lshlrev_b64 v[83:84], 4, v[22:23]
	v_add_nc_u32_e32 v22, -8, v20
	v_add_co_u32 v85, vcc_lo, s14, v75
	v_add_co_ci_u32_e64 v86, null, s15, v76, vcc_lo
	global_load_dwordx4 v[75:78], v[24:25], off
	s_waitcnt vmcnt(9)
	v_fma_f64 v[11:12], v[33:34], v[39:40], v[12:13]
	v_fma_f64 v[18:19], v[31:32], v[39:40], v[18:19]
	;; [unrolled: 1-line block ×5, first 2 shown]
	v_lshlrev_b64 v[11:12], 4, v[22:23]
	v_fma_f64 v[24:25], -v[33:34], v[41:42], v[18:19]
	v_add_co_u32 v18, vcc_lo, s12, v83
	v_add_co_ci_u32_e64 v19, null, s13, v84, vcc_lo
	v_fma_f64 v[39:40], -v[37:38], v[41:42], v[13:14]
	v_fma_f64 v[41:42], v[35:36], v[41:42], v[15:16]
	v_add_co_u32 v35, vcc_lo, s12, v11
	global_load_dwordx4 v[31:34], v[85:86], off
	v_add_co_ci_u32_e64 v36, null, s13, v12, vcc_lo
	global_load_dwordx4 v[11:14], v[18:19], off
	v_add_nc_u32_e32 v22, 5, v79
	v_lshlrev_b64 v[15:16], 4, v[22:23]
	v_add_nc_u32_e32 v22, -1, v20
	s_waitcnt vmcnt(10)
	v_fma_f64 v[24:25], v[27:28], v[43:44], v[24:25]
	v_lshlrev_b64 v[17:18], 4, v[22:23]
	v_add_co_u32 v21, vcc_lo, s14, v15
	v_add_co_ci_u32_e64 v22, null, s15, v16, vcc_lo
	v_add_co_u32 v37, vcc_lo, s12, v17
	v_add_co_ci_u32_e64 v38, null, s13, v18, vcc_lo
	global_load_dwordx4 v[15:18], v[35:36], off
	v_fma_f64 v[35:36], v[29:30], v[43:44], v[87:88]
	v_fma_f64 v[24:25], -v[29:30], v[45:46], v[24:25]
	v_fma_f64 v[83:84], v[27:28], v[45:46], v[35:36]
	global_load_dwordx4 v[27:30], v[21:22], off
	global_load_dwordx4 v[35:38], v[37:38], off
	s_waitcnt vmcnt(12)
	v_fma_f64 v[21:22], v[47:48], v[43:44], v[39:40]
	v_fma_f64 v[39:40], v[49:50], v[43:44], v[41:42]
	v_fma_f64 v[85:86], -v[49:50], v[45:46], v[21:22]
	v_add_nc_u32_e32 v22, -7, v20
	v_fma_f64 v[87:88], v[47:48], v[45:46], v[39:40]
	global_load_dwordx4 v[39:42], v[81:82], off
	v_add_nc_u32_e32 v20, 0x1c0, v20
	v_lshlrev_b64 v[43:44], 4, v[22:23]
	v_add_nc_u32_e32 v22, 6, v79
	v_lshlrev_b64 v[21:22], 4, v[22:23]
	v_add_co_u32 v43, vcc_lo, s12, v43
	v_add_co_ci_u32_e64 v44, null, s13, v44, vcc_lo
	v_add_co_u32 v21, vcc_lo, s14, v21
	v_add_co_ci_u32_e64 v22, null, s15, v22, vcc_lo
	global_load_dwordx4 v[43:46], v[43:44], off
	global_load_dwordx4 v[47:50], v[21:22], off
	s_waitcnt vmcnt(13)
	v_fma_f64 v[21:22], v[51:52], v[55:56], v[24:25]
	v_fma_f64 v[24:25], v[53:54], v[55:56], v[83:84]
	s_waitcnt vmcnt(12)
	v_fma_f64 v[79:80], v[59:60], v[55:56], v[85:86]
	v_fma_f64 v[55:56], v[61:62], v[55:56], v[87:88]
	v_cmp_ge_i32_e32 vcc_lo, v10, v26
	s_or_b32 s3, vcc_lo, s3
	v_fma_f64 v[21:22], -v[53:54], v[57:58], v[21:22]
	v_fma_f64 v[24:25], v[51:52], v[57:58], v[24:25]
	v_fma_f64 v[51:52], -v[61:62], v[57:58], v[79:80]
	v_fma_f64 v[53:54], v[59:60], v[57:58], v[55:56]
	s_waitcnt vmcnt(10)
	v_fma_f64 v[21:22], v[63:64], v[67:68], v[21:22]
	v_fma_f64 v[24:25], v[65:66], v[67:68], v[24:25]
	s_waitcnt vmcnt(9)
	v_fma_f64 v[51:52], v[71:72], v[67:68], v[51:52]
	v_fma_f64 v[53:54], v[73:74], v[67:68], v[53:54]
	v_fma_f64 v[21:22], -v[65:66], v[69:70], v[21:22]
	v_fma_f64 v[24:25], v[63:64], v[69:70], v[24:25]
	v_fma_f64 v[51:52], -v[73:74], v[69:70], v[51:52]
	v_fma_f64 v[53:54], v[71:72], v[69:70], v[53:54]
	s_waitcnt vmcnt(7)
	v_fma_f64 v[21:22], v[75:76], v[31:32], v[21:22]
	v_fma_f64 v[24:25], v[77:78], v[31:32], v[24:25]
	s_waitcnt vmcnt(6)
	v_fma_f64 v[51:52], v[11:12], v[31:32], v[51:52]
	v_fma_f64 v[31:32], v[13:14], v[31:32], v[53:54]
	;; [unrolled: 10-line block ×3, first 2 shown]
	v_fma_f64 v[17:18], -v[17:18], v[29:30], v[21:22]
	v_fma_f64 v[15:16], v[15:16], v[29:30], v[24:25]
	v_fma_f64 v[13:14], -v[37:38], v[29:30], v[13:14]
	v_fma_f64 v[11:12], v[35:36], v[29:30], v[11:12]
	s_waitcnt vmcnt(0)
	v_fma_f64 v[17:18], v[43:44], v[47:48], v[17:18]
	v_fma_f64 v[15:16], v[45:46], v[47:48], v[15:16]
	;; [unrolled: 1-line block ×4, first 2 shown]
	v_fma_f64 v[18:19], -v[45:46], v[49:50], v[17:18]
	v_fma_f64 v[12:13], v[43:44], v[49:50], v[15:16]
	v_fma_f64 v[14:15], -v[41:42], v[49:50], v[21:22]
	v_fma_f64 v[16:17], v[39:40], v[49:50], v[24:25]
	s_andn2_b32 exec_lo, exec_lo, s3
	s_cbranch_execnz .LBB256_13
; %bb.14:
	s_or_b32 exec_lo, exec_lo, s3
.LBB256_15:
	s_or_b32 exec_lo, exec_lo, s1
.LBB256_16:
	v_mbcnt_lo_u32_b32 v26, -1, 0
	v_xor_b32_e32 v10, 16, v26
	v_cmp_gt_i32_e32 vcc_lo, 32, v10
	v_cndmask_b32_e32 v10, v26, v10, vcc_lo
	v_lshlrev_b32_e32 v25, 2, v10
	ds_bpermute_b32 v10, v25, v18
	ds_bpermute_b32 v11, v25, v19
	;; [unrolled: 1-line block ×8, first 2 shown]
	s_waitcnt lgkmcnt(6)
	v_add_f64 v[10:11], v[18:19], v[10:11]
	v_xor_b32_e32 v18, 8, v26
	s_waitcnt lgkmcnt(4)
	v_add_f64 v[12:13], v[12:13], v[20:21]
	s_waitcnt lgkmcnt(2)
	v_add_f64 v[14:15], v[14:15], v[22:23]
	;; [unrolled: 2-line block ×3, first 2 shown]
	v_cmp_gt_i32_e32 vcc_lo, 32, v18
	v_cndmask_b32_e32 v18, v26, v18, vcc_lo
	v_lshlrev_b32_e32 v25, 2, v18
	ds_bpermute_b32 v18, v25, v10
	ds_bpermute_b32 v19, v25, v11
	;; [unrolled: 1-line block ×8, first 2 shown]
	s_waitcnt lgkmcnt(6)
	v_add_f64 v[10:11], v[10:11], v[18:19]
	v_xor_b32_e32 v18, 4, v26
	s_waitcnt lgkmcnt(4)
	v_add_f64 v[12:13], v[12:13], v[20:21]
	s_waitcnt lgkmcnt(2)
	v_add_f64 v[14:15], v[14:15], v[22:23]
	;; [unrolled: 2-line block ×3, first 2 shown]
	v_cmp_gt_i32_e32 vcc_lo, 32, v18
	v_cndmask_b32_e32 v18, v26, v18, vcc_lo
	v_lshlrev_b32_e32 v25, 2, v18
	ds_bpermute_b32 v18, v25, v10
	ds_bpermute_b32 v19, v25, v11
	;; [unrolled: 1-line block ×8, first 2 shown]
	s_waitcnt lgkmcnt(6)
	v_add_f64 v[10:11], v[10:11], v[18:19]
	s_waitcnt lgkmcnt(4)
	v_add_f64 v[12:13], v[12:13], v[20:21]
	;; [unrolled: 2-line block ×4, first 2 shown]
	v_xor_b32_e32 v16, 2, v26
	v_cmp_gt_i32_e32 vcc_lo, 32, v16
	v_cndmask_b32_e32 v16, v26, v16, vcc_lo
	v_lshlrev_b32_e32 v25, 2, v16
	ds_bpermute_b32 v16, v25, v10
	ds_bpermute_b32 v17, v25, v11
	;; [unrolled: 1-line block ×8, first 2 shown]
	s_waitcnt lgkmcnt(6)
	v_add_f64 v[10:11], v[10:11], v[16:17]
	s_waitcnt lgkmcnt(4)
	v_add_f64 v[16:17], v[12:13], v[20:21]
	;; [unrolled: 2-line block ×4, first 2 shown]
	v_xor_b32_e32 v18, 1, v26
	v_cmp_gt_i32_e32 vcc_lo, 32, v18
	v_cndmask_b32_e32 v18, v26, v18, vcc_lo
	v_cmp_eq_u32_e32 vcc_lo, 31, v0
	v_lshlrev_b32_e32 v21, 2, v18
	ds_bpermute_b32 v24, v21, v10
	ds_bpermute_b32 v25, v21, v11
	;; [unrolled: 1-line block ×8, first 2 shown]
	s_and_b32 exec_lo, exec_lo, vcc_lo
	s_cbranch_execz .LBB256_21
; %bb.17:
	v_cmp_eq_f64_e32 vcc_lo, 0, v[5:6]
	v_cmp_eq_f64_e64 s0, 0, v[7:8]
	s_waitcnt lgkmcnt(6)
	v_add_f64 v[10:11], v[10:11], v[24:25]
	s_waitcnt lgkmcnt(4)
	v_add_f64 v[16:17], v[16:17], v[22:23]
	;; [unrolled: 2-line block ×4, first 2 shown]
	s_load_dwordx2 s[2:3], s[4:5], 0x48
	s_and_b32 s0, vcc_lo, s0
	s_and_saveexec_b32 s1, s0
	s_xor_b32 s0, exec_lo, s1
	s_cbranch_execz .LBB256_19
; %bb.18:
	v_mul_f64 v[5:6], v[16:17], -v[3:4]
	v_mul_f64 v[7:8], v[1:2], v[16:17]
	v_mul_f64 v[16:17], v[14:15], -v[3:4]
	v_mul_f64 v[14:15], v[1:2], v[14:15]
	v_lshlrev_b32_e32 v9, 1, v9
	v_fma_f64 v[5:6], v[1:2], v[10:11], v[5:6]
	v_fma_f64 v[7:8], v[3:4], v[10:11], v[7:8]
	;; [unrolled: 1-line block ×4, first 2 shown]
	v_ashrrev_i32_e32 v10, 31, v9
                                        ; implicit-def: $vgpr16_vgpr17
                                        ; implicit-def: $vgpr12_vgpr13
                                        ; implicit-def: $vgpr14_vgpr15
	v_lshlrev_b64 v[9:10], 4, v[9:10]
	s_waitcnt lgkmcnt(0)
	v_add_co_u32 v9, vcc_lo, s2, v9
	v_add_co_ci_u32_e64 v10, null, s3, v10, vcc_lo
	global_store_dwordx4 v[9:10], v[5:8], off
	global_store_dwordx4 v[9:10], v[0:3], off offset:16
                                        ; implicit-def: $vgpr9
                                        ; implicit-def: $vgpr10_vgpr11
                                        ; implicit-def: $vgpr7_vgpr8
                                        ; implicit-def: $vgpr3_vgpr4
.LBB256_19:
	s_andn2_saveexec_b32 s0, s0
	s_cbranch_execz .LBB256_21
; %bb.20:
	v_lshlrev_b32_e32 v18, 1, v9
	v_mul_f64 v[28:29], v[16:17], -v[3:4]
	v_mul_f64 v[16:17], v[1:2], v[16:17]
	v_mul_f64 v[30:31], v[14:15], -v[3:4]
	v_mul_f64 v[14:15], v[1:2], v[14:15]
	v_ashrrev_i32_e32 v19, 31, v18
	v_lshlrev_b64 v[18:19], 4, v[18:19]
	s_waitcnt lgkmcnt(0)
	v_add_co_u32 v26, vcc_lo, s2, v18
	v_add_co_ci_u32_e64 v27, null, s3, v19, vcc_lo
	s_clause 0x1
	global_load_dwordx4 v[18:21], v[26:27], off
	global_load_dwordx4 v[22:25], v[26:27], off offset:16
	v_fma_f64 v[28:29], v[1:2], v[10:11], v[28:29]
	v_fma_f64 v[9:10], v[3:4], v[10:11], v[16:17]
	;; [unrolled: 1-line block ×4, first 2 shown]
	s_waitcnt vmcnt(1)
	v_fma_f64 v[11:12], v[5:6], v[18:19], v[28:29]
	v_fma_f64 v[9:10], v[7:8], v[18:19], v[9:10]
	s_waitcnt vmcnt(0)
	v_fma_f64 v[13:14], v[5:6], v[22:23], v[0:1]
	v_fma_f64 v[15:16], v[7:8], v[22:23], v[2:3]
	v_fma_f64 v[0:1], -v[7:8], v[20:21], v[11:12]
	v_fma_f64 v[2:3], v[5:6], v[20:21], v[9:10]
	v_fma_f64 v[7:8], -v[7:8], v[24:25], v[13:14]
	v_fma_f64 v[9:10], v[5:6], v[24:25], v[15:16]
	global_store_dwordx4 v[26:27], v[0:3], off
	global_store_dwordx4 v[26:27], v[7:10], off offset:16
.LBB256_21:
	s_endpgm
	.section	.rodata,"a",@progbits
	.p2align	6, 0x0
	.amdhsa_kernel _ZN9rocsparseL19gebsrmvn_2xn_kernelILj128ELj7ELj32E21rocsparse_complex_numIdEEEvi20rocsparse_direction_NS_24const_host_device_scalarIT2_EEPKiS8_PKS5_SA_S6_PS5_21rocsparse_index_base_b
		.amdhsa_group_segment_fixed_size 0
		.amdhsa_private_segment_fixed_size 0
		.amdhsa_kernarg_size 88
		.amdhsa_user_sgpr_count 6
		.amdhsa_user_sgpr_private_segment_buffer 1
		.amdhsa_user_sgpr_dispatch_ptr 0
		.amdhsa_user_sgpr_queue_ptr 0
		.amdhsa_user_sgpr_kernarg_segment_ptr 1
		.amdhsa_user_sgpr_dispatch_id 0
		.amdhsa_user_sgpr_flat_scratch_init 0
		.amdhsa_user_sgpr_private_segment_size 0
		.amdhsa_wavefront_size32 1
		.amdhsa_uses_dynamic_stack 0
		.amdhsa_system_sgpr_private_segment_wavefront_offset 0
		.amdhsa_system_sgpr_workgroup_id_x 1
		.amdhsa_system_sgpr_workgroup_id_y 0
		.amdhsa_system_sgpr_workgroup_id_z 0
		.amdhsa_system_sgpr_workgroup_info 0
		.amdhsa_system_vgpr_workitem_id 0
		.amdhsa_next_free_vgpr 103
		.amdhsa_next_free_sgpr 16
		.amdhsa_reserve_vcc 1
		.amdhsa_reserve_flat_scratch 0
		.amdhsa_float_round_mode_32 0
		.amdhsa_float_round_mode_16_64 0
		.amdhsa_float_denorm_mode_32 3
		.amdhsa_float_denorm_mode_16_64 3
		.amdhsa_dx10_clamp 1
		.amdhsa_ieee_mode 1
		.amdhsa_fp16_overflow 0
		.amdhsa_workgroup_processor_mode 1
		.amdhsa_memory_ordered 1
		.amdhsa_forward_progress 1
		.amdhsa_shared_vgpr_count 0
		.amdhsa_exception_fp_ieee_invalid_op 0
		.amdhsa_exception_fp_denorm_src 0
		.amdhsa_exception_fp_ieee_div_zero 0
		.amdhsa_exception_fp_ieee_overflow 0
		.amdhsa_exception_fp_ieee_underflow 0
		.amdhsa_exception_fp_ieee_inexact 0
		.amdhsa_exception_int_div_zero 0
	.end_amdhsa_kernel
	.section	.text._ZN9rocsparseL19gebsrmvn_2xn_kernelILj128ELj7ELj32E21rocsparse_complex_numIdEEEvi20rocsparse_direction_NS_24const_host_device_scalarIT2_EEPKiS8_PKS5_SA_S6_PS5_21rocsparse_index_base_b,"axG",@progbits,_ZN9rocsparseL19gebsrmvn_2xn_kernelILj128ELj7ELj32E21rocsparse_complex_numIdEEEvi20rocsparse_direction_NS_24const_host_device_scalarIT2_EEPKiS8_PKS5_SA_S6_PS5_21rocsparse_index_base_b,comdat
.Lfunc_end256:
	.size	_ZN9rocsparseL19gebsrmvn_2xn_kernelILj128ELj7ELj32E21rocsparse_complex_numIdEEEvi20rocsparse_direction_NS_24const_host_device_scalarIT2_EEPKiS8_PKS5_SA_S6_PS5_21rocsparse_index_base_b, .Lfunc_end256-_ZN9rocsparseL19gebsrmvn_2xn_kernelILj128ELj7ELj32E21rocsparse_complex_numIdEEEvi20rocsparse_direction_NS_24const_host_device_scalarIT2_EEPKiS8_PKS5_SA_S6_PS5_21rocsparse_index_base_b
                                        ; -- End function
	.set _ZN9rocsparseL19gebsrmvn_2xn_kernelILj128ELj7ELj32E21rocsparse_complex_numIdEEEvi20rocsparse_direction_NS_24const_host_device_scalarIT2_EEPKiS8_PKS5_SA_S6_PS5_21rocsparse_index_base_b.num_vgpr, 103
	.set _ZN9rocsparseL19gebsrmvn_2xn_kernelILj128ELj7ELj32E21rocsparse_complex_numIdEEEvi20rocsparse_direction_NS_24const_host_device_scalarIT2_EEPKiS8_PKS5_SA_S6_PS5_21rocsparse_index_base_b.num_agpr, 0
	.set _ZN9rocsparseL19gebsrmvn_2xn_kernelILj128ELj7ELj32E21rocsparse_complex_numIdEEEvi20rocsparse_direction_NS_24const_host_device_scalarIT2_EEPKiS8_PKS5_SA_S6_PS5_21rocsparse_index_base_b.numbered_sgpr, 16
	.set _ZN9rocsparseL19gebsrmvn_2xn_kernelILj128ELj7ELj32E21rocsparse_complex_numIdEEEvi20rocsparse_direction_NS_24const_host_device_scalarIT2_EEPKiS8_PKS5_SA_S6_PS5_21rocsparse_index_base_b.num_named_barrier, 0
	.set _ZN9rocsparseL19gebsrmvn_2xn_kernelILj128ELj7ELj32E21rocsparse_complex_numIdEEEvi20rocsparse_direction_NS_24const_host_device_scalarIT2_EEPKiS8_PKS5_SA_S6_PS5_21rocsparse_index_base_b.private_seg_size, 0
	.set _ZN9rocsparseL19gebsrmvn_2xn_kernelILj128ELj7ELj32E21rocsparse_complex_numIdEEEvi20rocsparse_direction_NS_24const_host_device_scalarIT2_EEPKiS8_PKS5_SA_S6_PS5_21rocsparse_index_base_b.uses_vcc, 1
	.set _ZN9rocsparseL19gebsrmvn_2xn_kernelILj128ELj7ELj32E21rocsparse_complex_numIdEEEvi20rocsparse_direction_NS_24const_host_device_scalarIT2_EEPKiS8_PKS5_SA_S6_PS5_21rocsparse_index_base_b.uses_flat_scratch, 0
	.set _ZN9rocsparseL19gebsrmvn_2xn_kernelILj128ELj7ELj32E21rocsparse_complex_numIdEEEvi20rocsparse_direction_NS_24const_host_device_scalarIT2_EEPKiS8_PKS5_SA_S6_PS5_21rocsparse_index_base_b.has_dyn_sized_stack, 0
	.set _ZN9rocsparseL19gebsrmvn_2xn_kernelILj128ELj7ELj32E21rocsparse_complex_numIdEEEvi20rocsparse_direction_NS_24const_host_device_scalarIT2_EEPKiS8_PKS5_SA_S6_PS5_21rocsparse_index_base_b.has_recursion, 0
	.set _ZN9rocsparseL19gebsrmvn_2xn_kernelILj128ELj7ELj32E21rocsparse_complex_numIdEEEvi20rocsparse_direction_NS_24const_host_device_scalarIT2_EEPKiS8_PKS5_SA_S6_PS5_21rocsparse_index_base_b.has_indirect_call, 0
	.section	.AMDGPU.csdata,"",@progbits
; Kernel info:
; codeLenInByte = 3972
; TotalNumSgprs: 18
; NumVgprs: 103
; ScratchSize: 0
; MemoryBound: 0
; FloatMode: 240
; IeeeMode: 1
; LDSByteSize: 0 bytes/workgroup (compile time only)
; SGPRBlocks: 0
; VGPRBlocks: 12
; NumSGPRsForWavesPerEU: 18
; NumVGPRsForWavesPerEU: 103
; Occupancy: 9
; WaveLimiterHint : 1
; COMPUTE_PGM_RSRC2:SCRATCH_EN: 0
; COMPUTE_PGM_RSRC2:USER_SGPR: 6
; COMPUTE_PGM_RSRC2:TRAP_HANDLER: 0
; COMPUTE_PGM_RSRC2:TGID_X_EN: 1
; COMPUTE_PGM_RSRC2:TGID_Y_EN: 0
; COMPUTE_PGM_RSRC2:TGID_Z_EN: 0
; COMPUTE_PGM_RSRC2:TIDIG_COMP_CNT: 0
	.section	.text._ZN9rocsparseL19gebsrmvn_2xn_kernelILj128ELj7ELj64E21rocsparse_complex_numIdEEEvi20rocsparse_direction_NS_24const_host_device_scalarIT2_EEPKiS8_PKS5_SA_S6_PS5_21rocsparse_index_base_b,"axG",@progbits,_ZN9rocsparseL19gebsrmvn_2xn_kernelILj128ELj7ELj64E21rocsparse_complex_numIdEEEvi20rocsparse_direction_NS_24const_host_device_scalarIT2_EEPKiS8_PKS5_SA_S6_PS5_21rocsparse_index_base_b,comdat
	.globl	_ZN9rocsparseL19gebsrmvn_2xn_kernelILj128ELj7ELj64E21rocsparse_complex_numIdEEEvi20rocsparse_direction_NS_24const_host_device_scalarIT2_EEPKiS8_PKS5_SA_S6_PS5_21rocsparse_index_base_b ; -- Begin function _ZN9rocsparseL19gebsrmvn_2xn_kernelILj128ELj7ELj64E21rocsparse_complex_numIdEEEvi20rocsparse_direction_NS_24const_host_device_scalarIT2_EEPKiS8_PKS5_SA_S6_PS5_21rocsparse_index_base_b
	.p2align	8
	.type	_ZN9rocsparseL19gebsrmvn_2xn_kernelILj128ELj7ELj64E21rocsparse_complex_numIdEEEvi20rocsparse_direction_NS_24const_host_device_scalarIT2_EEPKiS8_PKS5_SA_S6_PS5_21rocsparse_index_base_b,@function
_ZN9rocsparseL19gebsrmvn_2xn_kernelILj128ELj7ELj64E21rocsparse_complex_numIdEEEvi20rocsparse_direction_NS_24const_host_device_scalarIT2_EEPKiS8_PKS5_SA_S6_PS5_21rocsparse_index_base_b: ; @_ZN9rocsparseL19gebsrmvn_2xn_kernelILj128ELj7ELj64E21rocsparse_complex_numIdEEEvi20rocsparse_direction_NS_24const_host_device_scalarIT2_EEPKiS8_PKS5_SA_S6_PS5_21rocsparse_index_base_b
; %bb.0:
	s_clause 0x1
	s_load_dwordx2 s[2:3], s[4:5], 0x50
	s_load_dwordx2 s[0:1], s[4:5], 0x8
	s_add_u32 s7, s4, 8
	s_addc_u32 s10, s5, 0
	s_add_u32 s11, s4, 56
	s_addc_u32 s12, s5, 0
	s_load_dwordx2 s[8:9], s[4:5], 0x38
	s_waitcnt lgkmcnt(0)
	s_bitcmp1_b32 s3, 0
	s_cselect_b32 s0, s7, s0
	s_cselect_b32 s1, s10, s1
	v_mov_b32_e32 v1, s0
	v_mov_b32_e32 v2, s1
	s_cselect_b32 s0, s11, s8
	s_cselect_b32 s1, s12, s9
	v_mov_b32_e32 v5, s0
	v_mov_b32_e32 v6, s1
	flat_load_dwordx4 v[1:4], v[1:2]
	flat_load_dwordx4 v[5:8], v[5:6]
	s_waitcnt vmcnt(1) lgkmcnt(1)
	v_cmp_eq_f64_e32 vcc_lo, 0, v[1:2]
	v_cmp_eq_f64_e64 s0, 0, v[3:4]
	s_and_b32 s3, vcc_lo, s0
	s_mov_b32 s0, -1
	s_and_saveexec_b32 s1, s3
	s_cbranch_execz .LBB257_2
; %bb.1:
	s_waitcnt vmcnt(0) lgkmcnt(0)
	v_cmp_neq_f64_e32 vcc_lo, 1.0, v[5:6]
	v_cmp_neq_f64_e64 s0, 0, v[7:8]
	s_or_b32 s0, vcc_lo, s0
	s_orn2_b32 s0, s0, exec_lo
.LBB257_2:
	s_or_b32 exec_lo, exec_lo, s1
	s_and_saveexec_b32 s1, s0
	s_cbranch_execz .LBB257_21
; %bb.3:
	s_load_dwordx2 s[0:1], s[4:5], 0x0
	v_lshrrev_b32_e32 v9, 6, v0
	v_lshl_or_b32 v9, s6, 1, v9
	s_waitcnt lgkmcnt(0)
	v_cmp_gt_i32_e32 vcc_lo, s0, v9
	s_and_b32 exec_lo, exec_lo, vcc_lo
	s_cbranch_execz .LBB257_21
; %bb.4:
	s_load_dwordx8 s[8:15], s[4:5], 0x18
	v_ashrrev_i32_e32 v10, 31, v9
	v_and_b32_e32 v0, 63, v0
	s_cmp_lg_u32 s1, 0
	v_lshlrev_b64 v[10:11], 2, v[9:10]
	s_waitcnt lgkmcnt(0)
	v_add_co_u32 v10, vcc_lo, s8, v10
	v_add_co_ci_u32_e64 v11, null, s9, v11, vcc_lo
	global_load_dwordx2 v[10:11], v[10:11], off
	s_waitcnt vmcnt(0)
	v_subrev_nc_u32_e32 v10, s2, v10
	v_subrev_nc_u32_e32 v26, s2, v11
	v_add_nc_u32_e32 v10, v10, v0
	v_cmp_lt_i32_e64 s0, v10, v26
	s_cbranch_scc0 .LBB257_10
; %bb.5:
	v_mov_b32_e32 v12, 0
	v_mov_b32_e32 v18, 0
	;; [unrolled: 1-line block ×8, first 2 shown]
	s_and_saveexec_b32 s1, s0
	s_cbranch_execz .LBB257_9
; %bb.6:
	v_mad_u64_u32 v[20:21], null, v10, 14, 12
	v_mov_b32_e32 v12, 0
	v_mov_b32_e32 v18, 0
	;; [unrolled: 1-line block ×10, first 2 shown]
	s_mov_b32 s3, 0
.LBB257_7:                              ; =>This Inner Loop Header: Depth=1
	v_ashrrev_i32_e32 v25, 31, v24
	v_mov_b32_e32 v88, v23
	v_lshlrev_b64 v[21:22], 2, v[24:25]
	v_add_nc_u32_e32 v24, 64, v24
	v_add_co_u32 v21, vcc_lo, s10, v21
	v_add_co_ci_u32_e64 v22, null, s11, v22, vcc_lo
	global_load_dword v11, v[21:22], off
	v_add_nc_u32_e32 v22, -12, v20
	v_lshlrev_b64 v[21:22], 4, v[22:23]
	v_add_co_u32 v21, vcc_lo, s12, v21
	v_add_co_ci_u32_e64 v22, null, s13, v22, vcc_lo
	s_clause 0x1
	global_load_dwordx4 v[27:30], v[21:22], off offset:16
	global_load_dwordx4 v[31:34], v[21:22], off
	s_waitcnt vmcnt(2)
	v_subrev_nc_u32_e32 v11, s2, v11
	v_mul_lo_u32 v87, v11, 7
	v_lshlrev_b64 v[21:22], 4, v[87:88]
	v_add_co_u32 v21, vcc_lo, s14, v21
	v_add_co_ci_u32_e64 v22, null, s15, v22, vcc_lo
	global_load_dwordx4 v[35:38], v[21:22], off
	v_add_nc_u32_e32 v22, -10, v20
	v_lshlrev_b64 v[21:22], 4, v[22:23]
	v_add_co_u32 v43, vcc_lo, s12, v21
	v_add_co_ci_u32_e64 v44, null, s13, v22, vcc_lo
	v_add_nc_u32_e32 v22, 1, v87
	global_load_dwordx4 v[39:42], v[43:44], off offset:16
	v_lshlrev_b64 v[21:22], 4, v[22:23]
	v_add_co_u32 v21, vcc_lo, s14, v21
	v_add_co_ci_u32_e64 v22, null, s15, v22, vcc_lo
	global_load_dwordx4 v[43:46], v[43:44], off
	global_load_dwordx4 v[47:50], v[21:22], off
	v_add_nc_u32_e32 v22, -8, v20
	v_lshlrev_b64 v[51:52], 4, v[22:23]
	v_add_nc_u32_e32 v22, 2, v87
	v_lshlrev_b64 v[21:22], 4, v[22:23]
	v_add_co_u32 v55, vcc_lo, s12, v51
	v_add_co_ci_u32_e64 v56, null, s13, v52, vcc_lo
	v_add_co_u32 v21, vcc_lo, s14, v21
	v_add_co_ci_u32_e64 v22, null, s15, v22, vcc_lo
	s_clause 0x1
	global_load_dwordx4 v[51:54], v[55:56], off offset:16
	global_load_dwordx4 v[55:58], v[55:56], off
	global_load_dwordx4 v[59:62], v[21:22], off
	v_add_nc_u32_e32 v22, -6, v20
	v_lshlrev_b64 v[63:64], 4, v[22:23]
	v_add_nc_u32_e32 v22, 3, v87
	v_lshlrev_b64 v[21:22], 4, v[22:23]
	v_add_co_u32 v67, vcc_lo, s12, v63
	v_add_co_ci_u32_e64 v68, null, s13, v64, vcc_lo
	v_add_co_u32 v21, vcc_lo, s14, v21
	v_add_co_ci_u32_e64 v22, null, s15, v22, vcc_lo
	s_clause 0x1
	global_load_dwordx4 v[63:66], v[67:68], off offset:16
	global_load_dwordx4 v[67:70], v[67:68], off
	global_load_dwordx4 v[71:74], v[21:22], off
	v_add_nc_u32_e32 v22, -4, v20
	v_mov_b32_e32 v21, v23
	v_lshlrev_b64 v[75:76], 4, v[22:23]
	v_add_nc_u32_e32 v22, 4, v87
	v_lshlrev_b64 v[77:78], 4, v[22:23]
	v_add_co_u32 v79, vcc_lo, s12, v75
	v_add_co_ci_u32_e64 v80, null, s13, v76, vcc_lo
	v_lshlrev_b64 v[21:22], 4, v[20:21]
	v_add_co_u32 v83, vcc_lo, s14, v77
	v_add_co_ci_u32_e64 v84, null, s15, v78, vcc_lo
	s_clause 0x1
	global_load_dwordx4 v[75:78], v[79:80], off offset:16
	global_load_dwordx4 v[79:82], v[79:80], off
	global_load_dwordx4 v[83:86], v[83:84], off
	v_add_co_u32 v99, vcc_lo, s12, v21
	v_add_co_ci_u32_e64 v100, null, s13, v22, vcc_lo
	v_add_nc_u32_e32 v22, -2, v20
	v_add_nc_u32_e32 v20, 0x380, v20
	v_lshlrev_b64 v[88:89], 4, v[22:23]
	v_add_nc_u32_e32 v22, 5, v87
	v_lshlrev_b64 v[90:91], 4, v[22:23]
	v_add_co_u32 v92, vcc_lo, s12, v88
	v_add_co_ci_u32_e64 v93, null, s13, v89, vcc_lo
	v_add_nc_u32_e32 v22, 6, v87
	v_add_co_u32 v95, vcc_lo, s14, v90
	v_add_co_ci_u32_e64 v96, null, s15, v91, vcc_lo
	s_clause 0x1
	global_load_dwordx4 v[87:90], v[92:93], off offset:16
	global_load_dwordx4 v[91:94], v[92:93], off
	v_lshlrev_b64 v[21:22], 4, v[22:23]
	global_load_dwordx4 v[95:98], v[95:96], off
	v_add_co_u32 v21, vcc_lo, s14, v21
	v_add_co_ci_u32_e64 v22, null, s15, v22, vcc_lo
	v_cmp_ge_i32_e32 vcc_lo, v24, v26
	s_or_b32 s3, vcc_lo, s3
	s_waitcnt vmcnt(15)
	v_fma_f64 v[11:12], v[33:34], v[35:36], v[12:13]
	v_fma_f64 v[18:19], v[31:32], v[35:36], v[18:19]
	;; [unrolled: 1-line block ×5, first 2 shown]
	v_fma_f64 v[18:19], -v[33:34], v[37:38], v[18:19]
	global_load_dwordx4 v[31:34], v[99:100], off offset:16
	v_fma_f64 v[15:16], -v[29:30], v[37:38], v[11:12]
	v_fma_f64 v[35:36], v[27:28], v[37:38], v[13:14]
	global_load_dwordx4 v[11:14], v[99:100], off
	global_load_dwordx4 v[27:30], v[21:22], off
	s_waitcnt vmcnt(15)
	v_fma_f64 v[17:18], v[43:44], v[47:48], v[18:19]
	v_fma_f64 v[21:22], v[45:46], v[47:48], v[101:102]
	v_fma_f64 v[15:16], v[39:40], v[47:48], v[15:16]
	v_fma_f64 v[35:36], v[41:42], v[47:48], v[35:36]
	v_fma_f64 v[17:18], -v[45:46], v[49:50], v[17:18]
	v_fma_f64 v[21:22], v[43:44], v[49:50], v[21:22]
	v_fma_f64 v[15:16], -v[41:42], v[49:50], v[15:16]
	v_fma_f64 v[35:36], v[39:40], v[49:50], v[35:36]
	s_waitcnt vmcnt(12)
	v_fma_f64 v[17:18], v[55:56], v[59:60], v[17:18]
	v_fma_f64 v[21:22], v[57:58], v[59:60], v[21:22]
	v_fma_f64 v[15:16], v[51:52], v[59:60], v[15:16]
	v_fma_f64 v[35:36], v[53:54], v[59:60], v[35:36]
	v_fma_f64 v[17:18], -v[57:58], v[61:62], v[17:18]
	v_fma_f64 v[21:22], v[55:56], v[61:62], v[21:22]
	v_fma_f64 v[15:16], -v[53:54], v[61:62], v[15:16]
	v_fma_f64 v[35:36], v[51:52], v[61:62], v[35:36]
	;; [unrolled: 9-line block ×6, first 2 shown]
	s_andn2_b32 exec_lo, exec_lo, s3
	s_cbranch_execnz .LBB257_7
; %bb.8:
	s_or_b32 exec_lo, exec_lo, s3
.LBB257_9:
	s_or_b32 exec_lo, exec_lo, s1
	s_cbranch_execz .LBB257_11
	s_branch .LBB257_16
.LBB257_10:
                                        ; implicit-def: $vgpr12_vgpr13
                                        ; implicit-def: $vgpr18_vgpr19
                                        ; implicit-def: $vgpr14_vgpr15
                                        ; implicit-def: $vgpr16_vgpr17
.LBB257_11:
	v_mov_b32_e32 v12, 0
	v_mov_b32_e32 v18, 0
	;; [unrolled: 1-line block ×8, first 2 shown]
	s_and_saveexec_b32 s1, s0
	s_cbranch_execz .LBB257_15
; %bb.12:
	v_mad_u64_u32 v[20:21], null, v10, 14, 13
	v_mov_b32_e32 v12, 0
	v_mov_b32_e32 v18, 0
	;; [unrolled: 1-line block ×9, first 2 shown]
	s_mov_b32 s3, 0
.LBB257_13:                             ; =>This Inner Loop Header: Depth=1
	v_ashrrev_i32_e32 v11, 31, v10
	v_add_nc_u32_e32 v24, -6, v20
	v_mov_b32_e32 v25, v23
	v_mov_b32_e32 v80, v23
	v_lshlrev_b64 v[21:22], 2, v[10:11]
	v_add_nc_u32_e32 v10, 64, v10
	v_lshlrev_b64 v[24:25], 4, v[24:25]
	v_add_co_u32 v21, vcc_lo, s10, v21
	v_add_co_ci_u32_e64 v22, null, s11, v22, vcc_lo
	global_load_dword v11, v[21:22], off
	v_add_nc_u32_e32 v22, -13, v20
	v_mov_b32_e32 v21, v23
	v_lshlrev_b64 v[27:28], 4, v[22:23]
	v_lshlrev_b64 v[50:51], 4, v[20:21]
	v_add_co_u32 v21, vcc_lo, s12, v27
	v_add_co_ci_u32_e64 v22, null, s13, v28, vcc_lo
	v_add_co_u32 v24, vcc_lo, s12, v24
	v_add_co_ci_u32_e64 v25, null, s13, v25, vcc_lo
	s_clause 0x2
	global_load_dwordx4 v[27:30], v[21:22], off offset:16
	global_load_dwordx4 v[31:34], v[21:22], off
	global_load_dwordx4 v[35:38], v[24:25], off
	v_add_co_u32 v81, vcc_lo, s12, v50
	v_add_co_ci_u32_e64 v82, null, s13, v51, vcc_lo
	s_waitcnt vmcnt(3)
	v_subrev_nc_u32_e32 v11, s2, v11
	v_mul_lo_u32 v79, v11, 7
	v_lshlrev_b64 v[24:25], 4, v[79:80]
	v_add_nc_u32_e32 v22, 1, v79
	v_lshlrev_b64 v[43:44], 4, v[22:23]
	v_add_co_u32 v24, s0, s14, v24
	v_add_co_ci_u32_e64 v25, null, s15, v25, s0
	v_add_nc_u32_e32 v22, -5, v20
	global_load_dwordx4 v[39:42], v[24:25], off
	v_add_co_u32 v24, s0, s14, v43
	v_add_co_ci_u32_e64 v25, null, s15, v44, s0
	v_lshlrev_b64 v[21:22], 4, v[22:23]
	global_load_dwordx4 v[43:46], v[24:25], off
	v_add_co_u32 v21, s0, s12, v21
	v_add_co_ci_u32_e64 v22, null, s13, v22, s0
	global_load_dwordx4 v[47:50], v[21:22], off
	v_add_nc_u32_e32 v22, -11, v20
	v_lshlrev_b64 v[24:25], 4, v[22:23]
	v_add_nc_u32_e32 v22, 2, v79
	v_lshlrev_b64 v[51:52], 4, v[22:23]
	v_add_nc_u32_e32 v22, -4, v20
	v_add_co_u32 v24, vcc_lo, s12, v24
	v_add_co_ci_u32_e64 v25, null, s13, v25, vcc_lo
	v_lshlrev_b64 v[59:60], 4, v[22:23]
	v_add_co_u32 v55, vcc_lo, s14, v51
	v_add_co_ci_u32_e64 v56, null, s15, v52, vcc_lo
	global_load_dwordx4 v[51:54], v[24:25], off
	v_add_co_u32 v59, vcc_lo, s12, v59
	v_add_co_ci_u32_e64 v60, null, s13, v60, vcc_lo
	global_load_dwordx4 v[55:58], v[55:56], off
	v_add_nc_u32_e32 v22, -10, v20
	global_load_dwordx4 v[59:62], v[59:60], off
	v_lshlrev_b64 v[24:25], 4, v[22:23]
	v_add_nc_u32_e32 v22, 3, v79
	v_lshlrev_b64 v[63:64], 4, v[22:23]
	v_add_nc_u32_e32 v22, -3, v20
	v_add_co_u32 v24, vcc_lo, s12, v24
	v_add_co_ci_u32_e64 v25, null, s13, v25, vcc_lo
	v_lshlrev_b64 v[71:72], 4, v[22:23]
	v_add_co_u32 v67, vcc_lo, s14, v63
	v_add_co_ci_u32_e64 v68, null, s15, v64, vcc_lo
	global_load_dwordx4 v[63:66], v[24:25], off
	v_add_co_u32 v71, vcc_lo, s12, v71
	v_add_co_ci_u32_e64 v72, null, s13, v72, vcc_lo
	global_load_dwordx4 v[67:70], v[67:68], off
	v_add_nc_u32_e32 v22, -9, v20
	global_load_dwordx4 v[71:74], v[71:72], off
	v_lshlrev_b64 v[24:25], 4, v[22:23]
	v_add_nc_u32_e32 v22, 4, v79
	v_lshlrev_b64 v[75:76], 4, v[22:23]
	v_add_nc_u32_e32 v22, -2, v20
	v_add_co_u32 v24, vcc_lo, s12, v24
	v_add_co_ci_u32_e64 v25, null, s13, v25, vcc_lo
	v_lshlrev_b64 v[83:84], 4, v[22:23]
	v_add_nc_u32_e32 v22, -8, v20
	v_add_co_u32 v85, vcc_lo, s14, v75
	v_add_co_ci_u32_e64 v86, null, s15, v76, vcc_lo
	global_load_dwordx4 v[75:78], v[24:25], off
	s_waitcnt vmcnt(9)
	v_fma_f64 v[11:12], v[33:34], v[39:40], v[12:13]
	v_fma_f64 v[18:19], v[31:32], v[39:40], v[18:19]
	;; [unrolled: 1-line block ×5, first 2 shown]
	v_lshlrev_b64 v[11:12], 4, v[22:23]
	v_fma_f64 v[24:25], -v[33:34], v[41:42], v[18:19]
	v_add_co_u32 v18, vcc_lo, s12, v83
	v_add_co_ci_u32_e64 v19, null, s13, v84, vcc_lo
	v_fma_f64 v[39:40], -v[37:38], v[41:42], v[13:14]
	v_fma_f64 v[41:42], v[35:36], v[41:42], v[15:16]
	v_add_co_u32 v35, vcc_lo, s12, v11
	global_load_dwordx4 v[31:34], v[85:86], off
	v_add_co_ci_u32_e64 v36, null, s13, v12, vcc_lo
	global_load_dwordx4 v[11:14], v[18:19], off
	v_add_nc_u32_e32 v22, 5, v79
	v_lshlrev_b64 v[15:16], 4, v[22:23]
	v_add_nc_u32_e32 v22, -1, v20
	s_waitcnt vmcnt(10)
	v_fma_f64 v[24:25], v[27:28], v[43:44], v[24:25]
	v_lshlrev_b64 v[17:18], 4, v[22:23]
	v_add_co_u32 v21, vcc_lo, s14, v15
	v_add_co_ci_u32_e64 v22, null, s15, v16, vcc_lo
	v_add_co_u32 v37, vcc_lo, s12, v17
	v_add_co_ci_u32_e64 v38, null, s13, v18, vcc_lo
	global_load_dwordx4 v[15:18], v[35:36], off
	v_fma_f64 v[35:36], v[29:30], v[43:44], v[87:88]
	v_fma_f64 v[24:25], -v[29:30], v[45:46], v[24:25]
	v_fma_f64 v[83:84], v[27:28], v[45:46], v[35:36]
	global_load_dwordx4 v[27:30], v[21:22], off
	global_load_dwordx4 v[35:38], v[37:38], off
	s_waitcnt vmcnt(12)
	v_fma_f64 v[21:22], v[47:48], v[43:44], v[39:40]
	v_fma_f64 v[39:40], v[49:50], v[43:44], v[41:42]
	v_fma_f64 v[85:86], -v[49:50], v[45:46], v[21:22]
	v_add_nc_u32_e32 v22, -7, v20
	v_fma_f64 v[87:88], v[47:48], v[45:46], v[39:40]
	global_load_dwordx4 v[39:42], v[81:82], off
	v_add_nc_u32_e32 v20, 0x380, v20
	v_lshlrev_b64 v[43:44], 4, v[22:23]
	v_add_nc_u32_e32 v22, 6, v79
	v_lshlrev_b64 v[21:22], 4, v[22:23]
	v_add_co_u32 v43, vcc_lo, s12, v43
	v_add_co_ci_u32_e64 v44, null, s13, v44, vcc_lo
	v_add_co_u32 v21, vcc_lo, s14, v21
	v_add_co_ci_u32_e64 v22, null, s15, v22, vcc_lo
	global_load_dwordx4 v[43:46], v[43:44], off
	global_load_dwordx4 v[47:50], v[21:22], off
	s_waitcnt vmcnt(13)
	v_fma_f64 v[21:22], v[51:52], v[55:56], v[24:25]
	v_fma_f64 v[24:25], v[53:54], v[55:56], v[83:84]
	s_waitcnt vmcnt(12)
	v_fma_f64 v[79:80], v[59:60], v[55:56], v[85:86]
	v_fma_f64 v[55:56], v[61:62], v[55:56], v[87:88]
	v_cmp_ge_i32_e32 vcc_lo, v10, v26
	s_or_b32 s3, vcc_lo, s3
	v_fma_f64 v[21:22], -v[53:54], v[57:58], v[21:22]
	v_fma_f64 v[24:25], v[51:52], v[57:58], v[24:25]
	v_fma_f64 v[51:52], -v[61:62], v[57:58], v[79:80]
	v_fma_f64 v[53:54], v[59:60], v[57:58], v[55:56]
	s_waitcnt vmcnt(10)
	v_fma_f64 v[21:22], v[63:64], v[67:68], v[21:22]
	v_fma_f64 v[24:25], v[65:66], v[67:68], v[24:25]
	s_waitcnt vmcnt(9)
	v_fma_f64 v[51:52], v[71:72], v[67:68], v[51:52]
	v_fma_f64 v[53:54], v[73:74], v[67:68], v[53:54]
	v_fma_f64 v[21:22], -v[65:66], v[69:70], v[21:22]
	v_fma_f64 v[24:25], v[63:64], v[69:70], v[24:25]
	v_fma_f64 v[51:52], -v[73:74], v[69:70], v[51:52]
	v_fma_f64 v[53:54], v[71:72], v[69:70], v[53:54]
	s_waitcnt vmcnt(7)
	v_fma_f64 v[21:22], v[75:76], v[31:32], v[21:22]
	v_fma_f64 v[24:25], v[77:78], v[31:32], v[24:25]
	s_waitcnt vmcnt(6)
	v_fma_f64 v[51:52], v[11:12], v[31:32], v[51:52]
	v_fma_f64 v[31:32], v[13:14], v[31:32], v[53:54]
	;; [unrolled: 10-line block ×3, first 2 shown]
	v_fma_f64 v[17:18], -v[17:18], v[29:30], v[21:22]
	v_fma_f64 v[15:16], v[15:16], v[29:30], v[24:25]
	v_fma_f64 v[13:14], -v[37:38], v[29:30], v[13:14]
	v_fma_f64 v[11:12], v[35:36], v[29:30], v[11:12]
	s_waitcnt vmcnt(0)
	v_fma_f64 v[17:18], v[43:44], v[47:48], v[17:18]
	v_fma_f64 v[15:16], v[45:46], v[47:48], v[15:16]
	v_fma_f64 v[21:22], v[39:40], v[47:48], v[13:14]
	v_fma_f64 v[24:25], v[41:42], v[47:48], v[11:12]
	v_fma_f64 v[18:19], -v[45:46], v[49:50], v[17:18]
	v_fma_f64 v[12:13], v[43:44], v[49:50], v[15:16]
	v_fma_f64 v[14:15], -v[41:42], v[49:50], v[21:22]
	v_fma_f64 v[16:17], v[39:40], v[49:50], v[24:25]
	s_andn2_b32 exec_lo, exec_lo, s3
	s_cbranch_execnz .LBB257_13
; %bb.14:
	s_or_b32 exec_lo, exec_lo, s3
.LBB257_15:
	s_or_b32 exec_lo, exec_lo, s1
.LBB257_16:
	v_mbcnt_lo_u32_b32 v26, -1, 0
	v_or_b32_e32 v10, 32, v26
	v_cmp_gt_i32_e32 vcc_lo, 32, v10
	v_cndmask_b32_e32 v10, v26, v10, vcc_lo
	v_lshlrev_b32_e32 v25, 2, v10
	ds_bpermute_b32 v10, v25, v18
	ds_bpermute_b32 v11, v25, v19
	ds_bpermute_b32 v20, v25, v12
	ds_bpermute_b32 v21, v25, v13
	ds_bpermute_b32 v22, v25, v14
	ds_bpermute_b32 v23, v25, v15
	ds_bpermute_b32 v24, v25, v16
	ds_bpermute_b32 v25, v25, v17
	s_waitcnt lgkmcnt(6)
	v_add_f64 v[10:11], v[18:19], v[10:11]
	v_xor_b32_e32 v18, 16, v26
	s_waitcnt lgkmcnt(4)
	v_add_f64 v[12:13], v[12:13], v[20:21]
	s_waitcnt lgkmcnt(2)
	v_add_f64 v[14:15], v[14:15], v[22:23]
	s_waitcnt lgkmcnt(0)
	v_add_f64 v[16:17], v[16:17], v[24:25]
	v_cmp_gt_i32_e32 vcc_lo, 32, v18
	v_cndmask_b32_e32 v18, v26, v18, vcc_lo
	v_lshlrev_b32_e32 v25, 2, v18
	ds_bpermute_b32 v18, v25, v10
	ds_bpermute_b32 v19, v25, v11
	ds_bpermute_b32 v20, v25, v12
	ds_bpermute_b32 v21, v25, v13
	ds_bpermute_b32 v22, v25, v14
	ds_bpermute_b32 v23, v25, v15
	ds_bpermute_b32 v24, v25, v16
	ds_bpermute_b32 v25, v25, v17
	s_waitcnt lgkmcnt(6)
	v_add_f64 v[10:11], v[10:11], v[18:19]
	v_xor_b32_e32 v18, 8, v26
	s_waitcnt lgkmcnt(4)
	v_add_f64 v[12:13], v[12:13], v[20:21]
	s_waitcnt lgkmcnt(2)
	v_add_f64 v[14:15], v[14:15], v[22:23]
	s_waitcnt lgkmcnt(0)
	v_add_f64 v[16:17], v[16:17], v[24:25]
	;; [unrolled: 20-line block ×3, first 2 shown]
	v_cmp_gt_i32_e32 vcc_lo, 32, v18
	v_cndmask_b32_e32 v18, v26, v18, vcc_lo
	v_lshlrev_b32_e32 v25, 2, v18
	ds_bpermute_b32 v18, v25, v10
	ds_bpermute_b32 v19, v25, v11
	;; [unrolled: 1-line block ×8, first 2 shown]
	s_waitcnt lgkmcnt(6)
	v_add_f64 v[10:11], v[10:11], v[18:19]
	s_waitcnt lgkmcnt(4)
	v_add_f64 v[12:13], v[12:13], v[20:21]
	;; [unrolled: 2-line block ×4, first 2 shown]
	v_xor_b32_e32 v16, 2, v26
	v_cmp_gt_i32_e32 vcc_lo, 32, v16
	v_cndmask_b32_e32 v16, v26, v16, vcc_lo
	v_lshlrev_b32_e32 v25, 2, v16
	ds_bpermute_b32 v16, v25, v10
	ds_bpermute_b32 v17, v25, v11
	ds_bpermute_b32 v20, v25, v12
	ds_bpermute_b32 v21, v25, v13
	ds_bpermute_b32 v22, v25, v14
	ds_bpermute_b32 v23, v25, v15
	ds_bpermute_b32 v24, v25, v18
	ds_bpermute_b32 v25, v25, v19
	s_waitcnt lgkmcnt(6)
	v_add_f64 v[10:11], v[10:11], v[16:17]
	s_waitcnt lgkmcnt(4)
	v_add_f64 v[16:17], v[12:13], v[20:21]
	;; [unrolled: 2-line block ×4, first 2 shown]
	v_xor_b32_e32 v18, 1, v26
	v_cmp_gt_i32_e32 vcc_lo, 32, v18
	v_cndmask_b32_e32 v18, v26, v18, vcc_lo
	v_cmp_eq_u32_e32 vcc_lo, 63, v0
	v_lshlrev_b32_e32 v21, 2, v18
	ds_bpermute_b32 v24, v21, v10
	ds_bpermute_b32 v25, v21, v11
	;; [unrolled: 1-line block ×8, first 2 shown]
	s_and_b32 exec_lo, exec_lo, vcc_lo
	s_cbranch_execz .LBB257_21
; %bb.17:
	v_cmp_eq_f64_e32 vcc_lo, 0, v[5:6]
	v_cmp_eq_f64_e64 s0, 0, v[7:8]
	s_waitcnt lgkmcnt(6)
	v_add_f64 v[10:11], v[10:11], v[24:25]
	s_waitcnt lgkmcnt(4)
	v_add_f64 v[16:17], v[16:17], v[22:23]
	s_waitcnt lgkmcnt(2)
	v_add_f64 v[12:13], v[12:13], v[18:19]
	s_waitcnt lgkmcnt(0)
	v_add_f64 v[14:15], v[14:15], v[20:21]
	s_load_dwordx2 s[2:3], s[4:5], 0x48
	s_and_b32 s0, vcc_lo, s0
	s_and_saveexec_b32 s1, s0
	s_xor_b32 s0, exec_lo, s1
	s_cbranch_execz .LBB257_19
; %bb.18:
	v_mul_f64 v[5:6], v[16:17], -v[3:4]
	v_mul_f64 v[7:8], v[1:2], v[16:17]
	v_mul_f64 v[16:17], v[14:15], -v[3:4]
	v_mul_f64 v[14:15], v[1:2], v[14:15]
	v_lshlrev_b32_e32 v9, 1, v9
	v_fma_f64 v[5:6], v[1:2], v[10:11], v[5:6]
	v_fma_f64 v[7:8], v[3:4], v[10:11], v[7:8]
	;; [unrolled: 1-line block ×4, first 2 shown]
	v_ashrrev_i32_e32 v10, 31, v9
                                        ; implicit-def: $vgpr16_vgpr17
                                        ; implicit-def: $vgpr12_vgpr13
                                        ; implicit-def: $vgpr14_vgpr15
	v_lshlrev_b64 v[9:10], 4, v[9:10]
	s_waitcnt lgkmcnt(0)
	v_add_co_u32 v9, vcc_lo, s2, v9
	v_add_co_ci_u32_e64 v10, null, s3, v10, vcc_lo
	global_store_dwordx4 v[9:10], v[5:8], off
	global_store_dwordx4 v[9:10], v[0:3], off offset:16
                                        ; implicit-def: $vgpr9
                                        ; implicit-def: $vgpr10_vgpr11
                                        ; implicit-def: $vgpr7_vgpr8
                                        ; implicit-def: $vgpr3_vgpr4
.LBB257_19:
	s_andn2_saveexec_b32 s0, s0
	s_cbranch_execz .LBB257_21
; %bb.20:
	v_lshlrev_b32_e32 v18, 1, v9
	v_mul_f64 v[28:29], v[16:17], -v[3:4]
	v_mul_f64 v[16:17], v[1:2], v[16:17]
	v_mul_f64 v[30:31], v[14:15], -v[3:4]
	v_mul_f64 v[14:15], v[1:2], v[14:15]
	v_ashrrev_i32_e32 v19, 31, v18
	v_lshlrev_b64 v[18:19], 4, v[18:19]
	s_waitcnt lgkmcnt(0)
	v_add_co_u32 v26, vcc_lo, s2, v18
	v_add_co_ci_u32_e64 v27, null, s3, v19, vcc_lo
	s_clause 0x1
	global_load_dwordx4 v[18:21], v[26:27], off
	global_load_dwordx4 v[22:25], v[26:27], off offset:16
	v_fma_f64 v[28:29], v[1:2], v[10:11], v[28:29]
	v_fma_f64 v[9:10], v[3:4], v[10:11], v[16:17]
	;; [unrolled: 1-line block ×4, first 2 shown]
	s_waitcnt vmcnt(1)
	v_fma_f64 v[11:12], v[5:6], v[18:19], v[28:29]
	v_fma_f64 v[9:10], v[7:8], v[18:19], v[9:10]
	s_waitcnt vmcnt(0)
	v_fma_f64 v[13:14], v[5:6], v[22:23], v[0:1]
	v_fma_f64 v[15:16], v[7:8], v[22:23], v[2:3]
	v_fma_f64 v[0:1], -v[7:8], v[20:21], v[11:12]
	v_fma_f64 v[2:3], v[5:6], v[20:21], v[9:10]
	v_fma_f64 v[7:8], -v[7:8], v[24:25], v[13:14]
	v_fma_f64 v[9:10], v[5:6], v[24:25], v[15:16]
	global_store_dwordx4 v[26:27], v[0:3], off
	global_store_dwordx4 v[26:27], v[7:10], off offset:16
.LBB257_21:
	s_endpgm
	.section	.rodata,"a",@progbits
	.p2align	6, 0x0
	.amdhsa_kernel _ZN9rocsparseL19gebsrmvn_2xn_kernelILj128ELj7ELj64E21rocsparse_complex_numIdEEEvi20rocsparse_direction_NS_24const_host_device_scalarIT2_EEPKiS8_PKS5_SA_S6_PS5_21rocsparse_index_base_b
		.amdhsa_group_segment_fixed_size 0
		.amdhsa_private_segment_fixed_size 0
		.amdhsa_kernarg_size 88
		.amdhsa_user_sgpr_count 6
		.amdhsa_user_sgpr_private_segment_buffer 1
		.amdhsa_user_sgpr_dispatch_ptr 0
		.amdhsa_user_sgpr_queue_ptr 0
		.amdhsa_user_sgpr_kernarg_segment_ptr 1
		.amdhsa_user_sgpr_dispatch_id 0
		.amdhsa_user_sgpr_flat_scratch_init 0
		.amdhsa_user_sgpr_private_segment_size 0
		.amdhsa_wavefront_size32 1
		.amdhsa_uses_dynamic_stack 0
		.amdhsa_system_sgpr_private_segment_wavefront_offset 0
		.amdhsa_system_sgpr_workgroup_id_x 1
		.amdhsa_system_sgpr_workgroup_id_y 0
		.amdhsa_system_sgpr_workgroup_id_z 0
		.amdhsa_system_sgpr_workgroup_info 0
		.amdhsa_system_vgpr_workitem_id 0
		.amdhsa_next_free_vgpr 103
		.amdhsa_next_free_sgpr 16
		.amdhsa_reserve_vcc 1
		.amdhsa_reserve_flat_scratch 0
		.amdhsa_float_round_mode_32 0
		.amdhsa_float_round_mode_16_64 0
		.amdhsa_float_denorm_mode_32 3
		.amdhsa_float_denorm_mode_16_64 3
		.amdhsa_dx10_clamp 1
		.amdhsa_ieee_mode 1
		.amdhsa_fp16_overflow 0
		.amdhsa_workgroup_processor_mode 1
		.amdhsa_memory_ordered 1
		.amdhsa_forward_progress 1
		.amdhsa_shared_vgpr_count 0
		.amdhsa_exception_fp_ieee_invalid_op 0
		.amdhsa_exception_fp_denorm_src 0
		.amdhsa_exception_fp_ieee_div_zero 0
		.amdhsa_exception_fp_ieee_overflow 0
		.amdhsa_exception_fp_ieee_underflow 0
		.amdhsa_exception_fp_ieee_inexact 0
		.amdhsa_exception_int_div_zero 0
	.end_amdhsa_kernel
	.section	.text._ZN9rocsparseL19gebsrmvn_2xn_kernelILj128ELj7ELj64E21rocsparse_complex_numIdEEEvi20rocsparse_direction_NS_24const_host_device_scalarIT2_EEPKiS8_PKS5_SA_S6_PS5_21rocsparse_index_base_b,"axG",@progbits,_ZN9rocsparseL19gebsrmvn_2xn_kernelILj128ELj7ELj64E21rocsparse_complex_numIdEEEvi20rocsparse_direction_NS_24const_host_device_scalarIT2_EEPKiS8_PKS5_SA_S6_PS5_21rocsparse_index_base_b,comdat
.Lfunc_end257:
	.size	_ZN9rocsparseL19gebsrmvn_2xn_kernelILj128ELj7ELj64E21rocsparse_complex_numIdEEEvi20rocsparse_direction_NS_24const_host_device_scalarIT2_EEPKiS8_PKS5_SA_S6_PS5_21rocsparse_index_base_b, .Lfunc_end257-_ZN9rocsparseL19gebsrmvn_2xn_kernelILj128ELj7ELj64E21rocsparse_complex_numIdEEEvi20rocsparse_direction_NS_24const_host_device_scalarIT2_EEPKiS8_PKS5_SA_S6_PS5_21rocsparse_index_base_b
                                        ; -- End function
	.set _ZN9rocsparseL19gebsrmvn_2xn_kernelILj128ELj7ELj64E21rocsparse_complex_numIdEEEvi20rocsparse_direction_NS_24const_host_device_scalarIT2_EEPKiS8_PKS5_SA_S6_PS5_21rocsparse_index_base_b.num_vgpr, 103
	.set _ZN9rocsparseL19gebsrmvn_2xn_kernelILj128ELj7ELj64E21rocsparse_complex_numIdEEEvi20rocsparse_direction_NS_24const_host_device_scalarIT2_EEPKiS8_PKS5_SA_S6_PS5_21rocsparse_index_base_b.num_agpr, 0
	.set _ZN9rocsparseL19gebsrmvn_2xn_kernelILj128ELj7ELj64E21rocsparse_complex_numIdEEEvi20rocsparse_direction_NS_24const_host_device_scalarIT2_EEPKiS8_PKS5_SA_S6_PS5_21rocsparse_index_base_b.numbered_sgpr, 16
	.set _ZN9rocsparseL19gebsrmvn_2xn_kernelILj128ELj7ELj64E21rocsparse_complex_numIdEEEvi20rocsparse_direction_NS_24const_host_device_scalarIT2_EEPKiS8_PKS5_SA_S6_PS5_21rocsparse_index_base_b.num_named_barrier, 0
	.set _ZN9rocsparseL19gebsrmvn_2xn_kernelILj128ELj7ELj64E21rocsparse_complex_numIdEEEvi20rocsparse_direction_NS_24const_host_device_scalarIT2_EEPKiS8_PKS5_SA_S6_PS5_21rocsparse_index_base_b.private_seg_size, 0
	.set _ZN9rocsparseL19gebsrmvn_2xn_kernelILj128ELj7ELj64E21rocsparse_complex_numIdEEEvi20rocsparse_direction_NS_24const_host_device_scalarIT2_EEPKiS8_PKS5_SA_S6_PS5_21rocsparse_index_base_b.uses_vcc, 1
	.set _ZN9rocsparseL19gebsrmvn_2xn_kernelILj128ELj7ELj64E21rocsparse_complex_numIdEEEvi20rocsparse_direction_NS_24const_host_device_scalarIT2_EEPKiS8_PKS5_SA_S6_PS5_21rocsparse_index_base_b.uses_flat_scratch, 0
	.set _ZN9rocsparseL19gebsrmvn_2xn_kernelILj128ELj7ELj64E21rocsparse_complex_numIdEEEvi20rocsparse_direction_NS_24const_host_device_scalarIT2_EEPKiS8_PKS5_SA_S6_PS5_21rocsparse_index_base_b.has_dyn_sized_stack, 0
	.set _ZN9rocsparseL19gebsrmvn_2xn_kernelILj128ELj7ELj64E21rocsparse_complex_numIdEEEvi20rocsparse_direction_NS_24const_host_device_scalarIT2_EEPKiS8_PKS5_SA_S6_PS5_21rocsparse_index_base_b.has_recursion, 0
	.set _ZN9rocsparseL19gebsrmvn_2xn_kernelILj128ELj7ELj64E21rocsparse_complex_numIdEEEvi20rocsparse_direction_NS_24const_host_device_scalarIT2_EEPKiS8_PKS5_SA_S6_PS5_21rocsparse_index_base_b.has_indirect_call, 0
	.section	.AMDGPU.csdata,"",@progbits
; Kernel info:
; codeLenInByte = 4100
; TotalNumSgprs: 18
; NumVgprs: 103
; ScratchSize: 0
; MemoryBound: 0
; FloatMode: 240
; IeeeMode: 1
; LDSByteSize: 0 bytes/workgroup (compile time only)
; SGPRBlocks: 0
; VGPRBlocks: 12
; NumSGPRsForWavesPerEU: 18
; NumVGPRsForWavesPerEU: 103
; Occupancy: 9
; WaveLimiterHint : 1
; COMPUTE_PGM_RSRC2:SCRATCH_EN: 0
; COMPUTE_PGM_RSRC2:USER_SGPR: 6
; COMPUTE_PGM_RSRC2:TRAP_HANDLER: 0
; COMPUTE_PGM_RSRC2:TGID_X_EN: 1
; COMPUTE_PGM_RSRC2:TGID_Y_EN: 0
; COMPUTE_PGM_RSRC2:TGID_Z_EN: 0
; COMPUTE_PGM_RSRC2:TIDIG_COMP_CNT: 0
	.section	.text._ZN9rocsparseL19gebsrmvn_2xn_kernelILj128ELj8ELj4E21rocsparse_complex_numIdEEEvi20rocsparse_direction_NS_24const_host_device_scalarIT2_EEPKiS8_PKS5_SA_S6_PS5_21rocsparse_index_base_b,"axG",@progbits,_ZN9rocsparseL19gebsrmvn_2xn_kernelILj128ELj8ELj4E21rocsparse_complex_numIdEEEvi20rocsparse_direction_NS_24const_host_device_scalarIT2_EEPKiS8_PKS5_SA_S6_PS5_21rocsparse_index_base_b,comdat
	.globl	_ZN9rocsparseL19gebsrmvn_2xn_kernelILj128ELj8ELj4E21rocsparse_complex_numIdEEEvi20rocsparse_direction_NS_24const_host_device_scalarIT2_EEPKiS8_PKS5_SA_S6_PS5_21rocsparse_index_base_b ; -- Begin function _ZN9rocsparseL19gebsrmvn_2xn_kernelILj128ELj8ELj4E21rocsparse_complex_numIdEEEvi20rocsparse_direction_NS_24const_host_device_scalarIT2_EEPKiS8_PKS5_SA_S6_PS5_21rocsparse_index_base_b
	.p2align	8
	.type	_ZN9rocsparseL19gebsrmvn_2xn_kernelILj128ELj8ELj4E21rocsparse_complex_numIdEEEvi20rocsparse_direction_NS_24const_host_device_scalarIT2_EEPKiS8_PKS5_SA_S6_PS5_21rocsparse_index_base_b,@function
_ZN9rocsparseL19gebsrmvn_2xn_kernelILj128ELj8ELj4E21rocsparse_complex_numIdEEEvi20rocsparse_direction_NS_24const_host_device_scalarIT2_EEPKiS8_PKS5_SA_S6_PS5_21rocsparse_index_base_b: ; @_ZN9rocsparseL19gebsrmvn_2xn_kernelILj128ELj8ELj4E21rocsparse_complex_numIdEEEvi20rocsparse_direction_NS_24const_host_device_scalarIT2_EEPKiS8_PKS5_SA_S6_PS5_21rocsparse_index_base_b
; %bb.0:
	s_clause 0x1
	s_load_dwordx2 s[2:3], s[4:5], 0x50
	s_load_dwordx2 s[0:1], s[4:5], 0x8
	s_add_u32 s7, s4, 8
	s_addc_u32 s10, s5, 0
	s_add_u32 s11, s4, 56
	s_addc_u32 s12, s5, 0
	s_load_dwordx2 s[8:9], s[4:5], 0x38
	s_waitcnt lgkmcnt(0)
	s_bitcmp1_b32 s3, 0
	s_cselect_b32 s0, s7, s0
	s_cselect_b32 s1, s10, s1
	v_mov_b32_e32 v1, s0
	v_mov_b32_e32 v2, s1
	s_cselect_b32 s0, s11, s8
	s_cselect_b32 s1, s12, s9
	v_mov_b32_e32 v5, s0
	v_mov_b32_e32 v6, s1
	flat_load_dwordx4 v[1:4], v[1:2]
	flat_load_dwordx4 v[5:8], v[5:6]
	s_waitcnt vmcnt(1) lgkmcnt(1)
	v_cmp_eq_f64_e32 vcc_lo, 0, v[1:2]
	v_cmp_eq_f64_e64 s0, 0, v[3:4]
	s_and_b32 s3, vcc_lo, s0
	s_mov_b32 s0, -1
	s_and_saveexec_b32 s1, s3
	s_cbranch_execz .LBB258_2
; %bb.1:
	s_waitcnt vmcnt(0) lgkmcnt(0)
	v_cmp_neq_f64_e32 vcc_lo, 1.0, v[5:6]
	v_cmp_neq_f64_e64 s0, 0, v[7:8]
	s_or_b32 s0, vcc_lo, s0
	s_orn2_b32 s0, s0, exec_lo
.LBB258_2:
	s_or_b32 exec_lo, exec_lo, s1
	s_and_saveexec_b32 s1, s0
	s_cbranch_execz .LBB258_21
; %bb.3:
	s_load_dwordx2 s[0:1], s[4:5], 0x0
	v_lshrrev_b32_e32 v9, 2, v0
	v_lshl_or_b32 v9, s6, 5, v9
	s_waitcnt lgkmcnt(0)
	v_cmp_gt_i32_e32 vcc_lo, s0, v9
	s_and_b32 exec_lo, exec_lo, vcc_lo
	s_cbranch_execz .LBB258_21
; %bb.4:
	s_load_dwordx8 s[8:15], s[4:5], 0x18
	v_ashrrev_i32_e32 v10, 31, v9
	v_and_b32_e32 v0, 3, v0
	s_cmp_lg_u32 s1, 0
	v_lshlrev_b64 v[10:11], 2, v[9:10]
	s_waitcnt lgkmcnt(0)
	v_add_co_u32 v10, vcc_lo, s8, v10
	v_add_co_ci_u32_e64 v11, null, s9, v11, vcc_lo
	global_load_dwordx2 v[10:11], v[10:11], off
	s_waitcnt vmcnt(0)
	v_subrev_nc_u32_e32 v10, s2, v10
	v_subrev_nc_u32_e32 v24, s2, v11
	v_add_nc_u32_e32 v10, v10, v0
	v_cmp_lt_i32_e64 s0, v10, v24
	s_cbranch_scc0 .LBB258_10
; %bb.5:
	v_mov_b32_e32 v12, 0
	v_mov_b32_e32 v18, 0
	;; [unrolled: 1-line block ×8, first 2 shown]
	s_and_saveexec_b32 s1, s0
	s_cbranch_execz .LBB258_9
; %bb.6:
	v_mov_b32_e32 v12, 0
	v_mov_b32_e32 v18, 0
	;; [unrolled: 1-line block ×4, first 2 shown]
	v_lshlrev_b32_e32 v20, 4, v10
	v_mov_b32_e32 v13, 0
	v_mov_b32_e32 v21, 0
	;; [unrolled: 1-line block ×6, first 2 shown]
	s_mov_b32 s3, 0
.LBB258_7:                              ; =>This Inner Loop Header: Depth=1
	v_ashrrev_i32_e32 v23, 31, v22
	v_mov_b32_e32 v34, v21
	v_lshlrev_b64 v[25:26], 2, v[22:23]
	v_add_nc_u32_e32 v22, 4, v22
	v_add_co_u32 v25, vcc_lo, s10, v25
	v_add_co_ci_u32_e64 v26, null, s11, v26, vcc_lo
	global_load_dword v11, v[25:26], off
	v_lshlrev_b64 v[25:26], 4, v[20:21]
	v_add_nc_u32_e32 v20, 64, v20
	v_add_co_u32 v113, vcc_lo, s12, v25
	v_add_co_ci_u32_e64 v114, null, s13, v26, vcc_lo
	s_clause 0x1
	global_load_dwordx4 v[25:28], v[113:114], off offset:16
	global_load_dwordx4 v[29:32], v[113:114], off
	s_waitcnt vmcnt(2)
	v_subrev_nc_u32_e32 v11, s2, v11
	v_lshlrev_b32_e32 v33, 3, v11
	v_lshlrev_b64 v[33:34], 4, v[33:34]
	v_add_co_u32 v117, vcc_lo, s14, v33
	v_add_co_ci_u32_e64 v118, null, s15, v34, vcc_lo
	v_cmp_ge_i32_e32 vcc_lo, v22, v24
	global_load_dwordx4 v[33:36], v[117:118], off
	s_clause 0x1
	global_load_dwordx4 v[37:40], v[113:114], off offset:48
	global_load_dwordx4 v[41:44], v[113:114], off offset:32
	global_load_dwordx4 v[45:48], v[117:118], off offset:16
	s_clause 0x1
	global_load_dwordx4 v[49:52], v[113:114], off offset:80
	global_load_dwordx4 v[53:56], v[113:114], off offset:64
	global_load_dwordx4 v[57:60], v[117:118], off offset:32
	s_clause 0x1
	global_load_dwordx4 v[61:64], v[113:114], off offset:96
	global_load_dwordx4 v[65:68], v[113:114], off offset:112
	global_load_dwordx4 v[69:72], v[117:118], off offset:48
	s_clause 0x1
	global_load_dwordx4 v[73:76], v[113:114], off offset:144
	global_load_dwordx4 v[77:80], v[113:114], off offset:128
	global_load_dwordx4 v[81:84], v[117:118], off offset:64
	s_clause 0x1
	global_load_dwordx4 v[85:88], v[113:114], off offset:176
	global_load_dwordx4 v[89:92], v[113:114], off offset:160
	global_load_dwordx4 v[93:96], v[117:118], off offset:80
	s_clause 0x1
	global_load_dwordx4 v[97:100], v[113:114], off offset:208
	global_load_dwordx4 v[101:104], v[113:114], off offset:192
	global_load_dwordx4 v[105:108], v[117:118], off offset:96
	s_clause 0x1
	global_load_dwordx4 v[109:112], v[113:114], off offset:224
	global_load_dwordx4 v[113:116], v[113:114], off offset:240
	s_or_b32 s3, vcc_lo, s3
	s_waitcnt vmcnt(20)
	v_fma_f64 v[18:19], v[29:30], v[33:34], v[18:19]
	v_fma_f64 v[11:12], v[31:32], v[33:34], v[12:13]
	;; [unrolled: 1-line block ×4, first 2 shown]
	v_fma_f64 v[18:19], -v[31:32], v[35:36], v[18:19]
	v_fma_f64 v[11:12], v[29:30], v[35:36], v[11:12]
	global_load_dwordx4 v[29:32], v[117:118], off offset:112
	v_fma_f64 v[13:14], -v[27:28], v[35:36], v[13:14]
	v_fma_f64 v[15:16], v[25:26], v[35:36], v[15:16]
	s_waitcnt vmcnt(18)
	v_fma_f64 v[17:18], v[41:42], v[45:46], v[18:19]
	v_fma_f64 v[11:12], v[43:44], v[45:46], v[11:12]
	v_fma_f64 v[13:14], v[37:38], v[45:46], v[13:14]
	v_fma_f64 v[15:16], v[39:40], v[45:46], v[15:16]
	v_fma_f64 v[17:18], -v[43:44], v[47:48], v[17:18]
	v_fma_f64 v[11:12], v[41:42], v[47:48], v[11:12]
	v_fma_f64 v[13:14], -v[39:40], v[47:48], v[13:14]
	v_fma_f64 v[15:16], v[37:38], v[47:48], v[15:16]
	s_waitcnt vmcnt(15)
	v_fma_f64 v[17:18], v[53:54], v[57:58], v[17:18]
	v_fma_f64 v[11:12], v[55:56], v[57:58], v[11:12]
	v_fma_f64 v[13:14], v[49:50], v[57:58], v[13:14]
	v_fma_f64 v[15:16], v[51:52], v[57:58], v[15:16]
	v_fma_f64 v[17:18], -v[55:56], v[59:60], v[17:18]
	v_fma_f64 v[11:12], v[53:54], v[59:60], v[11:12]
	v_fma_f64 v[13:14], -v[51:52], v[59:60], v[13:14]
	v_fma_f64 v[15:16], v[49:50], v[59:60], v[15:16]
	s_waitcnt vmcnt(12)
	v_fma_f64 v[17:18], v[61:62], v[69:70], v[17:18]
	v_fma_f64 v[11:12], v[63:64], v[69:70], v[11:12]
	v_fma_f64 v[13:14], v[65:66], v[69:70], v[13:14]
	v_fma_f64 v[15:16], v[67:68], v[69:70], v[15:16]
	v_fma_f64 v[17:18], -v[63:64], v[71:72], v[17:18]
	v_fma_f64 v[11:12], v[61:62], v[71:72], v[11:12]
	v_fma_f64 v[13:14], -v[67:68], v[71:72], v[13:14]
	v_fma_f64 v[15:16], v[65:66], v[71:72], v[15:16]
	s_waitcnt vmcnt(9)
	v_fma_f64 v[17:18], v[77:78], v[81:82], v[17:18]
	v_fma_f64 v[11:12], v[79:80], v[81:82], v[11:12]
	v_fma_f64 v[13:14], v[73:74], v[81:82], v[13:14]
	v_fma_f64 v[15:16], v[75:76], v[81:82], v[15:16]
	v_fma_f64 v[17:18], -v[79:80], v[83:84], v[17:18]
	v_fma_f64 v[11:12], v[77:78], v[83:84], v[11:12]
	v_fma_f64 v[13:14], -v[75:76], v[83:84], v[13:14]
	v_fma_f64 v[15:16], v[73:74], v[83:84], v[15:16]
	s_waitcnt vmcnt(6)
	v_fma_f64 v[17:18], v[89:90], v[93:94], v[17:18]
	v_fma_f64 v[11:12], v[91:92], v[93:94], v[11:12]
	v_fma_f64 v[13:14], v[85:86], v[93:94], v[13:14]
	v_fma_f64 v[15:16], v[87:88], v[93:94], v[15:16]
	v_fma_f64 v[17:18], -v[91:92], v[95:96], v[17:18]
	v_fma_f64 v[11:12], v[89:90], v[95:96], v[11:12]
	v_fma_f64 v[13:14], -v[87:88], v[95:96], v[13:14]
	v_fma_f64 v[15:16], v[85:86], v[95:96], v[15:16]
	s_waitcnt vmcnt(3)
	v_fma_f64 v[17:18], v[101:102], v[105:106], v[17:18]
	v_fma_f64 v[11:12], v[103:104], v[105:106], v[11:12]
	v_fma_f64 v[13:14], v[97:98], v[105:106], v[13:14]
	v_fma_f64 v[15:16], v[99:100], v[105:106], v[15:16]
	v_fma_f64 v[17:18], -v[103:104], v[107:108], v[17:18]
	v_fma_f64 v[11:12], v[101:102], v[107:108], v[11:12]
	v_fma_f64 v[13:14], -v[99:100], v[107:108], v[13:14]
	v_fma_f64 v[15:16], v[97:98], v[107:108], v[15:16]
	s_waitcnt vmcnt(0)
	v_fma_f64 v[17:18], v[109:110], v[29:30], v[17:18]
	v_fma_f64 v[11:12], v[111:112], v[29:30], v[11:12]
	v_fma_f64 v[25:26], v[113:114], v[29:30], v[13:14]
	v_fma_f64 v[27:28], v[115:116], v[29:30], v[15:16]
	v_fma_f64 v[18:19], -v[111:112], v[31:32], v[17:18]
	v_fma_f64 v[12:13], v[109:110], v[31:32], v[11:12]
	v_fma_f64 v[14:15], -v[115:116], v[31:32], v[25:26]
	v_fma_f64 v[16:17], v[113:114], v[31:32], v[27:28]
	s_andn2_b32 exec_lo, exec_lo, s3
	s_cbranch_execnz .LBB258_7
; %bb.8:
	s_or_b32 exec_lo, exec_lo, s3
.LBB258_9:
	s_or_b32 exec_lo, exec_lo, s1
	s_cbranch_execz .LBB258_11
	s_branch .LBB258_16
.LBB258_10:
                                        ; implicit-def: $vgpr12_vgpr13
                                        ; implicit-def: $vgpr18_vgpr19
                                        ; implicit-def: $vgpr14_vgpr15
                                        ; implicit-def: $vgpr16_vgpr17
.LBB258_11:
	v_mov_b32_e32 v12, 0
	v_mov_b32_e32 v18, 0
	;; [unrolled: 1-line block ×8, first 2 shown]
	s_and_saveexec_b32 s1, s0
	s_cbranch_execz .LBB258_15
; %bb.12:
	v_mov_b32_e32 v12, 0
	v_mov_b32_e32 v18, 0
	;; [unrolled: 1-line block ×4, first 2 shown]
	v_lshlrev_b32_e32 v20, 4, v10
	v_mov_b32_e32 v13, 0
	v_mov_b32_e32 v19, 0
	;; [unrolled: 1-line block ×5, first 2 shown]
	s_mov_b32 s0, 0
.LBB258_13:                             ; =>This Inner Loop Header: Depth=1
	v_ashrrev_i32_e32 v11, 31, v10
	v_mov_b32_e32 v42, v21
	v_lshlrev_b64 v[22:23], 2, v[10:11]
	v_add_nc_u32_e32 v10, 4, v10
	v_add_co_u32 v22, vcc_lo, s10, v22
	v_add_co_ci_u32_e64 v23, null, s11, v23, vcc_lo
	global_load_dword v11, v[22:23], off
	v_lshlrev_b64 v[22:23], 4, v[20:21]
	v_add_nc_u32_e32 v20, 64, v20
	v_add_co_u32 v22, vcc_lo, s12, v22
	v_add_co_ci_u32_e64 v23, null, s13, v23, vcc_lo
	s_clause 0x3
	global_load_dwordx4 v[25:28], v[22:23], off offset:16
	global_load_dwordx4 v[29:32], v[22:23], off
	global_load_dwordx4 v[33:36], v[22:23], off offset:144
	global_load_dwordx4 v[37:40], v[22:23], off offset:128
	s_waitcnt vmcnt(4)
	v_subrev_nc_u32_e32 v11, s2, v11
	v_lshlrev_b32_e32 v41, 3, v11
	v_lshlrev_b64 v[41:42], 4, v[41:42]
	v_add_co_u32 v97, vcc_lo, s14, v41
	v_add_co_ci_u32_e64 v98, null, s15, v42, vcc_lo
	v_cmp_ge_i32_e32 vcc_lo, v10, v24
	s_clause 0x1
	global_load_dwordx4 v[41:44], v[97:98], off
	global_load_dwordx4 v[45:48], v[97:98], off offset:16
	s_clause 0x3
	global_load_dwordx4 v[49:52], v[22:23], off offset:48
	global_load_dwordx4 v[53:56], v[22:23], off offset:32
	;; [unrolled: 1-line block ×4, first 2 shown]
	s_clause 0x1
	global_load_dwordx4 v[65:68], v[97:98], off offset:32
	global_load_dwordx4 v[69:72], v[97:98], off offset:48
	s_clause 0x3
	global_load_dwordx4 v[73:76], v[22:23], off offset:80
	global_load_dwordx4 v[77:80], v[22:23], off offset:64
	;; [unrolled: 1-line block ×6, first 2 shown]
	s_or_b32 s0, vcc_lo, s0
	s_waitcnt vmcnt(13)
	v_fma_f64 v[18:19], v[29:30], v[41:42], v[18:19]
	v_fma_f64 v[11:12], v[31:32], v[41:42], v[12:13]
	v_fma_f64 v[99:100], -v[31:32], v[43:44], v[18:19]
	v_fma_f64 v[101:102], v[29:30], v[43:44], v[11:12]
	global_load_dwordx4 v[29:32], v[97:98], off offset:80
	v_fma_f64 v[11:12], v[37:38], v[41:42], v[14:15]
	v_fma_f64 v[13:14], v[39:40], v[41:42], v[16:17]
	v_fma_f64 v[41:42], -v[39:40], v[43:44], v[11:12]
	v_fma_f64 v[43:44], v[37:38], v[43:44], v[13:14]
	s_clause 0x2
	global_load_dwordx4 v[11:14], v[22:23], off offset:96
	global_load_dwordx4 v[37:40], v[22:23], off offset:240
	;; [unrolled: 1-line block ×3, first 2 shown]
	s_waitcnt vmcnt(16)
	v_fma_f64 v[22:23], v[25:26], v[45:46], v[99:100]
	v_fma_f64 v[99:100], v[27:28], v[45:46], v[101:102]
	;; [unrolled: 1-line block ×4, first 2 shown]
	v_fma_f64 v[22:23], -v[27:28], v[47:48], v[22:23]
	v_fma_f64 v[99:100], v[25:26], v[47:48], v[99:100]
	global_load_dwordx4 v[25:28], v[97:98], off offset:96
	v_fma_f64 v[41:42], -v[35:36], v[47:48], v[41:42]
	v_fma_f64 v[43:44], v[33:34], v[47:48], v[43:44]
	global_load_dwordx4 v[33:36], v[97:98], off offset:112
	s_waitcnt vmcnt(13)
	v_fma_f64 v[22:23], v[53:54], v[65:66], v[22:23]
	v_fma_f64 v[45:46], v[55:56], v[65:66], v[99:100]
	v_fma_f64 v[41:42], v[61:62], v[65:66], v[41:42]
	v_fma_f64 v[43:44], v[63:64], v[65:66], v[43:44]
	v_fma_f64 v[22:23], -v[55:56], v[67:68], v[22:23]
	v_fma_f64 v[45:46], v[53:54], v[67:68], v[45:46]
	v_fma_f64 v[41:42], -v[63:64], v[67:68], v[41:42]
	v_fma_f64 v[43:44], v[61:62], v[67:68], v[43:44]
	s_waitcnt vmcnt(12)
	v_fma_f64 v[22:23], v[49:50], v[69:70], v[22:23]
	v_fma_f64 v[45:46], v[51:52], v[69:70], v[45:46]
	v_fma_f64 v[41:42], v[57:58], v[69:70], v[41:42]
	v_fma_f64 v[43:44], v[59:60], v[69:70], v[43:44]
	v_fma_f64 v[22:23], -v[51:52], v[71:72], v[22:23]
	v_fma_f64 v[45:46], v[49:50], v[71:72], v[45:46]
	v_fma_f64 v[41:42], -v[59:60], v[71:72], v[41:42]
	v_fma_f64 v[43:44], v[57:58], v[71:72], v[43:44]
	s_waitcnt vmcnt(7)
	v_fma_f64 v[22:23], v[77:78], v[89:90], v[22:23]
	v_fma_f64 v[45:46], v[79:80], v[89:90], v[45:46]
	v_fma_f64 v[41:42], v[85:86], v[89:90], v[41:42]
	v_fma_f64 v[43:44], v[87:88], v[89:90], v[43:44]
	v_fma_f64 v[22:23], -v[79:80], v[91:92], v[22:23]
	v_fma_f64 v[45:46], v[77:78], v[91:92], v[45:46]
	v_fma_f64 v[41:42], -v[87:88], v[91:92], v[41:42]
	v_fma_f64 v[43:44], v[85:86], v[91:92], v[43:44]
	s_waitcnt vmcnt(5)
	v_fma_f64 v[22:23], v[73:74], v[29:30], v[22:23]
	v_fma_f64 v[45:46], v[75:76], v[29:30], v[45:46]
	v_fma_f64 v[41:42], v[81:82], v[29:30], v[41:42]
	v_fma_f64 v[29:30], v[83:84], v[29:30], v[43:44]
	v_fma_f64 v[22:23], -v[75:76], v[31:32], v[22:23]
	v_fma_f64 v[43:44], v[73:74], v[31:32], v[45:46]
	v_fma_f64 v[41:42], -v[83:84], v[31:32], v[41:42]
	v_fma_f64 v[29:30], v[81:82], v[31:32], v[29:30]
	s_waitcnt vmcnt(1)
	v_fma_f64 v[22:23], v[11:12], v[25:26], v[22:23]
	v_fma_f64 v[31:32], v[13:14], v[25:26], v[43:44]
	v_fma_f64 v[41:42], v[15:16], v[25:26], v[41:42]
	v_fma_f64 v[25:26], v[17:18], v[25:26], v[29:30]
	v_fma_f64 v[13:14], -v[13:14], v[27:28], v[22:23]
	v_fma_f64 v[11:12], v[11:12], v[27:28], v[31:32]
	v_fma_f64 v[17:18], -v[17:18], v[27:28], v[41:42]
	v_fma_f64 v[15:16], v[15:16], v[27:28], v[25:26]
	s_waitcnt vmcnt(0)
	v_fma_f64 v[13:14], v[93:94], v[33:34], v[13:14]
	v_fma_f64 v[11:12], v[95:96], v[33:34], v[11:12]
	v_fma_f64 v[22:23], v[37:38], v[33:34], v[17:18]
	v_fma_f64 v[16:17], v[39:40], v[33:34], v[15:16]
	v_fma_f64 v[18:19], -v[95:96], v[35:36], v[13:14]
	v_fma_f64 v[12:13], v[93:94], v[35:36], v[11:12]
	v_fma_f64 v[14:15], -v[39:40], v[35:36], v[22:23]
	v_fma_f64 v[16:17], v[37:38], v[35:36], v[16:17]
	s_andn2_b32 exec_lo, exec_lo, s0
	s_cbranch_execnz .LBB258_13
; %bb.14:
	s_or_b32 exec_lo, exec_lo, s0
.LBB258_15:
	s_or_b32 exec_lo, exec_lo, s1
.LBB258_16:
	v_mbcnt_lo_u32_b32 v26, -1, 0
	v_xor_b32_e32 v10, 2, v26
	v_cmp_gt_i32_e32 vcc_lo, 32, v10
	v_cndmask_b32_e32 v10, v26, v10, vcc_lo
	v_lshlrev_b32_e32 v25, 2, v10
	ds_bpermute_b32 v10, v25, v18
	ds_bpermute_b32 v11, v25, v19
	;; [unrolled: 1-line block ×8, first 2 shown]
	s_waitcnt lgkmcnt(6)
	v_add_f64 v[10:11], v[18:19], v[10:11]
	s_waitcnt lgkmcnt(4)
	v_add_f64 v[18:19], v[12:13], v[20:21]
	;; [unrolled: 2-line block ×4, first 2 shown]
	v_xor_b32_e32 v16, 1, v26
	v_cmp_gt_i32_e32 vcc_lo, 32, v16
	v_cndmask_b32_e32 v16, v26, v16, vcc_lo
	v_cmp_eq_u32_e32 vcc_lo, 3, v0
	v_lshlrev_b32_e32 v23, 2, v16
	ds_bpermute_b32 v24, v23, v10
	ds_bpermute_b32 v25, v23, v11
	ds_bpermute_b32 v16, v23, v18
	ds_bpermute_b32 v17, v23, v19
	ds_bpermute_b32 v20, v23, v12
	ds_bpermute_b32 v21, v23, v13
	ds_bpermute_b32 v22, v23, v14
	ds_bpermute_b32 v23, v23, v15
	s_and_b32 exec_lo, exec_lo, vcc_lo
	s_cbranch_execz .LBB258_21
; %bb.17:
	v_cmp_eq_f64_e32 vcc_lo, 0, v[5:6]
	v_cmp_eq_f64_e64 s0, 0, v[7:8]
	s_waitcnt lgkmcnt(6)
	v_add_f64 v[10:11], v[10:11], v[24:25]
	s_waitcnt lgkmcnt(4)
	v_add_f64 v[16:17], v[18:19], v[16:17]
	;; [unrolled: 2-line block ×4, first 2 shown]
	s_load_dwordx2 s[2:3], s[4:5], 0x48
	s_and_b32 s0, vcc_lo, s0
	s_and_saveexec_b32 s1, s0
	s_xor_b32 s0, exec_lo, s1
	s_cbranch_execz .LBB258_19
; %bb.18:
	v_mul_f64 v[5:6], v[16:17], -v[3:4]
	v_mul_f64 v[7:8], v[1:2], v[16:17]
	v_mul_f64 v[16:17], v[14:15], -v[3:4]
	v_mul_f64 v[14:15], v[1:2], v[14:15]
	v_lshlrev_b32_e32 v9, 1, v9
	v_fma_f64 v[5:6], v[1:2], v[10:11], v[5:6]
	v_fma_f64 v[7:8], v[3:4], v[10:11], v[7:8]
	;; [unrolled: 1-line block ×4, first 2 shown]
	v_ashrrev_i32_e32 v10, 31, v9
                                        ; implicit-def: $vgpr16_vgpr17
                                        ; implicit-def: $vgpr12_vgpr13
                                        ; implicit-def: $vgpr14_vgpr15
	v_lshlrev_b64 v[9:10], 4, v[9:10]
	s_waitcnt lgkmcnt(0)
	v_add_co_u32 v9, vcc_lo, s2, v9
	v_add_co_ci_u32_e64 v10, null, s3, v10, vcc_lo
	global_store_dwordx4 v[9:10], v[5:8], off
	global_store_dwordx4 v[9:10], v[0:3], off offset:16
                                        ; implicit-def: $vgpr9
                                        ; implicit-def: $vgpr10_vgpr11
                                        ; implicit-def: $vgpr7_vgpr8
                                        ; implicit-def: $vgpr3_vgpr4
.LBB258_19:
	s_andn2_saveexec_b32 s0, s0
	s_cbranch_execz .LBB258_21
; %bb.20:
	v_lshlrev_b32_e32 v18, 1, v9
	v_mul_f64 v[28:29], v[16:17], -v[3:4]
	v_mul_f64 v[16:17], v[1:2], v[16:17]
	v_mul_f64 v[30:31], v[14:15], -v[3:4]
	v_mul_f64 v[14:15], v[1:2], v[14:15]
	v_ashrrev_i32_e32 v19, 31, v18
	v_lshlrev_b64 v[18:19], 4, v[18:19]
	s_waitcnt lgkmcnt(0)
	v_add_co_u32 v26, vcc_lo, s2, v18
	v_add_co_ci_u32_e64 v27, null, s3, v19, vcc_lo
	s_clause 0x1
	global_load_dwordx4 v[18:21], v[26:27], off
	global_load_dwordx4 v[22:25], v[26:27], off offset:16
	v_fma_f64 v[28:29], v[1:2], v[10:11], v[28:29]
	v_fma_f64 v[9:10], v[3:4], v[10:11], v[16:17]
	;; [unrolled: 1-line block ×4, first 2 shown]
	s_waitcnt vmcnt(1)
	v_fma_f64 v[11:12], v[5:6], v[18:19], v[28:29]
	v_fma_f64 v[9:10], v[7:8], v[18:19], v[9:10]
	s_waitcnt vmcnt(0)
	v_fma_f64 v[13:14], v[5:6], v[22:23], v[0:1]
	v_fma_f64 v[15:16], v[7:8], v[22:23], v[2:3]
	v_fma_f64 v[0:1], -v[7:8], v[20:21], v[11:12]
	v_fma_f64 v[2:3], v[5:6], v[20:21], v[9:10]
	v_fma_f64 v[7:8], -v[7:8], v[24:25], v[13:14]
	v_fma_f64 v[9:10], v[5:6], v[24:25], v[15:16]
	global_store_dwordx4 v[26:27], v[0:3], off
	global_store_dwordx4 v[26:27], v[7:10], off offset:16
.LBB258_21:
	s_endpgm
	.section	.rodata,"a",@progbits
	.p2align	6, 0x0
	.amdhsa_kernel _ZN9rocsparseL19gebsrmvn_2xn_kernelILj128ELj8ELj4E21rocsparse_complex_numIdEEEvi20rocsparse_direction_NS_24const_host_device_scalarIT2_EEPKiS8_PKS5_SA_S6_PS5_21rocsparse_index_base_b
		.amdhsa_group_segment_fixed_size 0
		.amdhsa_private_segment_fixed_size 0
		.amdhsa_kernarg_size 88
		.amdhsa_user_sgpr_count 6
		.amdhsa_user_sgpr_private_segment_buffer 1
		.amdhsa_user_sgpr_dispatch_ptr 0
		.amdhsa_user_sgpr_queue_ptr 0
		.amdhsa_user_sgpr_kernarg_segment_ptr 1
		.amdhsa_user_sgpr_dispatch_id 0
		.amdhsa_user_sgpr_flat_scratch_init 0
		.amdhsa_user_sgpr_private_segment_size 0
		.amdhsa_wavefront_size32 1
		.amdhsa_uses_dynamic_stack 0
		.amdhsa_system_sgpr_private_segment_wavefront_offset 0
		.amdhsa_system_sgpr_workgroup_id_x 1
		.amdhsa_system_sgpr_workgroup_id_y 0
		.amdhsa_system_sgpr_workgroup_id_z 0
		.amdhsa_system_sgpr_workgroup_info 0
		.amdhsa_system_vgpr_workitem_id 0
		.amdhsa_next_free_vgpr 119
		.amdhsa_next_free_sgpr 16
		.amdhsa_reserve_vcc 1
		.amdhsa_reserve_flat_scratch 0
		.amdhsa_float_round_mode_32 0
		.amdhsa_float_round_mode_16_64 0
		.amdhsa_float_denorm_mode_32 3
		.amdhsa_float_denorm_mode_16_64 3
		.amdhsa_dx10_clamp 1
		.amdhsa_ieee_mode 1
		.amdhsa_fp16_overflow 0
		.amdhsa_workgroup_processor_mode 1
		.amdhsa_memory_ordered 1
		.amdhsa_forward_progress 1
		.amdhsa_shared_vgpr_count 0
		.amdhsa_exception_fp_ieee_invalid_op 0
		.amdhsa_exception_fp_denorm_src 0
		.amdhsa_exception_fp_ieee_div_zero 0
		.amdhsa_exception_fp_ieee_overflow 0
		.amdhsa_exception_fp_ieee_underflow 0
		.amdhsa_exception_fp_ieee_inexact 0
		.amdhsa_exception_int_div_zero 0
	.end_amdhsa_kernel
	.section	.text._ZN9rocsparseL19gebsrmvn_2xn_kernelILj128ELj8ELj4E21rocsparse_complex_numIdEEEvi20rocsparse_direction_NS_24const_host_device_scalarIT2_EEPKiS8_PKS5_SA_S6_PS5_21rocsparse_index_base_b,"axG",@progbits,_ZN9rocsparseL19gebsrmvn_2xn_kernelILj128ELj8ELj4E21rocsparse_complex_numIdEEEvi20rocsparse_direction_NS_24const_host_device_scalarIT2_EEPKiS8_PKS5_SA_S6_PS5_21rocsparse_index_base_b,comdat
.Lfunc_end258:
	.size	_ZN9rocsparseL19gebsrmvn_2xn_kernelILj128ELj8ELj4E21rocsparse_complex_numIdEEEvi20rocsparse_direction_NS_24const_host_device_scalarIT2_EEPKiS8_PKS5_SA_S6_PS5_21rocsparse_index_base_b, .Lfunc_end258-_ZN9rocsparseL19gebsrmvn_2xn_kernelILj128ELj8ELj4E21rocsparse_complex_numIdEEEvi20rocsparse_direction_NS_24const_host_device_scalarIT2_EEPKiS8_PKS5_SA_S6_PS5_21rocsparse_index_base_b
                                        ; -- End function
	.set _ZN9rocsparseL19gebsrmvn_2xn_kernelILj128ELj8ELj4E21rocsparse_complex_numIdEEEvi20rocsparse_direction_NS_24const_host_device_scalarIT2_EEPKiS8_PKS5_SA_S6_PS5_21rocsparse_index_base_b.num_vgpr, 119
	.set _ZN9rocsparseL19gebsrmvn_2xn_kernelILj128ELj8ELj4E21rocsparse_complex_numIdEEEvi20rocsparse_direction_NS_24const_host_device_scalarIT2_EEPKiS8_PKS5_SA_S6_PS5_21rocsparse_index_base_b.num_agpr, 0
	.set _ZN9rocsparseL19gebsrmvn_2xn_kernelILj128ELj8ELj4E21rocsparse_complex_numIdEEEvi20rocsparse_direction_NS_24const_host_device_scalarIT2_EEPKiS8_PKS5_SA_S6_PS5_21rocsparse_index_base_b.numbered_sgpr, 16
	.set _ZN9rocsparseL19gebsrmvn_2xn_kernelILj128ELj8ELj4E21rocsparse_complex_numIdEEEvi20rocsparse_direction_NS_24const_host_device_scalarIT2_EEPKiS8_PKS5_SA_S6_PS5_21rocsparse_index_base_b.num_named_barrier, 0
	.set _ZN9rocsparseL19gebsrmvn_2xn_kernelILj128ELj8ELj4E21rocsparse_complex_numIdEEEvi20rocsparse_direction_NS_24const_host_device_scalarIT2_EEPKiS8_PKS5_SA_S6_PS5_21rocsparse_index_base_b.private_seg_size, 0
	.set _ZN9rocsparseL19gebsrmvn_2xn_kernelILj128ELj8ELj4E21rocsparse_complex_numIdEEEvi20rocsparse_direction_NS_24const_host_device_scalarIT2_EEPKiS8_PKS5_SA_S6_PS5_21rocsparse_index_base_b.uses_vcc, 1
	.set _ZN9rocsparseL19gebsrmvn_2xn_kernelILj128ELj8ELj4E21rocsparse_complex_numIdEEEvi20rocsparse_direction_NS_24const_host_device_scalarIT2_EEPKiS8_PKS5_SA_S6_PS5_21rocsparse_index_base_b.uses_flat_scratch, 0
	.set _ZN9rocsparseL19gebsrmvn_2xn_kernelILj128ELj8ELj4E21rocsparse_complex_numIdEEEvi20rocsparse_direction_NS_24const_host_device_scalarIT2_EEPKiS8_PKS5_SA_S6_PS5_21rocsparse_index_base_b.has_dyn_sized_stack, 0
	.set _ZN9rocsparseL19gebsrmvn_2xn_kernelILj128ELj8ELj4E21rocsparse_complex_numIdEEEvi20rocsparse_direction_NS_24const_host_device_scalarIT2_EEPKiS8_PKS5_SA_S6_PS5_21rocsparse_index_base_b.has_recursion, 0
	.set _ZN9rocsparseL19gebsrmvn_2xn_kernelILj128ELj8ELj4E21rocsparse_complex_numIdEEEvi20rocsparse_direction_NS_24const_host_device_scalarIT2_EEPKiS8_PKS5_SA_S6_PS5_21rocsparse_index_base_b.has_indirect_call, 0
	.section	.AMDGPU.csdata,"",@progbits
; Kernel info:
; codeLenInByte = 2908
; TotalNumSgprs: 18
; NumVgprs: 119
; ScratchSize: 0
; MemoryBound: 1
; FloatMode: 240
; IeeeMode: 1
; LDSByteSize: 0 bytes/workgroup (compile time only)
; SGPRBlocks: 0
; VGPRBlocks: 14
; NumSGPRsForWavesPerEU: 18
; NumVGPRsForWavesPerEU: 119
; Occupancy: 8
; WaveLimiterHint : 1
; COMPUTE_PGM_RSRC2:SCRATCH_EN: 0
; COMPUTE_PGM_RSRC2:USER_SGPR: 6
; COMPUTE_PGM_RSRC2:TRAP_HANDLER: 0
; COMPUTE_PGM_RSRC2:TGID_X_EN: 1
; COMPUTE_PGM_RSRC2:TGID_Y_EN: 0
; COMPUTE_PGM_RSRC2:TGID_Z_EN: 0
; COMPUTE_PGM_RSRC2:TIDIG_COMP_CNT: 0
	.section	.text._ZN9rocsparseL19gebsrmvn_2xn_kernelILj128ELj8ELj8E21rocsparse_complex_numIdEEEvi20rocsparse_direction_NS_24const_host_device_scalarIT2_EEPKiS8_PKS5_SA_S6_PS5_21rocsparse_index_base_b,"axG",@progbits,_ZN9rocsparseL19gebsrmvn_2xn_kernelILj128ELj8ELj8E21rocsparse_complex_numIdEEEvi20rocsparse_direction_NS_24const_host_device_scalarIT2_EEPKiS8_PKS5_SA_S6_PS5_21rocsparse_index_base_b,comdat
	.globl	_ZN9rocsparseL19gebsrmvn_2xn_kernelILj128ELj8ELj8E21rocsparse_complex_numIdEEEvi20rocsparse_direction_NS_24const_host_device_scalarIT2_EEPKiS8_PKS5_SA_S6_PS5_21rocsparse_index_base_b ; -- Begin function _ZN9rocsparseL19gebsrmvn_2xn_kernelILj128ELj8ELj8E21rocsparse_complex_numIdEEEvi20rocsparse_direction_NS_24const_host_device_scalarIT2_EEPKiS8_PKS5_SA_S6_PS5_21rocsparse_index_base_b
	.p2align	8
	.type	_ZN9rocsparseL19gebsrmvn_2xn_kernelILj128ELj8ELj8E21rocsparse_complex_numIdEEEvi20rocsparse_direction_NS_24const_host_device_scalarIT2_EEPKiS8_PKS5_SA_S6_PS5_21rocsparse_index_base_b,@function
_ZN9rocsparseL19gebsrmvn_2xn_kernelILj128ELj8ELj8E21rocsparse_complex_numIdEEEvi20rocsparse_direction_NS_24const_host_device_scalarIT2_EEPKiS8_PKS5_SA_S6_PS5_21rocsparse_index_base_b: ; @_ZN9rocsparseL19gebsrmvn_2xn_kernelILj128ELj8ELj8E21rocsparse_complex_numIdEEEvi20rocsparse_direction_NS_24const_host_device_scalarIT2_EEPKiS8_PKS5_SA_S6_PS5_21rocsparse_index_base_b
; %bb.0:
	s_clause 0x1
	s_load_dwordx2 s[2:3], s[4:5], 0x50
	s_load_dwordx2 s[0:1], s[4:5], 0x8
	s_add_u32 s7, s4, 8
	s_addc_u32 s10, s5, 0
	s_add_u32 s11, s4, 56
	s_addc_u32 s12, s5, 0
	s_load_dwordx2 s[8:9], s[4:5], 0x38
	s_waitcnt lgkmcnt(0)
	s_bitcmp1_b32 s3, 0
	s_cselect_b32 s0, s7, s0
	s_cselect_b32 s1, s10, s1
	v_mov_b32_e32 v1, s0
	v_mov_b32_e32 v2, s1
	s_cselect_b32 s0, s11, s8
	s_cselect_b32 s1, s12, s9
	v_mov_b32_e32 v5, s0
	v_mov_b32_e32 v6, s1
	flat_load_dwordx4 v[1:4], v[1:2]
	flat_load_dwordx4 v[5:8], v[5:6]
	s_waitcnt vmcnt(1) lgkmcnt(1)
	v_cmp_eq_f64_e32 vcc_lo, 0, v[1:2]
	v_cmp_eq_f64_e64 s0, 0, v[3:4]
	s_and_b32 s3, vcc_lo, s0
	s_mov_b32 s0, -1
	s_and_saveexec_b32 s1, s3
	s_cbranch_execz .LBB259_2
; %bb.1:
	s_waitcnt vmcnt(0) lgkmcnt(0)
	v_cmp_neq_f64_e32 vcc_lo, 1.0, v[5:6]
	v_cmp_neq_f64_e64 s0, 0, v[7:8]
	s_or_b32 s0, vcc_lo, s0
	s_orn2_b32 s0, s0, exec_lo
.LBB259_2:
	s_or_b32 exec_lo, exec_lo, s1
	s_and_saveexec_b32 s1, s0
	s_cbranch_execz .LBB259_21
; %bb.3:
	s_load_dwordx2 s[0:1], s[4:5], 0x0
	v_lshrrev_b32_e32 v9, 3, v0
	v_lshl_or_b32 v9, s6, 4, v9
	s_waitcnt lgkmcnt(0)
	v_cmp_gt_i32_e32 vcc_lo, s0, v9
	s_and_b32 exec_lo, exec_lo, vcc_lo
	s_cbranch_execz .LBB259_21
; %bb.4:
	s_load_dwordx8 s[8:15], s[4:5], 0x18
	v_ashrrev_i32_e32 v10, 31, v9
	v_and_b32_e32 v0, 7, v0
	s_cmp_lg_u32 s1, 0
	v_lshlrev_b64 v[10:11], 2, v[9:10]
	s_waitcnt lgkmcnt(0)
	v_add_co_u32 v10, vcc_lo, s8, v10
	v_add_co_ci_u32_e64 v11, null, s9, v11, vcc_lo
	global_load_dwordx2 v[10:11], v[10:11], off
	s_waitcnt vmcnt(0)
	v_subrev_nc_u32_e32 v10, s2, v10
	v_subrev_nc_u32_e32 v24, s2, v11
	v_add_nc_u32_e32 v10, v10, v0
	v_cmp_lt_i32_e64 s0, v10, v24
	s_cbranch_scc0 .LBB259_10
; %bb.5:
	v_mov_b32_e32 v12, 0
	v_mov_b32_e32 v18, 0
	;; [unrolled: 1-line block ×8, first 2 shown]
	s_and_saveexec_b32 s1, s0
	s_cbranch_execz .LBB259_9
; %bb.6:
	v_mov_b32_e32 v12, 0
	v_mov_b32_e32 v18, 0
	;; [unrolled: 1-line block ×4, first 2 shown]
	v_lshlrev_b32_e32 v20, 4, v10
	v_mov_b32_e32 v13, 0
	v_mov_b32_e32 v21, 0
	;; [unrolled: 1-line block ×6, first 2 shown]
	s_mov_b32 s3, 0
.LBB259_7:                              ; =>This Inner Loop Header: Depth=1
	v_ashrrev_i32_e32 v23, 31, v22
	v_mov_b32_e32 v34, v21
	v_lshlrev_b64 v[25:26], 2, v[22:23]
	v_add_nc_u32_e32 v22, 8, v22
	v_add_co_u32 v25, vcc_lo, s10, v25
	v_add_co_ci_u32_e64 v26, null, s11, v26, vcc_lo
	global_load_dword v11, v[25:26], off
	v_lshlrev_b64 v[25:26], 4, v[20:21]
	v_add_nc_u32_e32 v20, 0x80, v20
	v_add_co_u32 v113, vcc_lo, s12, v25
	v_add_co_ci_u32_e64 v114, null, s13, v26, vcc_lo
	s_clause 0x1
	global_load_dwordx4 v[25:28], v[113:114], off offset:16
	global_load_dwordx4 v[29:32], v[113:114], off
	s_waitcnt vmcnt(2)
	v_subrev_nc_u32_e32 v11, s2, v11
	v_lshlrev_b32_e32 v33, 3, v11
	v_lshlrev_b64 v[33:34], 4, v[33:34]
	v_add_co_u32 v117, vcc_lo, s14, v33
	v_add_co_ci_u32_e64 v118, null, s15, v34, vcc_lo
	v_cmp_ge_i32_e32 vcc_lo, v22, v24
	global_load_dwordx4 v[33:36], v[117:118], off
	s_clause 0x1
	global_load_dwordx4 v[37:40], v[113:114], off offset:48
	global_load_dwordx4 v[41:44], v[113:114], off offset:32
	global_load_dwordx4 v[45:48], v[117:118], off offset:16
	s_clause 0x1
	global_load_dwordx4 v[49:52], v[113:114], off offset:80
	global_load_dwordx4 v[53:56], v[113:114], off offset:64
	global_load_dwordx4 v[57:60], v[117:118], off offset:32
	;; [unrolled: 4-line block ×6, first 2 shown]
	s_clause 0x1
	global_load_dwordx4 v[109:112], v[113:114], off offset:224
	global_load_dwordx4 v[113:116], v[113:114], off offset:240
	s_or_b32 s3, vcc_lo, s3
	s_waitcnt vmcnt(20)
	v_fma_f64 v[18:19], v[29:30], v[33:34], v[18:19]
	v_fma_f64 v[11:12], v[31:32], v[33:34], v[12:13]
	;; [unrolled: 1-line block ×4, first 2 shown]
	v_fma_f64 v[18:19], -v[31:32], v[35:36], v[18:19]
	v_fma_f64 v[11:12], v[29:30], v[35:36], v[11:12]
	global_load_dwordx4 v[29:32], v[117:118], off offset:112
	v_fma_f64 v[13:14], -v[27:28], v[35:36], v[13:14]
	v_fma_f64 v[15:16], v[25:26], v[35:36], v[15:16]
	s_waitcnt vmcnt(18)
	v_fma_f64 v[17:18], v[41:42], v[45:46], v[18:19]
	v_fma_f64 v[11:12], v[43:44], v[45:46], v[11:12]
	v_fma_f64 v[13:14], v[37:38], v[45:46], v[13:14]
	v_fma_f64 v[15:16], v[39:40], v[45:46], v[15:16]
	v_fma_f64 v[17:18], -v[43:44], v[47:48], v[17:18]
	v_fma_f64 v[11:12], v[41:42], v[47:48], v[11:12]
	v_fma_f64 v[13:14], -v[39:40], v[47:48], v[13:14]
	v_fma_f64 v[15:16], v[37:38], v[47:48], v[15:16]
	s_waitcnt vmcnt(15)
	v_fma_f64 v[17:18], v[53:54], v[57:58], v[17:18]
	v_fma_f64 v[11:12], v[55:56], v[57:58], v[11:12]
	v_fma_f64 v[13:14], v[49:50], v[57:58], v[13:14]
	v_fma_f64 v[15:16], v[51:52], v[57:58], v[15:16]
	v_fma_f64 v[17:18], -v[55:56], v[59:60], v[17:18]
	v_fma_f64 v[11:12], v[53:54], v[59:60], v[11:12]
	;; [unrolled: 9-line block ×7, first 2 shown]
	v_fma_f64 v[14:15], -v[115:116], v[31:32], v[25:26]
	v_fma_f64 v[16:17], v[113:114], v[31:32], v[27:28]
	s_andn2_b32 exec_lo, exec_lo, s3
	s_cbranch_execnz .LBB259_7
; %bb.8:
	s_or_b32 exec_lo, exec_lo, s3
.LBB259_9:
	s_or_b32 exec_lo, exec_lo, s1
	s_cbranch_execz .LBB259_11
	s_branch .LBB259_16
.LBB259_10:
                                        ; implicit-def: $vgpr12_vgpr13
                                        ; implicit-def: $vgpr18_vgpr19
                                        ; implicit-def: $vgpr14_vgpr15
                                        ; implicit-def: $vgpr16_vgpr17
.LBB259_11:
	v_mov_b32_e32 v12, 0
	v_mov_b32_e32 v18, 0
	;; [unrolled: 1-line block ×8, first 2 shown]
	s_and_saveexec_b32 s1, s0
	s_cbranch_execz .LBB259_15
; %bb.12:
	v_mov_b32_e32 v12, 0
	v_mov_b32_e32 v18, 0
	;; [unrolled: 1-line block ×4, first 2 shown]
	v_lshlrev_b32_e32 v20, 4, v10
	v_mov_b32_e32 v13, 0
	v_mov_b32_e32 v19, 0
	;; [unrolled: 1-line block ×5, first 2 shown]
	s_mov_b32 s0, 0
.LBB259_13:                             ; =>This Inner Loop Header: Depth=1
	v_ashrrev_i32_e32 v11, 31, v10
	v_mov_b32_e32 v42, v21
	v_lshlrev_b64 v[22:23], 2, v[10:11]
	v_add_nc_u32_e32 v10, 8, v10
	v_add_co_u32 v22, vcc_lo, s10, v22
	v_add_co_ci_u32_e64 v23, null, s11, v23, vcc_lo
	global_load_dword v11, v[22:23], off
	v_lshlrev_b64 v[22:23], 4, v[20:21]
	v_add_nc_u32_e32 v20, 0x80, v20
	v_add_co_u32 v22, vcc_lo, s12, v22
	v_add_co_ci_u32_e64 v23, null, s13, v23, vcc_lo
	s_clause 0x3
	global_load_dwordx4 v[25:28], v[22:23], off offset:16
	global_load_dwordx4 v[29:32], v[22:23], off
	global_load_dwordx4 v[33:36], v[22:23], off offset:144
	global_load_dwordx4 v[37:40], v[22:23], off offset:128
	s_waitcnt vmcnt(4)
	v_subrev_nc_u32_e32 v11, s2, v11
	v_lshlrev_b32_e32 v41, 3, v11
	v_lshlrev_b64 v[41:42], 4, v[41:42]
	v_add_co_u32 v97, vcc_lo, s14, v41
	v_add_co_ci_u32_e64 v98, null, s15, v42, vcc_lo
	v_cmp_ge_i32_e32 vcc_lo, v10, v24
	s_clause 0x1
	global_load_dwordx4 v[41:44], v[97:98], off
	global_load_dwordx4 v[45:48], v[97:98], off offset:16
	s_clause 0x3
	global_load_dwordx4 v[49:52], v[22:23], off offset:48
	global_load_dwordx4 v[53:56], v[22:23], off offset:32
	;; [unrolled: 1-line block ×4, first 2 shown]
	s_clause 0x1
	global_load_dwordx4 v[65:68], v[97:98], off offset:32
	global_load_dwordx4 v[69:72], v[97:98], off offset:48
	s_clause 0x3
	global_load_dwordx4 v[73:76], v[22:23], off offset:80
	global_load_dwordx4 v[77:80], v[22:23], off offset:64
	;; [unrolled: 1-line block ×6, first 2 shown]
	s_or_b32 s0, vcc_lo, s0
	s_waitcnt vmcnt(13)
	v_fma_f64 v[18:19], v[29:30], v[41:42], v[18:19]
	v_fma_f64 v[11:12], v[31:32], v[41:42], v[12:13]
	v_fma_f64 v[99:100], -v[31:32], v[43:44], v[18:19]
	v_fma_f64 v[101:102], v[29:30], v[43:44], v[11:12]
	global_load_dwordx4 v[29:32], v[97:98], off offset:80
	v_fma_f64 v[11:12], v[37:38], v[41:42], v[14:15]
	v_fma_f64 v[13:14], v[39:40], v[41:42], v[16:17]
	v_fma_f64 v[41:42], -v[39:40], v[43:44], v[11:12]
	v_fma_f64 v[43:44], v[37:38], v[43:44], v[13:14]
	s_clause 0x2
	global_load_dwordx4 v[11:14], v[22:23], off offset:96
	global_load_dwordx4 v[37:40], v[22:23], off offset:240
	;; [unrolled: 1-line block ×3, first 2 shown]
	s_waitcnt vmcnt(16)
	v_fma_f64 v[22:23], v[25:26], v[45:46], v[99:100]
	v_fma_f64 v[99:100], v[27:28], v[45:46], v[101:102]
	v_fma_f64 v[41:42], v[33:34], v[45:46], v[41:42]
	v_fma_f64 v[43:44], v[35:36], v[45:46], v[43:44]
	v_fma_f64 v[22:23], -v[27:28], v[47:48], v[22:23]
	v_fma_f64 v[99:100], v[25:26], v[47:48], v[99:100]
	global_load_dwordx4 v[25:28], v[97:98], off offset:96
	v_fma_f64 v[41:42], -v[35:36], v[47:48], v[41:42]
	v_fma_f64 v[43:44], v[33:34], v[47:48], v[43:44]
	global_load_dwordx4 v[33:36], v[97:98], off offset:112
	s_waitcnt vmcnt(13)
	v_fma_f64 v[22:23], v[53:54], v[65:66], v[22:23]
	v_fma_f64 v[45:46], v[55:56], v[65:66], v[99:100]
	v_fma_f64 v[41:42], v[61:62], v[65:66], v[41:42]
	v_fma_f64 v[43:44], v[63:64], v[65:66], v[43:44]
	v_fma_f64 v[22:23], -v[55:56], v[67:68], v[22:23]
	v_fma_f64 v[45:46], v[53:54], v[67:68], v[45:46]
	v_fma_f64 v[41:42], -v[63:64], v[67:68], v[41:42]
	v_fma_f64 v[43:44], v[61:62], v[67:68], v[43:44]
	s_waitcnt vmcnt(12)
	v_fma_f64 v[22:23], v[49:50], v[69:70], v[22:23]
	v_fma_f64 v[45:46], v[51:52], v[69:70], v[45:46]
	v_fma_f64 v[41:42], v[57:58], v[69:70], v[41:42]
	v_fma_f64 v[43:44], v[59:60], v[69:70], v[43:44]
	v_fma_f64 v[22:23], -v[51:52], v[71:72], v[22:23]
	v_fma_f64 v[45:46], v[49:50], v[71:72], v[45:46]
	v_fma_f64 v[41:42], -v[59:60], v[71:72], v[41:42]
	v_fma_f64 v[43:44], v[57:58], v[71:72], v[43:44]
	;; [unrolled: 9-line block ×6, first 2 shown]
	s_andn2_b32 exec_lo, exec_lo, s0
	s_cbranch_execnz .LBB259_13
; %bb.14:
	s_or_b32 exec_lo, exec_lo, s0
.LBB259_15:
	s_or_b32 exec_lo, exec_lo, s1
.LBB259_16:
	v_mbcnt_lo_u32_b32 v26, -1, 0
	v_xor_b32_e32 v10, 4, v26
	v_cmp_gt_i32_e32 vcc_lo, 32, v10
	v_cndmask_b32_e32 v10, v26, v10, vcc_lo
	v_lshlrev_b32_e32 v25, 2, v10
	ds_bpermute_b32 v10, v25, v18
	ds_bpermute_b32 v11, v25, v19
	;; [unrolled: 1-line block ×8, first 2 shown]
	s_waitcnt lgkmcnt(6)
	v_add_f64 v[10:11], v[18:19], v[10:11]
	s_waitcnt lgkmcnt(4)
	v_add_f64 v[12:13], v[12:13], v[20:21]
	;; [unrolled: 2-line block ×4, first 2 shown]
	v_xor_b32_e32 v16, 2, v26
	v_cmp_gt_i32_e32 vcc_lo, 32, v16
	v_cndmask_b32_e32 v16, v26, v16, vcc_lo
	v_lshlrev_b32_e32 v25, 2, v16
	ds_bpermute_b32 v16, v25, v10
	ds_bpermute_b32 v17, v25, v11
	;; [unrolled: 1-line block ×8, first 2 shown]
	s_waitcnt lgkmcnt(6)
	v_add_f64 v[10:11], v[10:11], v[16:17]
	s_waitcnt lgkmcnt(4)
	v_add_f64 v[16:17], v[12:13], v[20:21]
	;; [unrolled: 2-line block ×4, first 2 shown]
	v_xor_b32_e32 v18, 1, v26
	v_cmp_gt_i32_e32 vcc_lo, 32, v18
	v_cndmask_b32_e32 v18, v26, v18, vcc_lo
	v_cmp_eq_u32_e32 vcc_lo, 7, v0
	v_lshlrev_b32_e32 v21, 2, v18
	ds_bpermute_b32 v24, v21, v10
	ds_bpermute_b32 v25, v21, v11
	;; [unrolled: 1-line block ×8, first 2 shown]
	s_and_b32 exec_lo, exec_lo, vcc_lo
	s_cbranch_execz .LBB259_21
; %bb.17:
	v_cmp_eq_f64_e32 vcc_lo, 0, v[5:6]
	v_cmp_eq_f64_e64 s0, 0, v[7:8]
	s_waitcnt lgkmcnt(6)
	v_add_f64 v[10:11], v[10:11], v[24:25]
	s_waitcnt lgkmcnt(4)
	v_add_f64 v[16:17], v[16:17], v[22:23]
	;; [unrolled: 2-line block ×4, first 2 shown]
	s_load_dwordx2 s[2:3], s[4:5], 0x48
	s_and_b32 s0, vcc_lo, s0
	s_and_saveexec_b32 s1, s0
	s_xor_b32 s0, exec_lo, s1
	s_cbranch_execz .LBB259_19
; %bb.18:
	v_mul_f64 v[5:6], v[16:17], -v[3:4]
	v_mul_f64 v[7:8], v[1:2], v[16:17]
	v_mul_f64 v[16:17], v[14:15], -v[3:4]
	v_mul_f64 v[14:15], v[1:2], v[14:15]
	v_lshlrev_b32_e32 v9, 1, v9
	v_fma_f64 v[5:6], v[1:2], v[10:11], v[5:6]
	v_fma_f64 v[7:8], v[3:4], v[10:11], v[7:8]
	;; [unrolled: 1-line block ×4, first 2 shown]
	v_ashrrev_i32_e32 v10, 31, v9
                                        ; implicit-def: $vgpr16_vgpr17
                                        ; implicit-def: $vgpr12_vgpr13
                                        ; implicit-def: $vgpr14_vgpr15
	v_lshlrev_b64 v[9:10], 4, v[9:10]
	s_waitcnt lgkmcnt(0)
	v_add_co_u32 v9, vcc_lo, s2, v9
	v_add_co_ci_u32_e64 v10, null, s3, v10, vcc_lo
	global_store_dwordx4 v[9:10], v[5:8], off
	global_store_dwordx4 v[9:10], v[0:3], off offset:16
                                        ; implicit-def: $vgpr9
                                        ; implicit-def: $vgpr10_vgpr11
                                        ; implicit-def: $vgpr7_vgpr8
                                        ; implicit-def: $vgpr3_vgpr4
.LBB259_19:
	s_andn2_saveexec_b32 s0, s0
	s_cbranch_execz .LBB259_21
; %bb.20:
	v_lshlrev_b32_e32 v18, 1, v9
	v_mul_f64 v[28:29], v[16:17], -v[3:4]
	v_mul_f64 v[16:17], v[1:2], v[16:17]
	v_mul_f64 v[30:31], v[14:15], -v[3:4]
	v_mul_f64 v[14:15], v[1:2], v[14:15]
	v_ashrrev_i32_e32 v19, 31, v18
	v_lshlrev_b64 v[18:19], 4, v[18:19]
	s_waitcnt lgkmcnt(0)
	v_add_co_u32 v26, vcc_lo, s2, v18
	v_add_co_ci_u32_e64 v27, null, s3, v19, vcc_lo
	s_clause 0x1
	global_load_dwordx4 v[18:21], v[26:27], off
	global_load_dwordx4 v[22:25], v[26:27], off offset:16
	v_fma_f64 v[28:29], v[1:2], v[10:11], v[28:29]
	v_fma_f64 v[9:10], v[3:4], v[10:11], v[16:17]
	;; [unrolled: 1-line block ×4, first 2 shown]
	s_waitcnt vmcnt(1)
	v_fma_f64 v[11:12], v[5:6], v[18:19], v[28:29]
	v_fma_f64 v[9:10], v[7:8], v[18:19], v[9:10]
	s_waitcnt vmcnt(0)
	v_fma_f64 v[13:14], v[5:6], v[22:23], v[0:1]
	v_fma_f64 v[15:16], v[7:8], v[22:23], v[2:3]
	v_fma_f64 v[0:1], -v[7:8], v[20:21], v[11:12]
	v_fma_f64 v[2:3], v[5:6], v[20:21], v[9:10]
	v_fma_f64 v[7:8], -v[7:8], v[24:25], v[13:14]
	v_fma_f64 v[9:10], v[5:6], v[24:25], v[15:16]
	global_store_dwordx4 v[26:27], v[0:3], off
	global_store_dwordx4 v[26:27], v[7:10], off offset:16
.LBB259_21:
	s_endpgm
	.section	.rodata,"a",@progbits
	.p2align	6, 0x0
	.amdhsa_kernel _ZN9rocsparseL19gebsrmvn_2xn_kernelILj128ELj8ELj8E21rocsparse_complex_numIdEEEvi20rocsparse_direction_NS_24const_host_device_scalarIT2_EEPKiS8_PKS5_SA_S6_PS5_21rocsparse_index_base_b
		.amdhsa_group_segment_fixed_size 0
		.amdhsa_private_segment_fixed_size 0
		.amdhsa_kernarg_size 88
		.amdhsa_user_sgpr_count 6
		.amdhsa_user_sgpr_private_segment_buffer 1
		.amdhsa_user_sgpr_dispatch_ptr 0
		.amdhsa_user_sgpr_queue_ptr 0
		.amdhsa_user_sgpr_kernarg_segment_ptr 1
		.amdhsa_user_sgpr_dispatch_id 0
		.amdhsa_user_sgpr_flat_scratch_init 0
		.amdhsa_user_sgpr_private_segment_size 0
		.amdhsa_wavefront_size32 1
		.amdhsa_uses_dynamic_stack 0
		.amdhsa_system_sgpr_private_segment_wavefront_offset 0
		.amdhsa_system_sgpr_workgroup_id_x 1
		.amdhsa_system_sgpr_workgroup_id_y 0
		.amdhsa_system_sgpr_workgroup_id_z 0
		.amdhsa_system_sgpr_workgroup_info 0
		.amdhsa_system_vgpr_workitem_id 0
		.amdhsa_next_free_vgpr 119
		.amdhsa_next_free_sgpr 16
		.amdhsa_reserve_vcc 1
		.amdhsa_reserve_flat_scratch 0
		.amdhsa_float_round_mode_32 0
		.amdhsa_float_round_mode_16_64 0
		.amdhsa_float_denorm_mode_32 3
		.amdhsa_float_denorm_mode_16_64 3
		.amdhsa_dx10_clamp 1
		.amdhsa_ieee_mode 1
		.amdhsa_fp16_overflow 0
		.amdhsa_workgroup_processor_mode 1
		.amdhsa_memory_ordered 1
		.amdhsa_forward_progress 1
		.amdhsa_shared_vgpr_count 0
		.amdhsa_exception_fp_ieee_invalid_op 0
		.amdhsa_exception_fp_denorm_src 0
		.amdhsa_exception_fp_ieee_div_zero 0
		.amdhsa_exception_fp_ieee_overflow 0
		.amdhsa_exception_fp_ieee_underflow 0
		.amdhsa_exception_fp_ieee_inexact 0
		.amdhsa_exception_int_div_zero 0
	.end_amdhsa_kernel
	.section	.text._ZN9rocsparseL19gebsrmvn_2xn_kernelILj128ELj8ELj8E21rocsparse_complex_numIdEEEvi20rocsparse_direction_NS_24const_host_device_scalarIT2_EEPKiS8_PKS5_SA_S6_PS5_21rocsparse_index_base_b,"axG",@progbits,_ZN9rocsparseL19gebsrmvn_2xn_kernelILj128ELj8ELj8E21rocsparse_complex_numIdEEEvi20rocsparse_direction_NS_24const_host_device_scalarIT2_EEPKiS8_PKS5_SA_S6_PS5_21rocsparse_index_base_b,comdat
.Lfunc_end259:
	.size	_ZN9rocsparseL19gebsrmvn_2xn_kernelILj128ELj8ELj8E21rocsparse_complex_numIdEEEvi20rocsparse_direction_NS_24const_host_device_scalarIT2_EEPKiS8_PKS5_SA_S6_PS5_21rocsparse_index_base_b, .Lfunc_end259-_ZN9rocsparseL19gebsrmvn_2xn_kernelILj128ELj8ELj8E21rocsparse_complex_numIdEEEvi20rocsparse_direction_NS_24const_host_device_scalarIT2_EEPKiS8_PKS5_SA_S6_PS5_21rocsparse_index_base_b
                                        ; -- End function
	.set _ZN9rocsparseL19gebsrmvn_2xn_kernelILj128ELj8ELj8E21rocsparse_complex_numIdEEEvi20rocsparse_direction_NS_24const_host_device_scalarIT2_EEPKiS8_PKS5_SA_S6_PS5_21rocsparse_index_base_b.num_vgpr, 119
	.set _ZN9rocsparseL19gebsrmvn_2xn_kernelILj128ELj8ELj8E21rocsparse_complex_numIdEEEvi20rocsparse_direction_NS_24const_host_device_scalarIT2_EEPKiS8_PKS5_SA_S6_PS5_21rocsparse_index_base_b.num_agpr, 0
	.set _ZN9rocsparseL19gebsrmvn_2xn_kernelILj128ELj8ELj8E21rocsparse_complex_numIdEEEvi20rocsparse_direction_NS_24const_host_device_scalarIT2_EEPKiS8_PKS5_SA_S6_PS5_21rocsparse_index_base_b.numbered_sgpr, 16
	.set _ZN9rocsparseL19gebsrmvn_2xn_kernelILj128ELj8ELj8E21rocsparse_complex_numIdEEEvi20rocsparse_direction_NS_24const_host_device_scalarIT2_EEPKiS8_PKS5_SA_S6_PS5_21rocsparse_index_base_b.num_named_barrier, 0
	.set _ZN9rocsparseL19gebsrmvn_2xn_kernelILj128ELj8ELj8E21rocsparse_complex_numIdEEEvi20rocsparse_direction_NS_24const_host_device_scalarIT2_EEPKiS8_PKS5_SA_S6_PS5_21rocsparse_index_base_b.private_seg_size, 0
	.set _ZN9rocsparseL19gebsrmvn_2xn_kernelILj128ELj8ELj8E21rocsparse_complex_numIdEEEvi20rocsparse_direction_NS_24const_host_device_scalarIT2_EEPKiS8_PKS5_SA_S6_PS5_21rocsparse_index_base_b.uses_vcc, 1
	.set _ZN9rocsparseL19gebsrmvn_2xn_kernelILj128ELj8ELj8E21rocsparse_complex_numIdEEEvi20rocsparse_direction_NS_24const_host_device_scalarIT2_EEPKiS8_PKS5_SA_S6_PS5_21rocsparse_index_base_b.uses_flat_scratch, 0
	.set _ZN9rocsparseL19gebsrmvn_2xn_kernelILj128ELj8ELj8E21rocsparse_complex_numIdEEEvi20rocsparse_direction_NS_24const_host_device_scalarIT2_EEPKiS8_PKS5_SA_S6_PS5_21rocsparse_index_base_b.has_dyn_sized_stack, 0
	.set _ZN9rocsparseL19gebsrmvn_2xn_kernelILj128ELj8ELj8E21rocsparse_complex_numIdEEEvi20rocsparse_direction_NS_24const_host_device_scalarIT2_EEPKiS8_PKS5_SA_S6_PS5_21rocsparse_index_base_b.has_recursion, 0
	.set _ZN9rocsparseL19gebsrmvn_2xn_kernelILj128ELj8ELj8E21rocsparse_complex_numIdEEEvi20rocsparse_direction_NS_24const_host_device_scalarIT2_EEPKiS8_PKS5_SA_S6_PS5_21rocsparse_index_base_b.has_indirect_call, 0
	.section	.AMDGPU.csdata,"",@progbits
; Kernel info:
; codeLenInByte = 3044
; TotalNumSgprs: 18
; NumVgprs: 119
; ScratchSize: 0
; MemoryBound: 1
; FloatMode: 240
; IeeeMode: 1
; LDSByteSize: 0 bytes/workgroup (compile time only)
; SGPRBlocks: 0
; VGPRBlocks: 14
; NumSGPRsForWavesPerEU: 18
; NumVGPRsForWavesPerEU: 119
; Occupancy: 8
; WaveLimiterHint : 1
; COMPUTE_PGM_RSRC2:SCRATCH_EN: 0
; COMPUTE_PGM_RSRC2:USER_SGPR: 6
; COMPUTE_PGM_RSRC2:TRAP_HANDLER: 0
; COMPUTE_PGM_RSRC2:TGID_X_EN: 1
; COMPUTE_PGM_RSRC2:TGID_Y_EN: 0
; COMPUTE_PGM_RSRC2:TGID_Z_EN: 0
; COMPUTE_PGM_RSRC2:TIDIG_COMP_CNT: 0
	.section	.text._ZN9rocsparseL19gebsrmvn_2xn_kernelILj128ELj8ELj16E21rocsparse_complex_numIdEEEvi20rocsparse_direction_NS_24const_host_device_scalarIT2_EEPKiS8_PKS5_SA_S6_PS5_21rocsparse_index_base_b,"axG",@progbits,_ZN9rocsparseL19gebsrmvn_2xn_kernelILj128ELj8ELj16E21rocsparse_complex_numIdEEEvi20rocsparse_direction_NS_24const_host_device_scalarIT2_EEPKiS8_PKS5_SA_S6_PS5_21rocsparse_index_base_b,comdat
	.globl	_ZN9rocsparseL19gebsrmvn_2xn_kernelILj128ELj8ELj16E21rocsparse_complex_numIdEEEvi20rocsparse_direction_NS_24const_host_device_scalarIT2_EEPKiS8_PKS5_SA_S6_PS5_21rocsparse_index_base_b ; -- Begin function _ZN9rocsparseL19gebsrmvn_2xn_kernelILj128ELj8ELj16E21rocsparse_complex_numIdEEEvi20rocsparse_direction_NS_24const_host_device_scalarIT2_EEPKiS8_PKS5_SA_S6_PS5_21rocsparse_index_base_b
	.p2align	8
	.type	_ZN9rocsparseL19gebsrmvn_2xn_kernelILj128ELj8ELj16E21rocsparse_complex_numIdEEEvi20rocsparse_direction_NS_24const_host_device_scalarIT2_EEPKiS8_PKS5_SA_S6_PS5_21rocsparse_index_base_b,@function
_ZN9rocsparseL19gebsrmvn_2xn_kernelILj128ELj8ELj16E21rocsparse_complex_numIdEEEvi20rocsparse_direction_NS_24const_host_device_scalarIT2_EEPKiS8_PKS5_SA_S6_PS5_21rocsparse_index_base_b: ; @_ZN9rocsparseL19gebsrmvn_2xn_kernelILj128ELj8ELj16E21rocsparse_complex_numIdEEEvi20rocsparse_direction_NS_24const_host_device_scalarIT2_EEPKiS8_PKS5_SA_S6_PS5_21rocsparse_index_base_b
; %bb.0:
	s_clause 0x1
	s_load_dwordx2 s[2:3], s[4:5], 0x50
	s_load_dwordx2 s[0:1], s[4:5], 0x8
	s_add_u32 s7, s4, 8
	s_addc_u32 s10, s5, 0
	s_add_u32 s11, s4, 56
	s_addc_u32 s12, s5, 0
	s_load_dwordx2 s[8:9], s[4:5], 0x38
	s_waitcnt lgkmcnt(0)
	s_bitcmp1_b32 s3, 0
	s_cselect_b32 s0, s7, s0
	s_cselect_b32 s1, s10, s1
	v_mov_b32_e32 v1, s0
	v_mov_b32_e32 v2, s1
	s_cselect_b32 s0, s11, s8
	s_cselect_b32 s1, s12, s9
	v_mov_b32_e32 v5, s0
	v_mov_b32_e32 v6, s1
	flat_load_dwordx4 v[1:4], v[1:2]
	flat_load_dwordx4 v[5:8], v[5:6]
	s_waitcnt vmcnt(1) lgkmcnt(1)
	v_cmp_eq_f64_e32 vcc_lo, 0, v[1:2]
	v_cmp_eq_f64_e64 s0, 0, v[3:4]
	s_and_b32 s3, vcc_lo, s0
	s_mov_b32 s0, -1
	s_and_saveexec_b32 s1, s3
	s_cbranch_execz .LBB260_2
; %bb.1:
	s_waitcnt vmcnt(0) lgkmcnt(0)
	v_cmp_neq_f64_e32 vcc_lo, 1.0, v[5:6]
	v_cmp_neq_f64_e64 s0, 0, v[7:8]
	s_or_b32 s0, vcc_lo, s0
	s_orn2_b32 s0, s0, exec_lo
.LBB260_2:
	s_or_b32 exec_lo, exec_lo, s1
	s_and_saveexec_b32 s1, s0
	s_cbranch_execz .LBB260_21
; %bb.3:
	s_load_dwordx2 s[0:1], s[4:5], 0x0
	v_lshrrev_b32_e32 v9, 4, v0
	v_lshl_or_b32 v9, s6, 3, v9
	s_waitcnt lgkmcnt(0)
	v_cmp_gt_i32_e32 vcc_lo, s0, v9
	s_and_b32 exec_lo, exec_lo, vcc_lo
	s_cbranch_execz .LBB260_21
; %bb.4:
	s_load_dwordx8 s[8:15], s[4:5], 0x18
	v_ashrrev_i32_e32 v10, 31, v9
	v_and_b32_e32 v0, 15, v0
	s_cmp_lg_u32 s1, 0
	v_lshlrev_b64 v[10:11], 2, v[9:10]
	s_waitcnt lgkmcnt(0)
	v_add_co_u32 v10, vcc_lo, s8, v10
	v_add_co_ci_u32_e64 v11, null, s9, v11, vcc_lo
	global_load_dwordx2 v[10:11], v[10:11], off
	s_waitcnt vmcnt(0)
	v_subrev_nc_u32_e32 v10, s2, v10
	v_subrev_nc_u32_e32 v24, s2, v11
	v_add_nc_u32_e32 v10, v10, v0
	v_cmp_lt_i32_e64 s0, v10, v24
	s_cbranch_scc0 .LBB260_10
; %bb.5:
	v_mov_b32_e32 v12, 0
	v_mov_b32_e32 v18, 0
	;; [unrolled: 1-line block ×8, first 2 shown]
	s_and_saveexec_b32 s1, s0
	s_cbranch_execz .LBB260_9
; %bb.6:
	v_mov_b32_e32 v12, 0
	v_mov_b32_e32 v18, 0
	;; [unrolled: 1-line block ×4, first 2 shown]
	v_lshlrev_b32_e32 v20, 4, v10
	v_mov_b32_e32 v13, 0
	v_mov_b32_e32 v21, 0
	;; [unrolled: 1-line block ×6, first 2 shown]
	s_mov_b32 s3, 0
.LBB260_7:                              ; =>This Inner Loop Header: Depth=1
	v_ashrrev_i32_e32 v23, 31, v22
	v_mov_b32_e32 v34, v21
	v_lshlrev_b64 v[25:26], 2, v[22:23]
	v_add_nc_u32_e32 v22, 16, v22
	v_add_co_u32 v25, vcc_lo, s10, v25
	v_add_co_ci_u32_e64 v26, null, s11, v26, vcc_lo
	global_load_dword v11, v[25:26], off
	v_lshlrev_b64 v[25:26], 4, v[20:21]
	v_add_nc_u32_e32 v20, 0x100, v20
	v_add_co_u32 v113, vcc_lo, s12, v25
	v_add_co_ci_u32_e64 v114, null, s13, v26, vcc_lo
	s_clause 0x1
	global_load_dwordx4 v[25:28], v[113:114], off offset:16
	global_load_dwordx4 v[29:32], v[113:114], off
	s_waitcnt vmcnt(2)
	v_subrev_nc_u32_e32 v11, s2, v11
	v_lshlrev_b32_e32 v33, 3, v11
	v_lshlrev_b64 v[33:34], 4, v[33:34]
	v_add_co_u32 v117, vcc_lo, s14, v33
	v_add_co_ci_u32_e64 v118, null, s15, v34, vcc_lo
	v_cmp_ge_i32_e32 vcc_lo, v22, v24
	global_load_dwordx4 v[33:36], v[117:118], off
	s_clause 0x1
	global_load_dwordx4 v[37:40], v[113:114], off offset:48
	global_load_dwordx4 v[41:44], v[113:114], off offset:32
	global_load_dwordx4 v[45:48], v[117:118], off offset:16
	s_clause 0x1
	global_load_dwordx4 v[49:52], v[113:114], off offset:80
	global_load_dwordx4 v[53:56], v[113:114], off offset:64
	global_load_dwordx4 v[57:60], v[117:118], off offset:32
	;; [unrolled: 4-line block ×6, first 2 shown]
	s_clause 0x1
	global_load_dwordx4 v[109:112], v[113:114], off offset:224
	global_load_dwordx4 v[113:116], v[113:114], off offset:240
	s_or_b32 s3, vcc_lo, s3
	s_waitcnt vmcnt(20)
	v_fma_f64 v[18:19], v[29:30], v[33:34], v[18:19]
	v_fma_f64 v[11:12], v[31:32], v[33:34], v[12:13]
	;; [unrolled: 1-line block ×4, first 2 shown]
	v_fma_f64 v[18:19], -v[31:32], v[35:36], v[18:19]
	v_fma_f64 v[11:12], v[29:30], v[35:36], v[11:12]
	global_load_dwordx4 v[29:32], v[117:118], off offset:112
	v_fma_f64 v[13:14], -v[27:28], v[35:36], v[13:14]
	v_fma_f64 v[15:16], v[25:26], v[35:36], v[15:16]
	s_waitcnt vmcnt(18)
	v_fma_f64 v[17:18], v[41:42], v[45:46], v[18:19]
	v_fma_f64 v[11:12], v[43:44], v[45:46], v[11:12]
	v_fma_f64 v[13:14], v[37:38], v[45:46], v[13:14]
	v_fma_f64 v[15:16], v[39:40], v[45:46], v[15:16]
	v_fma_f64 v[17:18], -v[43:44], v[47:48], v[17:18]
	v_fma_f64 v[11:12], v[41:42], v[47:48], v[11:12]
	v_fma_f64 v[13:14], -v[39:40], v[47:48], v[13:14]
	v_fma_f64 v[15:16], v[37:38], v[47:48], v[15:16]
	s_waitcnt vmcnt(15)
	v_fma_f64 v[17:18], v[53:54], v[57:58], v[17:18]
	v_fma_f64 v[11:12], v[55:56], v[57:58], v[11:12]
	v_fma_f64 v[13:14], v[49:50], v[57:58], v[13:14]
	v_fma_f64 v[15:16], v[51:52], v[57:58], v[15:16]
	v_fma_f64 v[17:18], -v[55:56], v[59:60], v[17:18]
	v_fma_f64 v[11:12], v[53:54], v[59:60], v[11:12]
	;; [unrolled: 9-line block ×7, first 2 shown]
	v_fma_f64 v[14:15], -v[115:116], v[31:32], v[25:26]
	v_fma_f64 v[16:17], v[113:114], v[31:32], v[27:28]
	s_andn2_b32 exec_lo, exec_lo, s3
	s_cbranch_execnz .LBB260_7
; %bb.8:
	s_or_b32 exec_lo, exec_lo, s3
.LBB260_9:
	s_or_b32 exec_lo, exec_lo, s1
	s_cbranch_execz .LBB260_11
	s_branch .LBB260_16
.LBB260_10:
                                        ; implicit-def: $vgpr12_vgpr13
                                        ; implicit-def: $vgpr18_vgpr19
                                        ; implicit-def: $vgpr14_vgpr15
                                        ; implicit-def: $vgpr16_vgpr17
.LBB260_11:
	v_mov_b32_e32 v12, 0
	v_mov_b32_e32 v18, 0
	;; [unrolled: 1-line block ×8, first 2 shown]
	s_and_saveexec_b32 s1, s0
	s_cbranch_execz .LBB260_15
; %bb.12:
	v_mov_b32_e32 v12, 0
	v_mov_b32_e32 v18, 0
	;; [unrolled: 1-line block ×4, first 2 shown]
	v_lshlrev_b32_e32 v20, 4, v10
	v_mov_b32_e32 v13, 0
	v_mov_b32_e32 v19, 0
	;; [unrolled: 1-line block ×5, first 2 shown]
	s_mov_b32 s0, 0
.LBB260_13:                             ; =>This Inner Loop Header: Depth=1
	v_ashrrev_i32_e32 v11, 31, v10
	v_mov_b32_e32 v42, v21
	v_lshlrev_b64 v[22:23], 2, v[10:11]
	v_add_nc_u32_e32 v10, 16, v10
	v_add_co_u32 v22, vcc_lo, s10, v22
	v_add_co_ci_u32_e64 v23, null, s11, v23, vcc_lo
	global_load_dword v11, v[22:23], off
	v_lshlrev_b64 v[22:23], 4, v[20:21]
	v_add_nc_u32_e32 v20, 0x100, v20
	v_add_co_u32 v22, vcc_lo, s12, v22
	v_add_co_ci_u32_e64 v23, null, s13, v23, vcc_lo
	s_clause 0x3
	global_load_dwordx4 v[25:28], v[22:23], off offset:16
	global_load_dwordx4 v[29:32], v[22:23], off
	global_load_dwordx4 v[33:36], v[22:23], off offset:144
	global_load_dwordx4 v[37:40], v[22:23], off offset:128
	s_waitcnt vmcnt(4)
	v_subrev_nc_u32_e32 v11, s2, v11
	v_lshlrev_b32_e32 v41, 3, v11
	v_lshlrev_b64 v[41:42], 4, v[41:42]
	v_add_co_u32 v97, vcc_lo, s14, v41
	v_add_co_ci_u32_e64 v98, null, s15, v42, vcc_lo
	v_cmp_ge_i32_e32 vcc_lo, v10, v24
	s_clause 0x1
	global_load_dwordx4 v[41:44], v[97:98], off
	global_load_dwordx4 v[45:48], v[97:98], off offset:16
	s_clause 0x3
	global_load_dwordx4 v[49:52], v[22:23], off offset:48
	global_load_dwordx4 v[53:56], v[22:23], off offset:32
	global_load_dwordx4 v[57:60], v[22:23], off offset:176
	global_load_dwordx4 v[61:64], v[22:23], off offset:160
	s_clause 0x1
	global_load_dwordx4 v[65:68], v[97:98], off offset:32
	global_load_dwordx4 v[69:72], v[97:98], off offset:48
	s_clause 0x3
	global_load_dwordx4 v[73:76], v[22:23], off offset:80
	global_load_dwordx4 v[77:80], v[22:23], off offset:64
	;; [unrolled: 1-line block ×6, first 2 shown]
	s_or_b32 s0, vcc_lo, s0
	s_waitcnt vmcnt(13)
	v_fma_f64 v[18:19], v[29:30], v[41:42], v[18:19]
	v_fma_f64 v[11:12], v[31:32], v[41:42], v[12:13]
	v_fma_f64 v[99:100], -v[31:32], v[43:44], v[18:19]
	v_fma_f64 v[101:102], v[29:30], v[43:44], v[11:12]
	global_load_dwordx4 v[29:32], v[97:98], off offset:80
	v_fma_f64 v[11:12], v[37:38], v[41:42], v[14:15]
	v_fma_f64 v[13:14], v[39:40], v[41:42], v[16:17]
	v_fma_f64 v[41:42], -v[39:40], v[43:44], v[11:12]
	v_fma_f64 v[43:44], v[37:38], v[43:44], v[13:14]
	s_clause 0x2
	global_load_dwordx4 v[11:14], v[22:23], off offset:96
	global_load_dwordx4 v[37:40], v[22:23], off offset:240
	;; [unrolled: 1-line block ×3, first 2 shown]
	s_waitcnt vmcnt(16)
	v_fma_f64 v[22:23], v[25:26], v[45:46], v[99:100]
	v_fma_f64 v[99:100], v[27:28], v[45:46], v[101:102]
	;; [unrolled: 1-line block ×4, first 2 shown]
	v_fma_f64 v[22:23], -v[27:28], v[47:48], v[22:23]
	v_fma_f64 v[99:100], v[25:26], v[47:48], v[99:100]
	global_load_dwordx4 v[25:28], v[97:98], off offset:96
	v_fma_f64 v[41:42], -v[35:36], v[47:48], v[41:42]
	v_fma_f64 v[43:44], v[33:34], v[47:48], v[43:44]
	global_load_dwordx4 v[33:36], v[97:98], off offset:112
	s_waitcnt vmcnt(13)
	v_fma_f64 v[22:23], v[53:54], v[65:66], v[22:23]
	v_fma_f64 v[45:46], v[55:56], v[65:66], v[99:100]
	v_fma_f64 v[41:42], v[61:62], v[65:66], v[41:42]
	v_fma_f64 v[43:44], v[63:64], v[65:66], v[43:44]
	v_fma_f64 v[22:23], -v[55:56], v[67:68], v[22:23]
	v_fma_f64 v[45:46], v[53:54], v[67:68], v[45:46]
	v_fma_f64 v[41:42], -v[63:64], v[67:68], v[41:42]
	v_fma_f64 v[43:44], v[61:62], v[67:68], v[43:44]
	s_waitcnt vmcnt(12)
	v_fma_f64 v[22:23], v[49:50], v[69:70], v[22:23]
	v_fma_f64 v[45:46], v[51:52], v[69:70], v[45:46]
	v_fma_f64 v[41:42], v[57:58], v[69:70], v[41:42]
	v_fma_f64 v[43:44], v[59:60], v[69:70], v[43:44]
	v_fma_f64 v[22:23], -v[51:52], v[71:72], v[22:23]
	v_fma_f64 v[45:46], v[49:50], v[71:72], v[45:46]
	v_fma_f64 v[41:42], -v[59:60], v[71:72], v[41:42]
	v_fma_f64 v[43:44], v[57:58], v[71:72], v[43:44]
	s_waitcnt vmcnt(7)
	v_fma_f64 v[22:23], v[77:78], v[89:90], v[22:23]
	v_fma_f64 v[45:46], v[79:80], v[89:90], v[45:46]
	v_fma_f64 v[41:42], v[85:86], v[89:90], v[41:42]
	v_fma_f64 v[43:44], v[87:88], v[89:90], v[43:44]
	v_fma_f64 v[22:23], -v[79:80], v[91:92], v[22:23]
	v_fma_f64 v[45:46], v[77:78], v[91:92], v[45:46]
	v_fma_f64 v[41:42], -v[87:88], v[91:92], v[41:42]
	v_fma_f64 v[43:44], v[85:86], v[91:92], v[43:44]
	s_waitcnt vmcnt(5)
	v_fma_f64 v[22:23], v[73:74], v[29:30], v[22:23]
	v_fma_f64 v[45:46], v[75:76], v[29:30], v[45:46]
	v_fma_f64 v[41:42], v[81:82], v[29:30], v[41:42]
	v_fma_f64 v[29:30], v[83:84], v[29:30], v[43:44]
	v_fma_f64 v[22:23], -v[75:76], v[31:32], v[22:23]
	v_fma_f64 v[43:44], v[73:74], v[31:32], v[45:46]
	v_fma_f64 v[41:42], -v[83:84], v[31:32], v[41:42]
	v_fma_f64 v[29:30], v[81:82], v[31:32], v[29:30]
	s_waitcnt vmcnt(1)
	v_fma_f64 v[22:23], v[11:12], v[25:26], v[22:23]
	v_fma_f64 v[31:32], v[13:14], v[25:26], v[43:44]
	v_fma_f64 v[41:42], v[15:16], v[25:26], v[41:42]
	v_fma_f64 v[25:26], v[17:18], v[25:26], v[29:30]
	v_fma_f64 v[13:14], -v[13:14], v[27:28], v[22:23]
	v_fma_f64 v[11:12], v[11:12], v[27:28], v[31:32]
	v_fma_f64 v[17:18], -v[17:18], v[27:28], v[41:42]
	v_fma_f64 v[15:16], v[15:16], v[27:28], v[25:26]
	s_waitcnt vmcnt(0)
	v_fma_f64 v[13:14], v[93:94], v[33:34], v[13:14]
	v_fma_f64 v[11:12], v[95:96], v[33:34], v[11:12]
	v_fma_f64 v[22:23], v[37:38], v[33:34], v[17:18]
	v_fma_f64 v[16:17], v[39:40], v[33:34], v[15:16]
	v_fma_f64 v[18:19], -v[95:96], v[35:36], v[13:14]
	v_fma_f64 v[12:13], v[93:94], v[35:36], v[11:12]
	v_fma_f64 v[14:15], -v[39:40], v[35:36], v[22:23]
	v_fma_f64 v[16:17], v[37:38], v[35:36], v[16:17]
	s_andn2_b32 exec_lo, exec_lo, s0
	s_cbranch_execnz .LBB260_13
; %bb.14:
	s_or_b32 exec_lo, exec_lo, s0
.LBB260_15:
	s_or_b32 exec_lo, exec_lo, s1
.LBB260_16:
	v_mbcnt_lo_u32_b32 v26, -1, 0
	v_xor_b32_e32 v10, 8, v26
	v_cmp_gt_i32_e32 vcc_lo, 32, v10
	v_cndmask_b32_e32 v10, v26, v10, vcc_lo
	v_lshlrev_b32_e32 v25, 2, v10
	ds_bpermute_b32 v10, v25, v18
	ds_bpermute_b32 v11, v25, v19
	ds_bpermute_b32 v20, v25, v12
	ds_bpermute_b32 v21, v25, v13
	ds_bpermute_b32 v22, v25, v14
	ds_bpermute_b32 v23, v25, v15
	ds_bpermute_b32 v24, v25, v16
	ds_bpermute_b32 v25, v25, v17
	s_waitcnt lgkmcnt(6)
	v_add_f64 v[10:11], v[18:19], v[10:11]
	v_xor_b32_e32 v18, 4, v26
	s_waitcnt lgkmcnt(4)
	v_add_f64 v[12:13], v[12:13], v[20:21]
	s_waitcnt lgkmcnt(2)
	v_add_f64 v[14:15], v[14:15], v[22:23]
	;; [unrolled: 2-line block ×3, first 2 shown]
	v_cmp_gt_i32_e32 vcc_lo, 32, v18
	v_cndmask_b32_e32 v18, v26, v18, vcc_lo
	v_lshlrev_b32_e32 v25, 2, v18
	ds_bpermute_b32 v18, v25, v10
	ds_bpermute_b32 v19, v25, v11
	;; [unrolled: 1-line block ×8, first 2 shown]
	s_waitcnt lgkmcnt(6)
	v_add_f64 v[10:11], v[10:11], v[18:19]
	s_waitcnt lgkmcnt(4)
	v_add_f64 v[12:13], v[12:13], v[20:21]
	s_waitcnt lgkmcnt(2)
	v_add_f64 v[14:15], v[14:15], v[22:23]
	s_waitcnt lgkmcnt(0)
	v_add_f64 v[18:19], v[16:17], v[24:25]
	v_xor_b32_e32 v16, 2, v26
	v_cmp_gt_i32_e32 vcc_lo, 32, v16
	v_cndmask_b32_e32 v16, v26, v16, vcc_lo
	v_lshlrev_b32_e32 v25, 2, v16
	ds_bpermute_b32 v16, v25, v10
	ds_bpermute_b32 v17, v25, v11
	;; [unrolled: 1-line block ×8, first 2 shown]
	s_waitcnt lgkmcnt(6)
	v_add_f64 v[10:11], v[10:11], v[16:17]
	s_waitcnt lgkmcnt(4)
	v_add_f64 v[16:17], v[12:13], v[20:21]
	;; [unrolled: 2-line block ×4, first 2 shown]
	v_xor_b32_e32 v18, 1, v26
	v_cmp_gt_i32_e32 vcc_lo, 32, v18
	v_cndmask_b32_e32 v18, v26, v18, vcc_lo
	v_cmp_eq_u32_e32 vcc_lo, 15, v0
	v_lshlrev_b32_e32 v21, 2, v18
	ds_bpermute_b32 v24, v21, v10
	ds_bpermute_b32 v25, v21, v11
	;; [unrolled: 1-line block ×8, first 2 shown]
	s_and_b32 exec_lo, exec_lo, vcc_lo
	s_cbranch_execz .LBB260_21
; %bb.17:
	v_cmp_eq_f64_e32 vcc_lo, 0, v[5:6]
	v_cmp_eq_f64_e64 s0, 0, v[7:8]
	s_waitcnt lgkmcnt(6)
	v_add_f64 v[10:11], v[10:11], v[24:25]
	s_waitcnt lgkmcnt(4)
	v_add_f64 v[16:17], v[16:17], v[22:23]
	;; [unrolled: 2-line block ×4, first 2 shown]
	s_load_dwordx2 s[2:3], s[4:5], 0x48
	s_and_b32 s0, vcc_lo, s0
	s_and_saveexec_b32 s1, s0
	s_xor_b32 s0, exec_lo, s1
	s_cbranch_execz .LBB260_19
; %bb.18:
	v_mul_f64 v[5:6], v[16:17], -v[3:4]
	v_mul_f64 v[7:8], v[1:2], v[16:17]
	v_mul_f64 v[16:17], v[14:15], -v[3:4]
	v_mul_f64 v[14:15], v[1:2], v[14:15]
	v_lshlrev_b32_e32 v9, 1, v9
	v_fma_f64 v[5:6], v[1:2], v[10:11], v[5:6]
	v_fma_f64 v[7:8], v[3:4], v[10:11], v[7:8]
	;; [unrolled: 1-line block ×4, first 2 shown]
	v_ashrrev_i32_e32 v10, 31, v9
                                        ; implicit-def: $vgpr16_vgpr17
                                        ; implicit-def: $vgpr12_vgpr13
                                        ; implicit-def: $vgpr14_vgpr15
	v_lshlrev_b64 v[9:10], 4, v[9:10]
	s_waitcnt lgkmcnt(0)
	v_add_co_u32 v9, vcc_lo, s2, v9
	v_add_co_ci_u32_e64 v10, null, s3, v10, vcc_lo
	global_store_dwordx4 v[9:10], v[5:8], off
	global_store_dwordx4 v[9:10], v[0:3], off offset:16
                                        ; implicit-def: $vgpr9
                                        ; implicit-def: $vgpr10_vgpr11
                                        ; implicit-def: $vgpr7_vgpr8
                                        ; implicit-def: $vgpr3_vgpr4
.LBB260_19:
	s_andn2_saveexec_b32 s0, s0
	s_cbranch_execz .LBB260_21
; %bb.20:
	v_lshlrev_b32_e32 v18, 1, v9
	v_mul_f64 v[28:29], v[16:17], -v[3:4]
	v_mul_f64 v[16:17], v[1:2], v[16:17]
	v_mul_f64 v[30:31], v[14:15], -v[3:4]
	v_mul_f64 v[14:15], v[1:2], v[14:15]
	v_ashrrev_i32_e32 v19, 31, v18
	v_lshlrev_b64 v[18:19], 4, v[18:19]
	s_waitcnt lgkmcnt(0)
	v_add_co_u32 v26, vcc_lo, s2, v18
	v_add_co_ci_u32_e64 v27, null, s3, v19, vcc_lo
	s_clause 0x1
	global_load_dwordx4 v[18:21], v[26:27], off
	global_load_dwordx4 v[22:25], v[26:27], off offset:16
	v_fma_f64 v[28:29], v[1:2], v[10:11], v[28:29]
	v_fma_f64 v[9:10], v[3:4], v[10:11], v[16:17]
	;; [unrolled: 1-line block ×4, first 2 shown]
	s_waitcnt vmcnt(1)
	v_fma_f64 v[11:12], v[5:6], v[18:19], v[28:29]
	v_fma_f64 v[9:10], v[7:8], v[18:19], v[9:10]
	s_waitcnt vmcnt(0)
	v_fma_f64 v[13:14], v[5:6], v[22:23], v[0:1]
	v_fma_f64 v[15:16], v[7:8], v[22:23], v[2:3]
	v_fma_f64 v[0:1], -v[7:8], v[20:21], v[11:12]
	v_fma_f64 v[2:3], v[5:6], v[20:21], v[9:10]
	v_fma_f64 v[7:8], -v[7:8], v[24:25], v[13:14]
	v_fma_f64 v[9:10], v[5:6], v[24:25], v[15:16]
	global_store_dwordx4 v[26:27], v[0:3], off
	global_store_dwordx4 v[26:27], v[7:10], off offset:16
.LBB260_21:
	s_endpgm
	.section	.rodata,"a",@progbits
	.p2align	6, 0x0
	.amdhsa_kernel _ZN9rocsparseL19gebsrmvn_2xn_kernelILj128ELj8ELj16E21rocsparse_complex_numIdEEEvi20rocsparse_direction_NS_24const_host_device_scalarIT2_EEPKiS8_PKS5_SA_S6_PS5_21rocsparse_index_base_b
		.amdhsa_group_segment_fixed_size 0
		.amdhsa_private_segment_fixed_size 0
		.amdhsa_kernarg_size 88
		.amdhsa_user_sgpr_count 6
		.amdhsa_user_sgpr_private_segment_buffer 1
		.amdhsa_user_sgpr_dispatch_ptr 0
		.amdhsa_user_sgpr_queue_ptr 0
		.amdhsa_user_sgpr_kernarg_segment_ptr 1
		.amdhsa_user_sgpr_dispatch_id 0
		.amdhsa_user_sgpr_flat_scratch_init 0
		.amdhsa_user_sgpr_private_segment_size 0
		.amdhsa_wavefront_size32 1
		.amdhsa_uses_dynamic_stack 0
		.amdhsa_system_sgpr_private_segment_wavefront_offset 0
		.amdhsa_system_sgpr_workgroup_id_x 1
		.amdhsa_system_sgpr_workgroup_id_y 0
		.amdhsa_system_sgpr_workgroup_id_z 0
		.amdhsa_system_sgpr_workgroup_info 0
		.amdhsa_system_vgpr_workitem_id 0
		.amdhsa_next_free_vgpr 119
		.amdhsa_next_free_sgpr 16
		.amdhsa_reserve_vcc 1
		.amdhsa_reserve_flat_scratch 0
		.amdhsa_float_round_mode_32 0
		.amdhsa_float_round_mode_16_64 0
		.amdhsa_float_denorm_mode_32 3
		.amdhsa_float_denorm_mode_16_64 3
		.amdhsa_dx10_clamp 1
		.amdhsa_ieee_mode 1
		.amdhsa_fp16_overflow 0
		.amdhsa_workgroup_processor_mode 1
		.amdhsa_memory_ordered 1
		.amdhsa_forward_progress 1
		.amdhsa_shared_vgpr_count 0
		.amdhsa_exception_fp_ieee_invalid_op 0
		.amdhsa_exception_fp_denorm_src 0
		.amdhsa_exception_fp_ieee_div_zero 0
		.amdhsa_exception_fp_ieee_overflow 0
		.amdhsa_exception_fp_ieee_underflow 0
		.amdhsa_exception_fp_ieee_inexact 0
		.amdhsa_exception_int_div_zero 0
	.end_amdhsa_kernel
	.section	.text._ZN9rocsparseL19gebsrmvn_2xn_kernelILj128ELj8ELj16E21rocsparse_complex_numIdEEEvi20rocsparse_direction_NS_24const_host_device_scalarIT2_EEPKiS8_PKS5_SA_S6_PS5_21rocsparse_index_base_b,"axG",@progbits,_ZN9rocsparseL19gebsrmvn_2xn_kernelILj128ELj8ELj16E21rocsparse_complex_numIdEEEvi20rocsparse_direction_NS_24const_host_device_scalarIT2_EEPKiS8_PKS5_SA_S6_PS5_21rocsparse_index_base_b,comdat
.Lfunc_end260:
	.size	_ZN9rocsparseL19gebsrmvn_2xn_kernelILj128ELj8ELj16E21rocsparse_complex_numIdEEEvi20rocsparse_direction_NS_24const_host_device_scalarIT2_EEPKiS8_PKS5_SA_S6_PS5_21rocsparse_index_base_b, .Lfunc_end260-_ZN9rocsparseL19gebsrmvn_2xn_kernelILj128ELj8ELj16E21rocsparse_complex_numIdEEEvi20rocsparse_direction_NS_24const_host_device_scalarIT2_EEPKiS8_PKS5_SA_S6_PS5_21rocsparse_index_base_b
                                        ; -- End function
	.set _ZN9rocsparseL19gebsrmvn_2xn_kernelILj128ELj8ELj16E21rocsparse_complex_numIdEEEvi20rocsparse_direction_NS_24const_host_device_scalarIT2_EEPKiS8_PKS5_SA_S6_PS5_21rocsparse_index_base_b.num_vgpr, 119
	.set _ZN9rocsparseL19gebsrmvn_2xn_kernelILj128ELj8ELj16E21rocsparse_complex_numIdEEEvi20rocsparse_direction_NS_24const_host_device_scalarIT2_EEPKiS8_PKS5_SA_S6_PS5_21rocsparse_index_base_b.num_agpr, 0
	.set _ZN9rocsparseL19gebsrmvn_2xn_kernelILj128ELj8ELj16E21rocsparse_complex_numIdEEEvi20rocsparse_direction_NS_24const_host_device_scalarIT2_EEPKiS8_PKS5_SA_S6_PS5_21rocsparse_index_base_b.numbered_sgpr, 16
	.set _ZN9rocsparseL19gebsrmvn_2xn_kernelILj128ELj8ELj16E21rocsparse_complex_numIdEEEvi20rocsparse_direction_NS_24const_host_device_scalarIT2_EEPKiS8_PKS5_SA_S6_PS5_21rocsparse_index_base_b.num_named_barrier, 0
	.set _ZN9rocsparseL19gebsrmvn_2xn_kernelILj128ELj8ELj16E21rocsparse_complex_numIdEEEvi20rocsparse_direction_NS_24const_host_device_scalarIT2_EEPKiS8_PKS5_SA_S6_PS5_21rocsparse_index_base_b.private_seg_size, 0
	.set _ZN9rocsparseL19gebsrmvn_2xn_kernelILj128ELj8ELj16E21rocsparse_complex_numIdEEEvi20rocsparse_direction_NS_24const_host_device_scalarIT2_EEPKiS8_PKS5_SA_S6_PS5_21rocsparse_index_base_b.uses_vcc, 1
	.set _ZN9rocsparseL19gebsrmvn_2xn_kernelILj128ELj8ELj16E21rocsparse_complex_numIdEEEvi20rocsparse_direction_NS_24const_host_device_scalarIT2_EEPKiS8_PKS5_SA_S6_PS5_21rocsparse_index_base_b.uses_flat_scratch, 0
	.set _ZN9rocsparseL19gebsrmvn_2xn_kernelILj128ELj8ELj16E21rocsparse_complex_numIdEEEvi20rocsparse_direction_NS_24const_host_device_scalarIT2_EEPKiS8_PKS5_SA_S6_PS5_21rocsparse_index_base_b.has_dyn_sized_stack, 0
	.set _ZN9rocsparseL19gebsrmvn_2xn_kernelILj128ELj8ELj16E21rocsparse_complex_numIdEEEvi20rocsparse_direction_NS_24const_host_device_scalarIT2_EEPKiS8_PKS5_SA_S6_PS5_21rocsparse_index_base_b.has_recursion, 0
	.set _ZN9rocsparseL19gebsrmvn_2xn_kernelILj128ELj8ELj16E21rocsparse_complex_numIdEEEvi20rocsparse_direction_NS_24const_host_device_scalarIT2_EEPKiS8_PKS5_SA_S6_PS5_21rocsparse_index_base_b.has_indirect_call, 0
	.section	.AMDGPU.csdata,"",@progbits
; Kernel info:
; codeLenInByte = 3172
; TotalNumSgprs: 18
; NumVgprs: 119
; ScratchSize: 0
; MemoryBound: 1
; FloatMode: 240
; IeeeMode: 1
; LDSByteSize: 0 bytes/workgroup (compile time only)
; SGPRBlocks: 0
; VGPRBlocks: 14
; NumSGPRsForWavesPerEU: 18
; NumVGPRsForWavesPerEU: 119
; Occupancy: 8
; WaveLimiterHint : 1
; COMPUTE_PGM_RSRC2:SCRATCH_EN: 0
; COMPUTE_PGM_RSRC2:USER_SGPR: 6
; COMPUTE_PGM_RSRC2:TRAP_HANDLER: 0
; COMPUTE_PGM_RSRC2:TGID_X_EN: 1
; COMPUTE_PGM_RSRC2:TGID_Y_EN: 0
; COMPUTE_PGM_RSRC2:TGID_Z_EN: 0
; COMPUTE_PGM_RSRC2:TIDIG_COMP_CNT: 0
	.section	.text._ZN9rocsparseL19gebsrmvn_2xn_kernelILj128ELj8ELj32E21rocsparse_complex_numIdEEEvi20rocsparse_direction_NS_24const_host_device_scalarIT2_EEPKiS8_PKS5_SA_S6_PS5_21rocsparse_index_base_b,"axG",@progbits,_ZN9rocsparseL19gebsrmvn_2xn_kernelILj128ELj8ELj32E21rocsparse_complex_numIdEEEvi20rocsparse_direction_NS_24const_host_device_scalarIT2_EEPKiS8_PKS5_SA_S6_PS5_21rocsparse_index_base_b,comdat
	.globl	_ZN9rocsparseL19gebsrmvn_2xn_kernelILj128ELj8ELj32E21rocsparse_complex_numIdEEEvi20rocsparse_direction_NS_24const_host_device_scalarIT2_EEPKiS8_PKS5_SA_S6_PS5_21rocsparse_index_base_b ; -- Begin function _ZN9rocsparseL19gebsrmvn_2xn_kernelILj128ELj8ELj32E21rocsparse_complex_numIdEEEvi20rocsparse_direction_NS_24const_host_device_scalarIT2_EEPKiS8_PKS5_SA_S6_PS5_21rocsparse_index_base_b
	.p2align	8
	.type	_ZN9rocsparseL19gebsrmvn_2xn_kernelILj128ELj8ELj32E21rocsparse_complex_numIdEEEvi20rocsparse_direction_NS_24const_host_device_scalarIT2_EEPKiS8_PKS5_SA_S6_PS5_21rocsparse_index_base_b,@function
_ZN9rocsparseL19gebsrmvn_2xn_kernelILj128ELj8ELj32E21rocsparse_complex_numIdEEEvi20rocsparse_direction_NS_24const_host_device_scalarIT2_EEPKiS8_PKS5_SA_S6_PS5_21rocsparse_index_base_b: ; @_ZN9rocsparseL19gebsrmvn_2xn_kernelILj128ELj8ELj32E21rocsparse_complex_numIdEEEvi20rocsparse_direction_NS_24const_host_device_scalarIT2_EEPKiS8_PKS5_SA_S6_PS5_21rocsparse_index_base_b
; %bb.0:
	s_clause 0x1
	s_load_dwordx2 s[2:3], s[4:5], 0x50
	s_load_dwordx2 s[0:1], s[4:5], 0x8
	s_add_u32 s7, s4, 8
	s_addc_u32 s10, s5, 0
	s_add_u32 s11, s4, 56
	s_addc_u32 s12, s5, 0
	s_load_dwordx2 s[8:9], s[4:5], 0x38
	s_waitcnt lgkmcnt(0)
	s_bitcmp1_b32 s3, 0
	s_cselect_b32 s0, s7, s0
	s_cselect_b32 s1, s10, s1
	v_mov_b32_e32 v1, s0
	v_mov_b32_e32 v2, s1
	s_cselect_b32 s0, s11, s8
	s_cselect_b32 s1, s12, s9
	v_mov_b32_e32 v5, s0
	v_mov_b32_e32 v6, s1
	flat_load_dwordx4 v[1:4], v[1:2]
	flat_load_dwordx4 v[5:8], v[5:6]
	s_waitcnt vmcnt(1) lgkmcnt(1)
	v_cmp_eq_f64_e32 vcc_lo, 0, v[1:2]
	v_cmp_eq_f64_e64 s0, 0, v[3:4]
	s_and_b32 s3, vcc_lo, s0
	s_mov_b32 s0, -1
	s_and_saveexec_b32 s1, s3
	s_cbranch_execz .LBB261_2
; %bb.1:
	s_waitcnt vmcnt(0) lgkmcnt(0)
	v_cmp_neq_f64_e32 vcc_lo, 1.0, v[5:6]
	v_cmp_neq_f64_e64 s0, 0, v[7:8]
	s_or_b32 s0, vcc_lo, s0
	s_orn2_b32 s0, s0, exec_lo
.LBB261_2:
	s_or_b32 exec_lo, exec_lo, s1
	s_and_saveexec_b32 s1, s0
	s_cbranch_execz .LBB261_21
; %bb.3:
	s_load_dwordx2 s[0:1], s[4:5], 0x0
	v_lshrrev_b32_e32 v9, 5, v0
	v_lshl_or_b32 v9, s6, 2, v9
	s_waitcnt lgkmcnt(0)
	v_cmp_gt_i32_e32 vcc_lo, s0, v9
	s_and_b32 exec_lo, exec_lo, vcc_lo
	s_cbranch_execz .LBB261_21
; %bb.4:
	s_load_dwordx8 s[8:15], s[4:5], 0x18
	v_ashrrev_i32_e32 v10, 31, v9
	v_and_b32_e32 v0, 31, v0
	s_cmp_lg_u32 s1, 0
	v_lshlrev_b64 v[10:11], 2, v[9:10]
	s_waitcnt lgkmcnt(0)
	v_add_co_u32 v10, vcc_lo, s8, v10
	v_add_co_ci_u32_e64 v11, null, s9, v11, vcc_lo
	global_load_dwordx2 v[10:11], v[10:11], off
	s_waitcnt vmcnt(0)
	v_subrev_nc_u32_e32 v10, s2, v10
	v_subrev_nc_u32_e32 v24, s2, v11
	v_add_nc_u32_e32 v10, v10, v0
	v_cmp_lt_i32_e64 s0, v10, v24
	s_cbranch_scc0 .LBB261_10
; %bb.5:
	v_mov_b32_e32 v12, 0
	v_mov_b32_e32 v18, 0
	;; [unrolled: 1-line block ×8, first 2 shown]
	s_and_saveexec_b32 s1, s0
	s_cbranch_execz .LBB261_9
; %bb.6:
	v_mov_b32_e32 v12, 0
	v_mov_b32_e32 v18, 0
	;; [unrolled: 1-line block ×4, first 2 shown]
	v_lshlrev_b32_e32 v20, 4, v10
	v_mov_b32_e32 v13, 0
	v_mov_b32_e32 v21, 0
	;; [unrolled: 1-line block ×6, first 2 shown]
	s_mov_b32 s3, 0
.LBB261_7:                              ; =>This Inner Loop Header: Depth=1
	v_ashrrev_i32_e32 v23, 31, v22
	v_mov_b32_e32 v34, v21
	v_lshlrev_b64 v[25:26], 2, v[22:23]
	v_add_nc_u32_e32 v22, 32, v22
	v_add_co_u32 v25, vcc_lo, s10, v25
	v_add_co_ci_u32_e64 v26, null, s11, v26, vcc_lo
	global_load_dword v11, v[25:26], off
	v_lshlrev_b64 v[25:26], 4, v[20:21]
	v_add_nc_u32_e32 v20, 0x200, v20
	v_add_co_u32 v113, vcc_lo, s12, v25
	v_add_co_ci_u32_e64 v114, null, s13, v26, vcc_lo
	s_clause 0x1
	global_load_dwordx4 v[25:28], v[113:114], off offset:16
	global_load_dwordx4 v[29:32], v[113:114], off
	s_waitcnt vmcnt(2)
	v_subrev_nc_u32_e32 v11, s2, v11
	v_lshlrev_b32_e32 v33, 3, v11
	v_lshlrev_b64 v[33:34], 4, v[33:34]
	v_add_co_u32 v117, vcc_lo, s14, v33
	v_add_co_ci_u32_e64 v118, null, s15, v34, vcc_lo
	v_cmp_ge_i32_e32 vcc_lo, v22, v24
	global_load_dwordx4 v[33:36], v[117:118], off
	s_clause 0x1
	global_load_dwordx4 v[37:40], v[113:114], off offset:48
	global_load_dwordx4 v[41:44], v[113:114], off offset:32
	global_load_dwordx4 v[45:48], v[117:118], off offset:16
	s_clause 0x1
	global_load_dwordx4 v[49:52], v[113:114], off offset:80
	global_load_dwordx4 v[53:56], v[113:114], off offset:64
	global_load_dwordx4 v[57:60], v[117:118], off offset:32
	;; [unrolled: 4-line block ×6, first 2 shown]
	s_clause 0x1
	global_load_dwordx4 v[109:112], v[113:114], off offset:224
	global_load_dwordx4 v[113:116], v[113:114], off offset:240
	s_or_b32 s3, vcc_lo, s3
	s_waitcnt vmcnt(20)
	v_fma_f64 v[18:19], v[29:30], v[33:34], v[18:19]
	v_fma_f64 v[11:12], v[31:32], v[33:34], v[12:13]
	;; [unrolled: 1-line block ×4, first 2 shown]
	v_fma_f64 v[18:19], -v[31:32], v[35:36], v[18:19]
	v_fma_f64 v[11:12], v[29:30], v[35:36], v[11:12]
	global_load_dwordx4 v[29:32], v[117:118], off offset:112
	v_fma_f64 v[13:14], -v[27:28], v[35:36], v[13:14]
	v_fma_f64 v[15:16], v[25:26], v[35:36], v[15:16]
	s_waitcnt vmcnt(18)
	v_fma_f64 v[17:18], v[41:42], v[45:46], v[18:19]
	v_fma_f64 v[11:12], v[43:44], v[45:46], v[11:12]
	v_fma_f64 v[13:14], v[37:38], v[45:46], v[13:14]
	v_fma_f64 v[15:16], v[39:40], v[45:46], v[15:16]
	v_fma_f64 v[17:18], -v[43:44], v[47:48], v[17:18]
	v_fma_f64 v[11:12], v[41:42], v[47:48], v[11:12]
	v_fma_f64 v[13:14], -v[39:40], v[47:48], v[13:14]
	v_fma_f64 v[15:16], v[37:38], v[47:48], v[15:16]
	s_waitcnt vmcnt(15)
	v_fma_f64 v[17:18], v[53:54], v[57:58], v[17:18]
	v_fma_f64 v[11:12], v[55:56], v[57:58], v[11:12]
	v_fma_f64 v[13:14], v[49:50], v[57:58], v[13:14]
	v_fma_f64 v[15:16], v[51:52], v[57:58], v[15:16]
	v_fma_f64 v[17:18], -v[55:56], v[59:60], v[17:18]
	v_fma_f64 v[11:12], v[53:54], v[59:60], v[11:12]
	v_fma_f64 v[13:14], -v[51:52], v[59:60], v[13:14]
	v_fma_f64 v[15:16], v[49:50], v[59:60], v[15:16]
	s_waitcnt vmcnt(12)
	v_fma_f64 v[17:18], v[61:62], v[69:70], v[17:18]
	v_fma_f64 v[11:12], v[63:64], v[69:70], v[11:12]
	v_fma_f64 v[13:14], v[65:66], v[69:70], v[13:14]
	v_fma_f64 v[15:16], v[67:68], v[69:70], v[15:16]
	v_fma_f64 v[17:18], -v[63:64], v[71:72], v[17:18]
	v_fma_f64 v[11:12], v[61:62], v[71:72], v[11:12]
	v_fma_f64 v[13:14], -v[67:68], v[71:72], v[13:14]
	v_fma_f64 v[15:16], v[65:66], v[71:72], v[15:16]
	s_waitcnt vmcnt(9)
	v_fma_f64 v[17:18], v[77:78], v[81:82], v[17:18]
	v_fma_f64 v[11:12], v[79:80], v[81:82], v[11:12]
	v_fma_f64 v[13:14], v[73:74], v[81:82], v[13:14]
	v_fma_f64 v[15:16], v[75:76], v[81:82], v[15:16]
	v_fma_f64 v[17:18], -v[79:80], v[83:84], v[17:18]
	v_fma_f64 v[11:12], v[77:78], v[83:84], v[11:12]
	v_fma_f64 v[13:14], -v[75:76], v[83:84], v[13:14]
	v_fma_f64 v[15:16], v[73:74], v[83:84], v[15:16]
	s_waitcnt vmcnt(6)
	v_fma_f64 v[17:18], v[89:90], v[93:94], v[17:18]
	v_fma_f64 v[11:12], v[91:92], v[93:94], v[11:12]
	v_fma_f64 v[13:14], v[85:86], v[93:94], v[13:14]
	v_fma_f64 v[15:16], v[87:88], v[93:94], v[15:16]
	v_fma_f64 v[17:18], -v[91:92], v[95:96], v[17:18]
	v_fma_f64 v[11:12], v[89:90], v[95:96], v[11:12]
	v_fma_f64 v[13:14], -v[87:88], v[95:96], v[13:14]
	v_fma_f64 v[15:16], v[85:86], v[95:96], v[15:16]
	s_waitcnt vmcnt(3)
	v_fma_f64 v[17:18], v[101:102], v[105:106], v[17:18]
	v_fma_f64 v[11:12], v[103:104], v[105:106], v[11:12]
	v_fma_f64 v[13:14], v[97:98], v[105:106], v[13:14]
	v_fma_f64 v[15:16], v[99:100], v[105:106], v[15:16]
	v_fma_f64 v[17:18], -v[103:104], v[107:108], v[17:18]
	v_fma_f64 v[11:12], v[101:102], v[107:108], v[11:12]
	v_fma_f64 v[13:14], -v[99:100], v[107:108], v[13:14]
	v_fma_f64 v[15:16], v[97:98], v[107:108], v[15:16]
	s_waitcnt vmcnt(0)
	v_fma_f64 v[17:18], v[109:110], v[29:30], v[17:18]
	v_fma_f64 v[11:12], v[111:112], v[29:30], v[11:12]
	v_fma_f64 v[25:26], v[113:114], v[29:30], v[13:14]
	v_fma_f64 v[27:28], v[115:116], v[29:30], v[15:16]
	v_fma_f64 v[18:19], -v[111:112], v[31:32], v[17:18]
	v_fma_f64 v[12:13], v[109:110], v[31:32], v[11:12]
	v_fma_f64 v[14:15], -v[115:116], v[31:32], v[25:26]
	v_fma_f64 v[16:17], v[113:114], v[31:32], v[27:28]
	s_andn2_b32 exec_lo, exec_lo, s3
	s_cbranch_execnz .LBB261_7
; %bb.8:
	s_or_b32 exec_lo, exec_lo, s3
.LBB261_9:
	s_or_b32 exec_lo, exec_lo, s1
	s_cbranch_execz .LBB261_11
	s_branch .LBB261_16
.LBB261_10:
                                        ; implicit-def: $vgpr12_vgpr13
                                        ; implicit-def: $vgpr18_vgpr19
                                        ; implicit-def: $vgpr14_vgpr15
                                        ; implicit-def: $vgpr16_vgpr17
.LBB261_11:
	v_mov_b32_e32 v12, 0
	v_mov_b32_e32 v18, 0
	;; [unrolled: 1-line block ×8, first 2 shown]
	s_and_saveexec_b32 s1, s0
	s_cbranch_execz .LBB261_15
; %bb.12:
	v_mov_b32_e32 v12, 0
	v_mov_b32_e32 v18, 0
	;; [unrolled: 1-line block ×4, first 2 shown]
	v_lshlrev_b32_e32 v20, 4, v10
	v_mov_b32_e32 v13, 0
	v_mov_b32_e32 v19, 0
	;; [unrolled: 1-line block ×5, first 2 shown]
	s_mov_b32 s0, 0
.LBB261_13:                             ; =>This Inner Loop Header: Depth=1
	v_ashrrev_i32_e32 v11, 31, v10
	v_mov_b32_e32 v42, v21
	v_lshlrev_b64 v[22:23], 2, v[10:11]
	v_add_nc_u32_e32 v10, 32, v10
	v_add_co_u32 v22, vcc_lo, s10, v22
	v_add_co_ci_u32_e64 v23, null, s11, v23, vcc_lo
	global_load_dword v11, v[22:23], off
	v_lshlrev_b64 v[22:23], 4, v[20:21]
	v_add_nc_u32_e32 v20, 0x200, v20
	v_add_co_u32 v22, vcc_lo, s12, v22
	v_add_co_ci_u32_e64 v23, null, s13, v23, vcc_lo
	s_clause 0x3
	global_load_dwordx4 v[25:28], v[22:23], off offset:16
	global_load_dwordx4 v[29:32], v[22:23], off
	global_load_dwordx4 v[33:36], v[22:23], off offset:144
	global_load_dwordx4 v[37:40], v[22:23], off offset:128
	s_waitcnt vmcnt(4)
	v_subrev_nc_u32_e32 v11, s2, v11
	v_lshlrev_b32_e32 v41, 3, v11
	v_lshlrev_b64 v[41:42], 4, v[41:42]
	v_add_co_u32 v97, vcc_lo, s14, v41
	v_add_co_ci_u32_e64 v98, null, s15, v42, vcc_lo
	v_cmp_ge_i32_e32 vcc_lo, v10, v24
	s_clause 0x1
	global_load_dwordx4 v[41:44], v[97:98], off
	global_load_dwordx4 v[45:48], v[97:98], off offset:16
	s_clause 0x3
	global_load_dwordx4 v[49:52], v[22:23], off offset:48
	global_load_dwordx4 v[53:56], v[22:23], off offset:32
	;; [unrolled: 1-line block ×4, first 2 shown]
	s_clause 0x1
	global_load_dwordx4 v[65:68], v[97:98], off offset:32
	global_load_dwordx4 v[69:72], v[97:98], off offset:48
	s_clause 0x3
	global_load_dwordx4 v[73:76], v[22:23], off offset:80
	global_load_dwordx4 v[77:80], v[22:23], off offset:64
	;; [unrolled: 1-line block ×6, first 2 shown]
	s_or_b32 s0, vcc_lo, s0
	s_waitcnt vmcnt(13)
	v_fma_f64 v[18:19], v[29:30], v[41:42], v[18:19]
	v_fma_f64 v[11:12], v[31:32], v[41:42], v[12:13]
	v_fma_f64 v[99:100], -v[31:32], v[43:44], v[18:19]
	v_fma_f64 v[101:102], v[29:30], v[43:44], v[11:12]
	global_load_dwordx4 v[29:32], v[97:98], off offset:80
	v_fma_f64 v[11:12], v[37:38], v[41:42], v[14:15]
	v_fma_f64 v[13:14], v[39:40], v[41:42], v[16:17]
	v_fma_f64 v[41:42], -v[39:40], v[43:44], v[11:12]
	v_fma_f64 v[43:44], v[37:38], v[43:44], v[13:14]
	s_clause 0x2
	global_load_dwordx4 v[11:14], v[22:23], off offset:96
	global_load_dwordx4 v[37:40], v[22:23], off offset:240
	;; [unrolled: 1-line block ×3, first 2 shown]
	s_waitcnt vmcnt(16)
	v_fma_f64 v[22:23], v[25:26], v[45:46], v[99:100]
	v_fma_f64 v[99:100], v[27:28], v[45:46], v[101:102]
	;; [unrolled: 1-line block ×4, first 2 shown]
	v_fma_f64 v[22:23], -v[27:28], v[47:48], v[22:23]
	v_fma_f64 v[99:100], v[25:26], v[47:48], v[99:100]
	global_load_dwordx4 v[25:28], v[97:98], off offset:96
	v_fma_f64 v[41:42], -v[35:36], v[47:48], v[41:42]
	v_fma_f64 v[43:44], v[33:34], v[47:48], v[43:44]
	global_load_dwordx4 v[33:36], v[97:98], off offset:112
	s_waitcnt vmcnt(13)
	v_fma_f64 v[22:23], v[53:54], v[65:66], v[22:23]
	v_fma_f64 v[45:46], v[55:56], v[65:66], v[99:100]
	v_fma_f64 v[41:42], v[61:62], v[65:66], v[41:42]
	v_fma_f64 v[43:44], v[63:64], v[65:66], v[43:44]
	v_fma_f64 v[22:23], -v[55:56], v[67:68], v[22:23]
	v_fma_f64 v[45:46], v[53:54], v[67:68], v[45:46]
	v_fma_f64 v[41:42], -v[63:64], v[67:68], v[41:42]
	v_fma_f64 v[43:44], v[61:62], v[67:68], v[43:44]
	s_waitcnt vmcnt(12)
	v_fma_f64 v[22:23], v[49:50], v[69:70], v[22:23]
	v_fma_f64 v[45:46], v[51:52], v[69:70], v[45:46]
	v_fma_f64 v[41:42], v[57:58], v[69:70], v[41:42]
	v_fma_f64 v[43:44], v[59:60], v[69:70], v[43:44]
	v_fma_f64 v[22:23], -v[51:52], v[71:72], v[22:23]
	v_fma_f64 v[45:46], v[49:50], v[71:72], v[45:46]
	v_fma_f64 v[41:42], -v[59:60], v[71:72], v[41:42]
	v_fma_f64 v[43:44], v[57:58], v[71:72], v[43:44]
	;; [unrolled: 9-line block ×6, first 2 shown]
	s_andn2_b32 exec_lo, exec_lo, s0
	s_cbranch_execnz .LBB261_13
; %bb.14:
	s_or_b32 exec_lo, exec_lo, s0
.LBB261_15:
	s_or_b32 exec_lo, exec_lo, s1
.LBB261_16:
	v_mbcnt_lo_u32_b32 v26, -1, 0
	v_xor_b32_e32 v10, 16, v26
	v_cmp_gt_i32_e32 vcc_lo, 32, v10
	v_cndmask_b32_e32 v10, v26, v10, vcc_lo
	v_lshlrev_b32_e32 v25, 2, v10
	ds_bpermute_b32 v10, v25, v18
	ds_bpermute_b32 v11, v25, v19
	;; [unrolled: 1-line block ×8, first 2 shown]
	s_waitcnt lgkmcnt(6)
	v_add_f64 v[10:11], v[18:19], v[10:11]
	v_xor_b32_e32 v18, 8, v26
	s_waitcnt lgkmcnt(4)
	v_add_f64 v[12:13], v[12:13], v[20:21]
	s_waitcnt lgkmcnt(2)
	v_add_f64 v[14:15], v[14:15], v[22:23]
	s_waitcnt lgkmcnt(0)
	v_add_f64 v[16:17], v[16:17], v[24:25]
	v_cmp_gt_i32_e32 vcc_lo, 32, v18
	v_cndmask_b32_e32 v18, v26, v18, vcc_lo
	v_lshlrev_b32_e32 v25, 2, v18
	ds_bpermute_b32 v18, v25, v10
	ds_bpermute_b32 v19, v25, v11
	;; [unrolled: 1-line block ×8, first 2 shown]
	s_waitcnt lgkmcnt(6)
	v_add_f64 v[10:11], v[10:11], v[18:19]
	v_xor_b32_e32 v18, 4, v26
	s_waitcnt lgkmcnt(4)
	v_add_f64 v[12:13], v[12:13], v[20:21]
	s_waitcnt lgkmcnt(2)
	v_add_f64 v[14:15], v[14:15], v[22:23]
	;; [unrolled: 2-line block ×3, first 2 shown]
	v_cmp_gt_i32_e32 vcc_lo, 32, v18
	v_cndmask_b32_e32 v18, v26, v18, vcc_lo
	v_lshlrev_b32_e32 v25, 2, v18
	ds_bpermute_b32 v18, v25, v10
	ds_bpermute_b32 v19, v25, v11
	;; [unrolled: 1-line block ×8, first 2 shown]
	s_waitcnt lgkmcnt(6)
	v_add_f64 v[10:11], v[10:11], v[18:19]
	s_waitcnt lgkmcnt(4)
	v_add_f64 v[12:13], v[12:13], v[20:21]
	;; [unrolled: 2-line block ×4, first 2 shown]
	v_xor_b32_e32 v16, 2, v26
	v_cmp_gt_i32_e32 vcc_lo, 32, v16
	v_cndmask_b32_e32 v16, v26, v16, vcc_lo
	v_lshlrev_b32_e32 v25, 2, v16
	ds_bpermute_b32 v16, v25, v10
	ds_bpermute_b32 v17, v25, v11
	ds_bpermute_b32 v20, v25, v12
	ds_bpermute_b32 v21, v25, v13
	ds_bpermute_b32 v22, v25, v14
	ds_bpermute_b32 v23, v25, v15
	ds_bpermute_b32 v24, v25, v18
	ds_bpermute_b32 v25, v25, v19
	s_waitcnt lgkmcnt(6)
	v_add_f64 v[10:11], v[10:11], v[16:17]
	s_waitcnt lgkmcnt(4)
	v_add_f64 v[16:17], v[12:13], v[20:21]
	s_waitcnt lgkmcnt(2)
	v_add_f64 v[12:13], v[14:15], v[22:23]
	s_waitcnt lgkmcnt(0)
	v_add_f64 v[14:15], v[18:19], v[24:25]
	v_xor_b32_e32 v18, 1, v26
	v_cmp_gt_i32_e32 vcc_lo, 32, v18
	v_cndmask_b32_e32 v18, v26, v18, vcc_lo
	v_cmp_eq_u32_e32 vcc_lo, 31, v0
	v_lshlrev_b32_e32 v21, 2, v18
	ds_bpermute_b32 v24, v21, v10
	ds_bpermute_b32 v25, v21, v11
	;; [unrolled: 1-line block ×8, first 2 shown]
	s_and_b32 exec_lo, exec_lo, vcc_lo
	s_cbranch_execz .LBB261_21
; %bb.17:
	v_cmp_eq_f64_e32 vcc_lo, 0, v[5:6]
	v_cmp_eq_f64_e64 s0, 0, v[7:8]
	s_waitcnt lgkmcnt(6)
	v_add_f64 v[10:11], v[10:11], v[24:25]
	s_waitcnt lgkmcnt(4)
	v_add_f64 v[16:17], v[16:17], v[22:23]
	;; [unrolled: 2-line block ×4, first 2 shown]
	s_load_dwordx2 s[2:3], s[4:5], 0x48
	s_and_b32 s0, vcc_lo, s0
	s_and_saveexec_b32 s1, s0
	s_xor_b32 s0, exec_lo, s1
	s_cbranch_execz .LBB261_19
; %bb.18:
	v_mul_f64 v[5:6], v[16:17], -v[3:4]
	v_mul_f64 v[7:8], v[1:2], v[16:17]
	v_mul_f64 v[16:17], v[14:15], -v[3:4]
	v_mul_f64 v[14:15], v[1:2], v[14:15]
	v_lshlrev_b32_e32 v9, 1, v9
	v_fma_f64 v[5:6], v[1:2], v[10:11], v[5:6]
	v_fma_f64 v[7:8], v[3:4], v[10:11], v[7:8]
	;; [unrolled: 1-line block ×4, first 2 shown]
	v_ashrrev_i32_e32 v10, 31, v9
                                        ; implicit-def: $vgpr16_vgpr17
                                        ; implicit-def: $vgpr12_vgpr13
                                        ; implicit-def: $vgpr14_vgpr15
	v_lshlrev_b64 v[9:10], 4, v[9:10]
	s_waitcnt lgkmcnt(0)
	v_add_co_u32 v9, vcc_lo, s2, v9
	v_add_co_ci_u32_e64 v10, null, s3, v10, vcc_lo
	global_store_dwordx4 v[9:10], v[5:8], off
	global_store_dwordx4 v[9:10], v[0:3], off offset:16
                                        ; implicit-def: $vgpr9
                                        ; implicit-def: $vgpr10_vgpr11
                                        ; implicit-def: $vgpr7_vgpr8
                                        ; implicit-def: $vgpr3_vgpr4
.LBB261_19:
	s_andn2_saveexec_b32 s0, s0
	s_cbranch_execz .LBB261_21
; %bb.20:
	v_lshlrev_b32_e32 v18, 1, v9
	v_mul_f64 v[28:29], v[16:17], -v[3:4]
	v_mul_f64 v[16:17], v[1:2], v[16:17]
	v_mul_f64 v[30:31], v[14:15], -v[3:4]
	v_mul_f64 v[14:15], v[1:2], v[14:15]
	v_ashrrev_i32_e32 v19, 31, v18
	v_lshlrev_b64 v[18:19], 4, v[18:19]
	s_waitcnt lgkmcnt(0)
	v_add_co_u32 v26, vcc_lo, s2, v18
	v_add_co_ci_u32_e64 v27, null, s3, v19, vcc_lo
	s_clause 0x1
	global_load_dwordx4 v[18:21], v[26:27], off
	global_load_dwordx4 v[22:25], v[26:27], off offset:16
	v_fma_f64 v[28:29], v[1:2], v[10:11], v[28:29]
	v_fma_f64 v[9:10], v[3:4], v[10:11], v[16:17]
	;; [unrolled: 1-line block ×4, first 2 shown]
	s_waitcnt vmcnt(1)
	v_fma_f64 v[11:12], v[5:6], v[18:19], v[28:29]
	v_fma_f64 v[9:10], v[7:8], v[18:19], v[9:10]
	s_waitcnt vmcnt(0)
	v_fma_f64 v[13:14], v[5:6], v[22:23], v[0:1]
	v_fma_f64 v[15:16], v[7:8], v[22:23], v[2:3]
	v_fma_f64 v[0:1], -v[7:8], v[20:21], v[11:12]
	v_fma_f64 v[2:3], v[5:6], v[20:21], v[9:10]
	v_fma_f64 v[7:8], -v[7:8], v[24:25], v[13:14]
	v_fma_f64 v[9:10], v[5:6], v[24:25], v[15:16]
	global_store_dwordx4 v[26:27], v[0:3], off
	global_store_dwordx4 v[26:27], v[7:10], off offset:16
.LBB261_21:
	s_endpgm
	.section	.rodata,"a",@progbits
	.p2align	6, 0x0
	.amdhsa_kernel _ZN9rocsparseL19gebsrmvn_2xn_kernelILj128ELj8ELj32E21rocsparse_complex_numIdEEEvi20rocsparse_direction_NS_24const_host_device_scalarIT2_EEPKiS8_PKS5_SA_S6_PS5_21rocsparse_index_base_b
		.amdhsa_group_segment_fixed_size 0
		.amdhsa_private_segment_fixed_size 0
		.amdhsa_kernarg_size 88
		.amdhsa_user_sgpr_count 6
		.amdhsa_user_sgpr_private_segment_buffer 1
		.amdhsa_user_sgpr_dispatch_ptr 0
		.amdhsa_user_sgpr_queue_ptr 0
		.amdhsa_user_sgpr_kernarg_segment_ptr 1
		.amdhsa_user_sgpr_dispatch_id 0
		.amdhsa_user_sgpr_flat_scratch_init 0
		.amdhsa_user_sgpr_private_segment_size 0
		.amdhsa_wavefront_size32 1
		.amdhsa_uses_dynamic_stack 0
		.amdhsa_system_sgpr_private_segment_wavefront_offset 0
		.amdhsa_system_sgpr_workgroup_id_x 1
		.amdhsa_system_sgpr_workgroup_id_y 0
		.amdhsa_system_sgpr_workgroup_id_z 0
		.amdhsa_system_sgpr_workgroup_info 0
		.amdhsa_system_vgpr_workitem_id 0
		.amdhsa_next_free_vgpr 119
		.amdhsa_next_free_sgpr 16
		.amdhsa_reserve_vcc 1
		.amdhsa_reserve_flat_scratch 0
		.amdhsa_float_round_mode_32 0
		.amdhsa_float_round_mode_16_64 0
		.amdhsa_float_denorm_mode_32 3
		.amdhsa_float_denorm_mode_16_64 3
		.amdhsa_dx10_clamp 1
		.amdhsa_ieee_mode 1
		.amdhsa_fp16_overflow 0
		.amdhsa_workgroup_processor_mode 1
		.amdhsa_memory_ordered 1
		.amdhsa_forward_progress 1
		.amdhsa_shared_vgpr_count 0
		.amdhsa_exception_fp_ieee_invalid_op 0
		.amdhsa_exception_fp_denorm_src 0
		.amdhsa_exception_fp_ieee_div_zero 0
		.amdhsa_exception_fp_ieee_overflow 0
		.amdhsa_exception_fp_ieee_underflow 0
		.amdhsa_exception_fp_ieee_inexact 0
		.amdhsa_exception_int_div_zero 0
	.end_amdhsa_kernel
	.section	.text._ZN9rocsparseL19gebsrmvn_2xn_kernelILj128ELj8ELj32E21rocsparse_complex_numIdEEEvi20rocsparse_direction_NS_24const_host_device_scalarIT2_EEPKiS8_PKS5_SA_S6_PS5_21rocsparse_index_base_b,"axG",@progbits,_ZN9rocsparseL19gebsrmvn_2xn_kernelILj128ELj8ELj32E21rocsparse_complex_numIdEEEvi20rocsparse_direction_NS_24const_host_device_scalarIT2_EEPKiS8_PKS5_SA_S6_PS5_21rocsparse_index_base_b,comdat
.Lfunc_end261:
	.size	_ZN9rocsparseL19gebsrmvn_2xn_kernelILj128ELj8ELj32E21rocsparse_complex_numIdEEEvi20rocsparse_direction_NS_24const_host_device_scalarIT2_EEPKiS8_PKS5_SA_S6_PS5_21rocsparse_index_base_b, .Lfunc_end261-_ZN9rocsparseL19gebsrmvn_2xn_kernelILj128ELj8ELj32E21rocsparse_complex_numIdEEEvi20rocsparse_direction_NS_24const_host_device_scalarIT2_EEPKiS8_PKS5_SA_S6_PS5_21rocsparse_index_base_b
                                        ; -- End function
	.set _ZN9rocsparseL19gebsrmvn_2xn_kernelILj128ELj8ELj32E21rocsparse_complex_numIdEEEvi20rocsparse_direction_NS_24const_host_device_scalarIT2_EEPKiS8_PKS5_SA_S6_PS5_21rocsparse_index_base_b.num_vgpr, 119
	.set _ZN9rocsparseL19gebsrmvn_2xn_kernelILj128ELj8ELj32E21rocsparse_complex_numIdEEEvi20rocsparse_direction_NS_24const_host_device_scalarIT2_EEPKiS8_PKS5_SA_S6_PS5_21rocsparse_index_base_b.num_agpr, 0
	.set _ZN9rocsparseL19gebsrmvn_2xn_kernelILj128ELj8ELj32E21rocsparse_complex_numIdEEEvi20rocsparse_direction_NS_24const_host_device_scalarIT2_EEPKiS8_PKS5_SA_S6_PS5_21rocsparse_index_base_b.numbered_sgpr, 16
	.set _ZN9rocsparseL19gebsrmvn_2xn_kernelILj128ELj8ELj32E21rocsparse_complex_numIdEEEvi20rocsparse_direction_NS_24const_host_device_scalarIT2_EEPKiS8_PKS5_SA_S6_PS5_21rocsparse_index_base_b.num_named_barrier, 0
	.set _ZN9rocsparseL19gebsrmvn_2xn_kernelILj128ELj8ELj32E21rocsparse_complex_numIdEEEvi20rocsparse_direction_NS_24const_host_device_scalarIT2_EEPKiS8_PKS5_SA_S6_PS5_21rocsparse_index_base_b.private_seg_size, 0
	.set _ZN9rocsparseL19gebsrmvn_2xn_kernelILj128ELj8ELj32E21rocsparse_complex_numIdEEEvi20rocsparse_direction_NS_24const_host_device_scalarIT2_EEPKiS8_PKS5_SA_S6_PS5_21rocsparse_index_base_b.uses_vcc, 1
	.set _ZN9rocsparseL19gebsrmvn_2xn_kernelILj128ELj8ELj32E21rocsparse_complex_numIdEEEvi20rocsparse_direction_NS_24const_host_device_scalarIT2_EEPKiS8_PKS5_SA_S6_PS5_21rocsparse_index_base_b.uses_flat_scratch, 0
	.set _ZN9rocsparseL19gebsrmvn_2xn_kernelILj128ELj8ELj32E21rocsparse_complex_numIdEEEvi20rocsparse_direction_NS_24const_host_device_scalarIT2_EEPKiS8_PKS5_SA_S6_PS5_21rocsparse_index_base_b.has_dyn_sized_stack, 0
	.set _ZN9rocsparseL19gebsrmvn_2xn_kernelILj128ELj8ELj32E21rocsparse_complex_numIdEEEvi20rocsparse_direction_NS_24const_host_device_scalarIT2_EEPKiS8_PKS5_SA_S6_PS5_21rocsparse_index_base_b.has_recursion, 0
	.set _ZN9rocsparseL19gebsrmvn_2xn_kernelILj128ELj8ELj32E21rocsparse_complex_numIdEEEvi20rocsparse_direction_NS_24const_host_device_scalarIT2_EEPKiS8_PKS5_SA_S6_PS5_21rocsparse_index_base_b.has_indirect_call, 0
	.section	.AMDGPU.csdata,"",@progbits
; Kernel info:
; codeLenInByte = 3300
; TotalNumSgprs: 18
; NumVgprs: 119
; ScratchSize: 0
; MemoryBound: 1
; FloatMode: 240
; IeeeMode: 1
; LDSByteSize: 0 bytes/workgroup (compile time only)
; SGPRBlocks: 0
; VGPRBlocks: 14
; NumSGPRsForWavesPerEU: 18
; NumVGPRsForWavesPerEU: 119
; Occupancy: 8
; WaveLimiterHint : 1
; COMPUTE_PGM_RSRC2:SCRATCH_EN: 0
; COMPUTE_PGM_RSRC2:USER_SGPR: 6
; COMPUTE_PGM_RSRC2:TRAP_HANDLER: 0
; COMPUTE_PGM_RSRC2:TGID_X_EN: 1
; COMPUTE_PGM_RSRC2:TGID_Y_EN: 0
; COMPUTE_PGM_RSRC2:TGID_Z_EN: 0
; COMPUTE_PGM_RSRC2:TIDIG_COMP_CNT: 0
	.section	.text._ZN9rocsparseL19gebsrmvn_2xn_kernelILj128ELj8ELj64E21rocsparse_complex_numIdEEEvi20rocsparse_direction_NS_24const_host_device_scalarIT2_EEPKiS8_PKS5_SA_S6_PS5_21rocsparse_index_base_b,"axG",@progbits,_ZN9rocsparseL19gebsrmvn_2xn_kernelILj128ELj8ELj64E21rocsparse_complex_numIdEEEvi20rocsparse_direction_NS_24const_host_device_scalarIT2_EEPKiS8_PKS5_SA_S6_PS5_21rocsparse_index_base_b,comdat
	.globl	_ZN9rocsparseL19gebsrmvn_2xn_kernelILj128ELj8ELj64E21rocsparse_complex_numIdEEEvi20rocsparse_direction_NS_24const_host_device_scalarIT2_EEPKiS8_PKS5_SA_S6_PS5_21rocsparse_index_base_b ; -- Begin function _ZN9rocsparseL19gebsrmvn_2xn_kernelILj128ELj8ELj64E21rocsparse_complex_numIdEEEvi20rocsparse_direction_NS_24const_host_device_scalarIT2_EEPKiS8_PKS5_SA_S6_PS5_21rocsparse_index_base_b
	.p2align	8
	.type	_ZN9rocsparseL19gebsrmvn_2xn_kernelILj128ELj8ELj64E21rocsparse_complex_numIdEEEvi20rocsparse_direction_NS_24const_host_device_scalarIT2_EEPKiS8_PKS5_SA_S6_PS5_21rocsparse_index_base_b,@function
_ZN9rocsparseL19gebsrmvn_2xn_kernelILj128ELj8ELj64E21rocsparse_complex_numIdEEEvi20rocsparse_direction_NS_24const_host_device_scalarIT2_EEPKiS8_PKS5_SA_S6_PS5_21rocsparse_index_base_b: ; @_ZN9rocsparseL19gebsrmvn_2xn_kernelILj128ELj8ELj64E21rocsparse_complex_numIdEEEvi20rocsparse_direction_NS_24const_host_device_scalarIT2_EEPKiS8_PKS5_SA_S6_PS5_21rocsparse_index_base_b
; %bb.0:
	s_clause 0x1
	s_load_dwordx2 s[2:3], s[4:5], 0x50
	s_load_dwordx2 s[0:1], s[4:5], 0x8
	s_add_u32 s7, s4, 8
	s_addc_u32 s10, s5, 0
	s_add_u32 s11, s4, 56
	s_addc_u32 s12, s5, 0
	s_load_dwordx2 s[8:9], s[4:5], 0x38
	s_waitcnt lgkmcnt(0)
	s_bitcmp1_b32 s3, 0
	s_cselect_b32 s0, s7, s0
	s_cselect_b32 s1, s10, s1
	v_mov_b32_e32 v1, s0
	v_mov_b32_e32 v2, s1
	s_cselect_b32 s0, s11, s8
	s_cselect_b32 s1, s12, s9
	v_mov_b32_e32 v5, s0
	v_mov_b32_e32 v6, s1
	flat_load_dwordx4 v[1:4], v[1:2]
	flat_load_dwordx4 v[5:8], v[5:6]
	s_waitcnt vmcnt(1) lgkmcnt(1)
	v_cmp_eq_f64_e32 vcc_lo, 0, v[1:2]
	v_cmp_eq_f64_e64 s0, 0, v[3:4]
	s_and_b32 s3, vcc_lo, s0
	s_mov_b32 s0, -1
	s_and_saveexec_b32 s1, s3
	s_cbranch_execz .LBB262_2
; %bb.1:
	s_waitcnt vmcnt(0) lgkmcnt(0)
	v_cmp_neq_f64_e32 vcc_lo, 1.0, v[5:6]
	v_cmp_neq_f64_e64 s0, 0, v[7:8]
	s_or_b32 s0, vcc_lo, s0
	s_orn2_b32 s0, s0, exec_lo
.LBB262_2:
	s_or_b32 exec_lo, exec_lo, s1
	s_and_saveexec_b32 s1, s0
	s_cbranch_execz .LBB262_21
; %bb.3:
	s_load_dwordx2 s[0:1], s[4:5], 0x0
	v_lshrrev_b32_e32 v9, 6, v0
	v_lshl_or_b32 v9, s6, 1, v9
	s_waitcnt lgkmcnt(0)
	v_cmp_gt_i32_e32 vcc_lo, s0, v9
	s_and_b32 exec_lo, exec_lo, vcc_lo
	s_cbranch_execz .LBB262_21
; %bb.4:
	s_load_dwordx8 s[8:15], s[4:5], 0x18
	v_ashrrev_i32_e32 v10, 31, v9
	v_and_b32_e32 v0, 63, v0
	s_cmp_lg_u32 s1, 0
	v_lshlrev_b64 v[10:11], 2, v[9:10]
	s_waitcnt lgkmcnt(0)
	v_add_co_u32 v10, vcc_lo, s8, v10
	v_add_co_ci_u32_e64 v11, null, s9, v11, vcc_lo
	global_load_dwordx2 v[10:11], v[10:11], off
	s_waitcnt vmcnt(0)
	v_subrev_nc_u32_e32 v10, s2, v10
	v_subrev_nc_u32_e32 v24, s2, v11
	v_add_nc_u32_e32 v10, v10, v0
	v_cmp_lt_i32_e64 s0, v10, v24
	s_cbranch_scc0 .LBB262_10
; %bb.5:
	v_mov_b32_e32 v12, 0
	v_mov_b32_e32 v18, 0
	;; [unrolled: 1-line block ×8, first 2 shown]
	s_and_saveexec_b32 s1, s0
	s_cbranch_execz .LBB262_9
; %bb.6:
	v_mov_b32_e32 v12, 0
	v_mov_b32_e32 v18, 0
	;; [unrolled: 1-line block ×4, first 2 shown]
	v_lshlrev_b32_e32 v20, 4, v10
	v_mov_b32_e32 v13, 0
	v_mov_b32_e32 v21, 0
	;; [unrolled: 1-line block ×6, first 2 shown]
	s_mov_b32 s3, 0
.LBB262_7:                              ; =>This Inner Loop Header: Depth=1
	v_ashrrev_i32_e32 v23, 31, v22
	v_mov_b32_e32 v34, v21
	v_lshlrev_b64 v[25:26], 2, v[22:23]
	v_add_nc_u32_e32 v22, 64, v22
	v_add_co_u32 v25, vcc_lo, s10, v25
	v_add_co_ci_u32_e64 v26, null, s11, v26, vcc_lo
	global_load_dword v11, v[25:26], off
	v_lshlrev_b64 v[25:26], 4, v[20:21]
	v_add_nc_u32_e32 v20, 0x400, v20
	v_add_co_u32 v113, vcc_lo, s12, v25
	v_add_co_ci_u32_e64 v114, null, s13, v26, vcc_lo
	s_clause 0x1
	global_load_dwordx4 v[25:28], v[113:114], off offset:16
	global_load_dwordx4 v[29:32], v[113:114], off
	s_waitcnt vmcnt(2)
	v_subrev_nc_u32_e32 v11, s2, v11
	v_lshlrev_b32_e32 v33, 3, v11
	v_lshlrev_b64 v[33:34], 4, v[33:34]
	v_add_co_u32 v117, vcc_lo, s14, v33
	v_add_co_ci_u32_e64 v118, null, s15, v34, vcc_lo
	v_cmp_ge_i32_e32 vcc_lo, v22, v24
	global_load_dwordx4 v[33:36], v[117:118], off
	s_clause 0x1
	global_load_dwordx4 v[37:40], v[113:114], off offset:48
	global_load_dwordx4 v[41:44], v[113:114], off offset:32
	global_load_dwordx4 v[45:48], v[117:118], off offset:16
	s_clause 0x1
	global_load_dwordx4 v[49:52], v[113:114], off offset:80
	global_load_dwordx4 v[53:56], v[113:114], off offset:64
	global_load_dwordx4 v[57:60], v[117:118], off offset:32
	;; [unrolled: 4-line block ×6, first 2 shown]
	s_clause 0x1
	global_load_dwordx4 v[109:112], v[113:114], off offset:224
	global_load_dwordx4 v[113:116], v[113:114], off offset:240
	s_or_b32 s3, vcc_lo, s3
	s_waitcnt vmcnt(20)
	v_fma_f64 v[18:19], v[29:30], v[33:34], v[18:19]
	v_fma_f64 v[11:12], v[31:32], v[33:34], v[12:13]
	;; [unrolled: 1-line block ×4, first 2 shown]
	v_fma_f64 v[18:19], -v[31:32], v[35:36], v[18:19]
	v_fma_f64 v[11:12], v[29:30], v[35:36], v[11:12]
	global_load_dwordx4 v[29:32], v[117:118], off offset:112
	v_fma_f64 v[13:14], -v[27:28], v[35:36], v[13:14]
	v_fma_f64 v[15:16], v[25:26], v[35:36], v[15:16]
	s_waitcnt vmcnt(18)
	v_fma_f64 v[17:18], v[41:42], v[45:46], v[18:19]
	v_fma_f64 v[11:12], v[43:44], v[45:46], v[11:12]
	v_fma_f64 v[13:14], v[37:38], v[45:46], v[13:14]
	v_fma_f64 v[15:16], v[39:40], v[45:46], v[15:16]
	v_fma_f64 v[17:18], -v[43:44], v[47:48], v[17:18]
	v_fma_f64 v[11:12], v[41:42], v[47:48], v[11:12]
	v_fma_f64 v[13:14], -v[39:40], v[47:48], v[13:14]
	v_fma_f64 v[15:16], v[37:38], v[47:48], v[15:16]
	s_waitcnt vmcnt(15)
	v_fma_f64 v[17:18], v[53:54], v[57:58], v[17:18]
	v_fma_f64 v[11:12], v[55:56], v[57:58], v[11:12]
	v_fma_f64 v[13:14], v[49:50], v[57:58], v[13:14]
	v_fma_f64 v[15:16], v[51:52], v[57:58], v[15:16]
	v_fma_f64 v[17:18], -v[55:56], v[59:60], v[17:18]
	v_fma_f64 v[11:12], v[53:54], v[59:60], v[11:12]
	;; [unrolled: 9-line block ×7, first 2 shown]
	v_fma_f64 v[14:15], -v[115:116], v[31:32], v[25:26]
	v_fma_f64 v[16:17], v[113:114], v[31:32], v[27:28]
	s_andn2_b32 exec_lo, exec_lo, s3
	s_cbranch_execnz .LBB262_7
; %bb.8:
	s_or_b32 exec_lo, exec_lo, s3
.LBB262_9:
	s_or_b32 exec_lo, exec_lo, s1
	s_cbranch_execz .LBB262_11
	s_branch .LBB262_16
.LBB262_10:
                                        ; implicit-def: $vgpr12_vgpr13
                                        ; implicit-def: $vgpr18_vgpr19
                                        ; implicit-def: $vgpr14_vgpr15
                                        ; implicit-def: $vgpr16_vgpr17
.LBB262_11:
	v_mov_b32_e32 v12, 0
	v_mov_b32_e32 v18, 0
	;; [unrolled: 1-line block ×8, first 2 shown]
	s_and_saveexec_b32 s1, s0
	s_cbranch_execz .LBB262_15
; %bb.12:
	v_mov_b32_e32 v12, 0
	v_mov_b32_e32 v18, 0
	;; [unrolled: 1-line block ×4, first 2 shown]
	v_lshlrev_b32_e32 v20, 4, v10
	v_mov_b32_e32 v13, 0
	v_mov_b32_e32 v19, 0
	v_mov_b32_e32 v15, 0
	v_mov_b32_e32 v17, 0
	v_mov_b32_e32 v21, 0
	s_mov_b32 s0, 0
.LBB262_13:                             ; =>This Inner Loop Header: Depth=1
	v_ashrrev_i32_e32 v11, 31, v10
	v_mov_b32_e32 v42, v21
	v_lshlrev_b64 v[22:23], 2, v[10:11]
	v_add_nc_u32_e32 v10, 64, v10
	v_add_co_u32 v22, vcc_lo, s10, v22
	v_add_co_ci_u32_e64 v23, null, s11, v23, vcc_lo
	global_load_dword v11, v[22:23], off
	v_lshlrev_b64 v[22:23], 4, v[20:21]
	v_add_nc_u32_e32 v20, 0x400, v20
	v_add_co_u32 v22, vcc_lo, s12, v22
	v_add_co_ci_u32_e64 v23, null, s13, v23, vcc_lo
	s_clause 0x3
	global_load_dwordx4 v[25:28], v[22:23], off offset:16
	global_load_dwordx4 v[29:32], v[22:23], off
	global_load_dwordx4 v[33:36], v[22:23], off offset:144
	global_load_dwordx4 v[37:40], v[22:23], off offset:128
	s_waitcnt vmcnt(4)
	v_subrev_nc_u32_e32 v11, s2, v11
	v_lshlrev_b32_e32 v41, 3, v11
	v_lshlrev_b64 v[41:42], 4, v[41:42]
	v_add_co_u32 v97, vcc_lo, s14, v41
	v_add_co_ci_u32_e64 v98, null, s15, v42, vcc_lo
	v_cmp_ge_i32_e32 vcc_lo, v10, v24
	s_clause 0x1
	global_load_dwordx4 v[41:44], v[97:98], off
	global_load_dwordx4 v[45:48], v[97:98], off offset:16
	s_clause 0x3
	global_load_dwordx4 v[49:52], v[22:23], off offset:48
	global_load_dwordx4 v[53:56], v[22:23], off offset:32
	;; [unrolled: 1-line block ×4, first 2 shown]
	s_clause 0x1
	global_load_dwordx4 v[65:68], v[97:98], off offset:32
	global_load_dwordx4 v[69:72], v[97:98], off offset:48
	s_clause 0x3
	global_load_dwordx4 v[73:76], v[22:23], off offset:80
	global_load_dwordx4 v[77:80], v[22:23], off offset:64
	;; [unrolled: 1-line block ×6, first 2 shown]
	s_or_b32 s0, vcc_lo, s0
	s_waitcnt vmcnt(13)
	v_fma_f64 v[18:19], v[29:30], v[41:42], v[18:19]
	v_fma_f64 v[11:12], v[31:32], v[41:42], v[12:13]
	v_fma_f64 v[99:100], -v[31:32], v[43:44], v[18:19]
	v_fma_f64 v[101:102], v[29:30], v[43:44], v[11:12]
	global_load_dwordx4 v[29:32], v[97:98], off offset:80
	v_fma_f64 v[11:12], v[37:38], v[41:42], v[14:15]
	v_fma_f64 v[13:14], v[39:40], v[41:42], v[16:17]
	v_fma_f64 v[41:42], -v[39:40], v[43:44], v[11:12]
	v_fma_f64 v[43:44], v[37:38], v[43:44], v[13:14]
	s_clause 0x2
	global_load_dwordx4 v[11:14], v[22:23], off offset:96
	global_load_dwordx4 v[37:40], v[22:23], off offset:240
	;; [unrolled: 1-line block ×3, first 2 shown]
	s_waitcnt vmcnt(16)
	v_fma_f64 v[22:23], v[25:26], v[45:46], v[99:100]
	v_fma_f64 v[99:100], v[27:28], v[45:46], v[101:102]
	;; [unrolled: 1-line block ×4, first 2 shown]
	v_fma_f64 v[22:23], -v[27:28], v[47:48], v[22:23]
	v_fma_f64 v[99:100], v[25:26], v[47:48], v[99:100]
	global_load_dwordx4 v[25:28], v[97:98], off offset:96
	v_fma_f64 v[41:42], -v[35:36], v[47:48], v[41:42]
	v_fma_f64 v[43:44], v[33:34], v[47:48], v[43:44]
	global_load_dwordx4 v[33:36], v[97:98], off offset:112
	s_waitcnt vmcnt(13)
	v_fma_f64 v[22:23], v[53:54], v[65:66], v[22:23]
	v_fma_f64 v[45:46], v[55:56], v[65:66], v[99:100]
	v_fma_f64 v[41:42], v[61:62], v[65:66], v[41:42]
	v_fma_f64 v[43:44], v[63:64], v[65:66], v[43:44]
	v_fma_f64 v[22:23], -v[55:56], v[67:68], v[22:23]
	v_fma_f64 v[45:46], v[53:54], v[67:68], v[45:46]
	v_fma_f64 v[41:42], -v[63:64], v[67:68], v[41:42]
	v_fma_f64 v[43:44], v[61:62], v[67:68], v[43:44]
	s_waitcnt vmcnt(12)
	v_fma_f64 v[22:23], v[49:50], v[69:70], v[22:23]
	v_fma_f64 v[45:46], v[51:52], v[69:70], v[45:46]
	v_fma_f64 v[41:42], v[57:58], v[69:70], v[41:42]
	v_fma_f64 v[43:44], v[59:60], v[69:70], v[43:44]
	v_fma_f64 v[22:23], -v[51:52], v[71:72], v[22:23]
	v_fma_f64 v[45:46], v[49:50], v[71:72], v[45:46]
	v_fma_f64 v[41:42], -v[59:60], v[71:72], v[41:42]
	v_fma_f64 v[43:44], v[57:58], v[71:72], v[43:44]
	;; [unrolled: 9-line block ×6, first 2 shown]
	s_andn2_b32 exec_lo, exec_lo, s0
	s_cbranch_execnz .LBB262_13
; %bb.14:
	s_or_b32 exec_lo, exec_lo, s0
.LBB262_15:
	s_or_b32 exec_lo, exec_lo, s1
.LBB262_16:
	v_mbcnt_lo_u32_b32 v26, -1, 0
	v_or_b32_e32 v10, 32, v26
	v_cmp_gt_i32_e32 vcc_lo, 32, v10
	v_cndmask_b32_e32 v10, v26, v10, vcc_lo
	v_lshlrev_b32_e32 v25, 2, v10
	ds_bpermute_b32 v10, v25, v18
	ds_bpermute_b32 v11, v25, v19
	ds_bpermute_b32 v20, v25, v12
	ds_bpermute_b32 v21, v25, v13
	ds_bpermute_b32 v22, v25, v14
	ds_bpermute_b32 v23, v25, v15
	ds_bpermute_b32 v24, v25, v16
	ds_bpermute_b32 v25, v25, v17
	s_waitcnt lgkmcnt(6)
	v_add_f64 v[10:11], v[18:19], v[10:11]
	v_xor_b32_e32 v18, 16, v26
	s_waitcnt lgkmcnt(4)
	v_add_f64 v[12:13], v[12:13], v[20:21]
	s_waitcnt lgkmcnt(2)
	v_add_f64 v[14:15], v[14:15], v[22:23]
	s_waitcnt lgkmcnt(0)
	v_add_f64 v[16:17], v[16:17], v[24:25]
	v_cmp_gt_i32_e32 vcc_lo, 32, v18
	v_cndmask_b32_e32 v18, v26, v18, vcc_lo
	v_lshlrev_b32_e32 v25, 2, v18
	ds_bpermute_b32 v18, v25, v10
	ds_bpermute_b32 v19, v25, v11
	ds_bpermute_b32 v20, v25, v12
	ds_bpermute_b32 v21, v25, v13
	ds_bpermute_b32 v22, v25, v14
	ds_bpermute_b32 v23, v25, v15
	ds_bpermute_b32 v24, v25, v16
	ds_bpermute_b32 v25, v25, v17
	s_waitcnt lgkmcnt(6)
	v_add_f64 v[10:11], v[10:11], v[18:19]
	v_xor_b32_e32 v18, 8, v26
	s_waitcnt lgkmcnt(4)
	v_add_f64 v[12:13], v[12:13], v[20:21]
	s_waitcnt lgkmcnt(2)
	v_add_f64 v[14:15], v[14:15], v[22:23]
	s_waitcnt lgkmcnt(0)
	v_add_f64 v[16:17], v[16:17], v[24:25]
	;; [unrolled: 20-line block ×3, first 2 shown]
	v_cmp_gt_i32_e32 vcc_lo, 32, v18
	v_cndmask_b32_e32 v18, v26, v18, vcc_lo
	v_lshlrev_b32_e32 v25, 2, v18
	ds_bpermute_b32 v18, v25, v10
	ds_bpermute_b32 v19, v25, v11
	;; [unrolled: 1-line block ×8, first 2 shown]
	s_waitcnt lgkmcnt(6)
	v_add_f64 v[10:11], v[10:11], v[18:19]
	s_waitcnt lgkmcnt(4)
	v_add_f64 v[12:13], v[12:13], v[20:21]
	;; [unrolled: 2-line block ×4, first 2 shown]
	v_xor_b32_e32 v16, 2, v26
	v_cmp_gt_i32_e32 vcc_lo, 32, v16
	v_cndmask_b32_e32 v16, v26, v16, vcc_lo
	v_lshlrev_b32_e32 v25, 2, v16
	ds_bpermute_b32 v16, v25, v10
	ds_bpermute_b32 v17, v25, v11
	;; [unrolled: 1-line block ×8, first 2 shown]
	s_waitcnt lgkmcnt(6)
	v_add_f64 v[10:11], v[10:11], v[16:17]
	s_waitcnt lgkmcnt(4)
	v_add_f64 v[16:17], v[12:13], v[20:21]
	;; [unrolled: 2-line block ×4, first 2 shown]
	v_xor_b32_e32 v18, 1, v26
	v_cmp_gt_i32_e32 vcc_lo, 32, v18
	v_cndmask_b32_e32 v18, v26, v18, vcc_lo
	v_cmp_eq_u32_e32 vcc_lo, 63, v0
	v_lshlrev_b32_e32 v21, 2, v18
	ds_bpermute_b32 v24, v21, v10
	ds_bpermute_b32 v25, v21, v11
	;; [unrolled: 1-line block ×8, first 2 shown]
	s_and_b32 exec_lo, exec_lo, vcc_lo
	s_cbranch_execz .LBB262_21
; %bb.17:
	v_cmp_eq_f64_e32 vcc_lo, 0, v[5:6]
	v_cmp_eq_f64_e64 s0, 0, v[7:8]
	s_waitcnt lgkmcnt(6)
	v_add_f64 v[10:11], v[10:11], v[24:25]
	s_waitcnt lgkmcnt(4)
	v_add_f64 v[16:17], v[16:17], v[22:23]
	;; [unrolled: 2-line block ×4, first 2 shown]
	s_load_dwordx2 s[2:3], s[4:5], 0x48
	s_and_b32 s0, vcc_lo, s0
	s_and_saveexec_b32 s1, s0
	s_xor_b32 s0, exec_lo, s1
	s_cbranch_execz .LBB262_19
; %bb.18:
	v_mul_f64 v[5:6], v[16:17], -v[3:4]
	v_mul_f64 v[7:8], v[1:2], v[16:17]
	v_mul_f64 v[16:17], v[14:15], -v[3:4]
	v_mul_f64 v[14:15], v[1:2], v[14:15]
	v_lshlrev_b32_e32 v9, 1, v9
	v_fma_f64 v[5:6], v[1:2], v[10:11], v[5:6]
	v_fma_f64 v[7:8], v[3:4], v[10:11], v[7:8]
	;; [unrolled: 1-line block ×4, first 2 shown]
	v_ashrrev_i32_e32 v10, 31, v9
                                        ; implicit-def: $vgpr16_vgpr17
                                        ; implicit-def: $vgpr12_vgpr13
                                        ; implicit-def: $vgpr14_vgpr15
	v_lshlrev_b64 v[9:10], 4, v[9:10]
	s_waitcnt lgkmcnt(0)
	v_add_co_u32 v9, vcc_lo, s2, v9
	v_add_co_ci_u32_e64 v10, null, s3, v10, vcc_lo
	global_store_dwordx4 v[9:10], v[5:8], off
	global_store_dwordx4 v[9:10], v[0:3], off offset:16
                                        ; implicit-def: $vgpr9
                                        ; implicit-def: $vgpr10_vgpr11
                                        ; implicit-def: $vgpr7_vgpr8
                                        ; implicit-def: $vgpr3_vgpr4
.LBB262_19:
	s_andn2_saveexec_b32 s0, s0
	s_cbranch_execz .LBB262_21
; %bb.20:
	v_lshlrev_b32_e32 v18, 1, v9
	v_mul_f64 v[28:29], v[16:17], -v[3:4]
	v_mul_f64 v[16:17], v[1:2], v[16:17]
	v_mul_f64 v[30:31], v[14:15], -v[3:4]
	v_mul_f64 v[14:15], v[1:2], v[14:15]
	v_ashrrev_i32_e32 v19, 31, v18
	v_lshlrev_b64 v[18:19], 4, v[18:19]
	s_waitcnt lgkmcnt(0)
	v_add_co_u32 v26, vcc_lo, s2, v18
	v_add_co_ci_u32_e64 v27, null, s3, v19, vcc_lo
	s_clause 0x1
	global_load_dwordx4 v[18:21], v[26:27], off
	global_load_dwordx4 v[22:25], v[26:27], off offset:16
	v_fma_f64 v[28:29], v[1:2], v[10:11], v[28:29]
	v_fma_f64 v[9:10], v[3:4], v[10:11], v[16:17]
	;; [unrolled: 1-line block ×4, first 2 shown]
	s_waitcnt vmcnt(1)
	v_fma_f64 v[11:12], v[5:6], v[18:19], v[28:29]
	v_fma_f64 v[9:10], v[7:8], v[18:19], v[9:10]
	s_waitcnt vmcnt(0)
	v_fma_f64 v[13:14], v[5:6], v[22:23], v[0:1]
	v_fma_f64 v[15:16], v[7:8], v[22:23], v[2:3]
	v_fma_f64 v[0:1], -v[7:8], v[20:21], v[11:12]
	v_fma_f64 v[2:3], v[5:6], v[20:21], v[9:10]
	v_fma_f64 v[7:8], -v[7:8], v[24:25], v[13:14]
	v_fma_f64 v[9:10], v[5:6], v[24:25], v[15:16]
	global_store_dwordx4 v[26:27], v[0:3], off
	global_store_dwordx4 v[26:27], v[7:10], off offset:16
.LBB262_21:
	s_endpgm
	.section	.rodata,"a",@progbits
	.p2align	6, 0x0
	.amdhsa_kernel _ZN9rocsparseL19gebsrmvn_2xn_kernelILj128ELj8ELj64E21rocsparse_complex_numIdEEEvi20rocsparse_direction_NS_24const_host_device_scalarIT2_EEPKiS8_PKS5_SA_S6_PS5_21rocsparse_index_base_b
		.amdhsa_group_segment_fixed_size 0
		.amdhsa_private_segment_fixed_size 0
		.amdhsa_kernarg_size 88
		.amdhsa_user_sgpr_count 6
		.amdhsa_user_sgpr_private_segment_buffer 1
		.amdhsa_user_sgpr_dispatch_ptr 0
		.amdhsa_user_sgpr_queue_ptr 0
		.amdhsa_user_sgpr_kernarg_segment_ptr 1
		.amdhsa_user_sgpr_dispatch_id 0
		.amdhsa_user_sgpr_flat_scratch_init 0
		.amdhsa_user_sgpr_private_segment_size 0
		.amdhsa_wavefront_size32 1
		.amdhsa_uses_dynamic_stack 0
		.amdhsa_system_sgpr_private_segment_wavefront_offset 0
		.amdhsa_system_sgpr_workgroup_id_x 1
		.amdhsa_system_sgpr_workgroup_id_y 0
		.amdhsa_system_sgpr_workgroup_id_z 0
		.amdhsa_system_sgpr_workgroup_info 0
		.amdhsa_system_vgpr_workitem_id 0
		.amdhsa_next_free_vgpr 119
		.amdhsa_next_free_sgpr 16
		.amdhsa_reserve_vcc 1
		.amdhsa_reserve_flat_scratch 0
		.amdhsa_float_round_mode_32 0
		.amdhsa_float_round_mode_16_64 0
		.amdhsa_float_denorm_mode_32 3
		.amdhsa_float_denorm_mode_16_64 3
		.amdhsa_dx10_clamp 1
		.amdhsa_ieee_mode 1
		.amdhsa_fp16_overflow 0
		.amdhsa_workgroup_processor_mode 1
		.amdhsa_memory_ordered 1
		.amdhsa_forward_progress 1
		.amdhsa_shared_vgpr_count 0
		.amdhsa_exception_fp_ieee_invalid_op 0
		.amdhsa_exception_fp_denorm_src 0
		.amdhsa_exception_fp_ieee_div_zero 0
		.amdhsa_exception_fp_ieee_overflow 0
		.amdhsa_exception_fp_ieee_underflow 0
		.amdhsa_exception_fp_ieee_inexact 0
		.amdhsa_exception_int_div_zero 0
	.end_amdhsa_kernel
	.section	.text._ZN9rocsparseL19gebsrmvn_2xn_kernelILj128ELj8ELj64E21rocsparse_complex_numIdEEEvi20rocsparse_direction_NS_24const_host_device_scalarIT2_EEPKiS8_PKS5_SA_S6_PS5_21rocsparse_index_base_b,"axG",@progbits,_ZN9rocsparseL19gebsrmvn_2xn_kernelILj128ELj8ELj64E21rocsparse_complex_numIdEEEvi20rocsparse_direction_NS_24const_host_device_scalarIT2_EEPKiS8_PKS5_SA_S6_PS5_21rocsparse_index_base_b,comdat
.Lfunc_end262:
	.size	_ZN9rocsparseL19gebsrmvn_2xn_kernelILj128ELj8ELj64E21rocsparse_complex_numIdEEEvi20rocsparse_direction_NS_24const_host_device_scalarIT2_EEPKiS8_PKS5_SA_S6_PS5_21rocsparse_index_base_b, .Lfunc_end262-_ZN9rocsparseL19gebsrmvn_2xn_kernelILj128ELj8ELj64E21rocsparse_complex_numIdEEEvi20rocsparse_direction_NS_24const_host_device_scalarIT2_EEPKiS8_PKS5_SA_S6_PS5_21rocsparse_index_base_b
                                        ; -- End function
	.set _ZN9rocsparseL19gebsrmvn_2xn_kernelILj128ELj8ELj64E21rocsparse_complex_numIdEEEvi20rocsparse_direction_NS_24const_host_device_scalarIT2_EEPKiS8_PKS5_SA_S6_PS5_21rocsparse_index_base_b.num_vgpr, 119
	.set _ZN9rocsparseL19gebsrmvn_2xn_kernelILj128ELj8ELj64E21rocsparse_complex_numIdEEEvi20rocsparse_direction_NS_24const_host_device_scalarIT2_EEPKiS8_PKS5_SA_S6_PS5_21rocsparse_index_base_b.num_agpr, 0
	.set _ZN9rocsparseL19gebsrmvn_2xn_kernelILj128ELj8ELj64E21rocsparse_complex_numIdEEEvi20rocsparse_direction_NS_24const_host_device_scalarIT2_EEPKiS8_PKS5_SA_S6_PS5_21rocsparse_index_base_b.numbered_sgpr, 16
	.set _ZN9rocsparseL19gebsrmvn_2xn_kernelILj128ELj8ELj64E21rocsparse_complex_numIdEEEvi20rocsparse_direction_NS_24const_host_device_scalarIT2_EEPKiS8_PKS5_SA_S6_PS5_21rocsparse_index_base_b.num_named_barrier, 0
	.set _ZN9rocsparseL19gebsrmvn_2xn_kernelILj128ELj8ELj64E21rocsparse_complex_numIdEEEvi20rocsparse_direction_NS_24const_host_device_scalarIT2_EEPKiS8_PKS5_SA_S6_PS5_21rocsparse_index_base_b.private_seg_size, 0
	.set _ZN9rocsparseL19gebsrmvn_2xn_kernelILj128ELj8ELj64E21rocsparse_complex_numIdEEEvi20rocsparse_direction_NS_24const_host_device_scalarIT2_EEPKiS8_PKS5_SA_S6_PS5_21rocsparse_index_base_b.uses_vcc, 1
	.set _ZN9rocsparseL19gebsrmvn_2xn_kernelILj128ELj8ELj64E21rocsparse_complex_numIdEEEvi20rocsparse_direction_NS_24const_host_device_scalarIT2_EEPKiS8_PKS5_SA_S6_PS5_21rocsparse_index_base_b.uses_flat_scratch, 0
	.set _ZN9rocsparseL19gebsrmvn_2xn_kernelILj128ELj8ELj64E21rocsparse_complex_numIdEEEvi20rocsparse_direction_NS_24const_host_device_scalarIT2_EEPKiS8_PKS5_SA_S6_PS5_21rocsparse_index_base_b.has_dyn_sized_stack, 0
	.set _ZN9rocsparseL19gebsrmvn_2xn_kernelILj128ELj8ELj64E21rocsparse_complex_numIdEEEvi20rocsparse_direction_NS_24const_host_device_scalarIT2_EEPKiS8_PKS5_SA_S6_PS5_21rocsparse_index_base_b.has_recursion, 0
	.set _ZN9rocsparseL19gebsrmvn_2xn_kernelILj128ELj8ELj64E21rocsparse_complex_numIdEEEvi20rocsparse_direction_NS_24const_host_device_scalarIT2_EEPKiS8_PKS5_SA_S6_PS5_21rocsparse_index_base_b.has_indirect_call, 0
	.section	.AMDGPU.csdata,"",@progbits
; Kernel info:
; codeLenInByte = 3428
; TotalNumSgprs: 18
; NumVgprs: 119
; ScratchSize: 0
; MemoryBound: 1
; FloatMode: 240
; IeeeMode: 1
; LDSByteSize: 0 bytes/workgroup (compile time only)
; SGPRBlocks: 0
; VGPRBlocks: 14
; NumSGPRsForWavesPerEU: 18
; NumVGPRsForWavesPerEU: 119
; Occupancy: 8
; WaveLimiterHint : 1
; COMPUTE_PGM_RSRC2:SCRATCH_EN: 0
; COMPUTE_PGM_RSRC2:USER_SGPR: 6
; COMPUTE_PGM_RSRC2:TRAP_HANDLER: 0
; COMPUTE_PGM_RSRC2:TGID_X_EN: 1
; COMPUTE_PGM_RSRC2:TGID_Y_EN: 0
; COMPUTE_PGM_RSRC2:TGID_Z_EN: 0
; COMPUTE_PGM_RSRC2:TIDIG_COMP_CNT: 0
	.section	.text._ZN9rocsparseL19gebsrmvn_2xn_kernelILj128ELj9ELj4E21rocsparse_complex_numIdEEEvi20rocsparse_direction_NS_24const_host_device_scalarIT2_EEPKiS8_PKS5_SA_S6_PS5_21rocsparse_index_base_b,"axG",@progbits,_ZN9rocsparseL19gebsrmvn_2xn_kernelILj128ELj9ELj4E21rocsparse_complex_numIdEEEvi20rocsparse_direction_NS_24const_host_device_scalarIT2_EEPKiS8_PKS5_SA_S6_PS5_21rocsparse_index_base_b,comdat
	.globl	_ZN9rocsparseL19gebsrmvn_2xn_kernelILj128ELj9ELj4E21rocsparse_complex_numIdEEEvi20rocsparse_direction_NS_24const_host_device_scalarIT2_EEPKiS8_PKS5_SA_S6_PS5_21rocsparse_index_base_b ; -- Begin function _ZN9rocsparseL19gebsrmvn_2xn_kernelILj128ELj9ELj4E21rocsparse_complex_numIdEEEvi20rocsparse_direction_NS_24const_host_device_scalarIT2_EEPKiS8_PKS5_SA_S6_PS5_21rocsparse_index_base_b
	.p2align	8
	.type	_ZN9rocsparseL19gebsrmvn_2xn_kernelILj128ELj9ELj4E21rocsparse_complex_numIdEEEvi20rocsparse_direction_NS_24const_host_device_scalarIT2_EEPKiS8_PKS5_SA_S6_PS5_21rocsparse_index_base_b,@function
_ZN9rocsparseL19gebsrmvn_2xn_kernelILj128ELj9ELj4E21rocsparse_complex_numIdEEEvi20rocsparse_direction_NS_24const_host_device_scalarIT2_EEPKiS8_PKS5_SA_S6_PS5_21rocsparse_index_base_b: ; @_ZN9rocsparseL19gebsrmvn_2xn_kernelILj128ELj9ELj4E21rocsparse_complex_numIdEEEvi20rocsparse_direction_NS_24const_host_device_scalarIT2_EEPKiS8_PKS5_SA_S6_PS5_21rocsparse_index_base_b
; %bb.0:
	s_clause 0x1
	s_load_dwordx2 s[2:3], s[4:5], 0x50
	s_load_dwordx2 s[0:1], s[4:5], 0x8
	s_add_u32 s7, s4, 8
	s_addc_u32 s10, s5, 0
	s_add_u32 s11, s4, 56
	s_addc_u32 s12, s5, 0
	s_load_dwordx2 s[8:9], s[4:5], 0x38
	s_waitcnt lgkmcnt(0)
	s_bitcmp1_b32 s3, 0
	s_cselect_b32 s0, s7, s0
	s_cselect_b32 s1, s10, s1
	v_mov_b32_e32 v1, s0
	v_mov_b32_e32 v2, s1
	s_cselect_b32 s0, s11, s8
	s_cselect_b32 s1, s12, s9
	v_mov_b32_e32 v5, s0
	v_mov_b32_e32 v6, s1
	flat_load_dwordx4 v[1:4], v[1:2]
	flat_load_dwordx4 v[5:8], v[5:6]
	s_waitcnt vmcnt(1) lgkmcnt(1)
	v_cmp_eq_f64_e32 vcc_lo, 0, v[1:2]
	v_cmp_eq_f64_e64 s0, 0, v[3:4]
	s_and_b32 s3, vcc_lo, s0
	s_mov_b32 s0, -1
	s_and_saveexec_b32 s1, s3
	s_cbranch_execz .LBB263_2
; %bb.1:
	s_waitcnt vmcnt(0) lgkmcnt(0)
	v_cmp_neq_f64_e32 vcc_lo, 1.0, v[5:6]
	v_cmp_neq_f64_e64 s0, 0, v[7:8]
	s_or_b32 s0, vcc_lo, s0
	s_orn2_b32 s0, s0, exec_lo
.LBB263_2:
	s_or_b32 exec_lo, exec_lo, s1
	s_and_saveexec_b32 s1, s0
	s_cbranch_execz .LBB263_21
; %bb.3:
	s_load_dwordx2 s[0:1], s[4:5], 0x0
	v_lshrrev_b32_e32 v9, 2, v0
	v_lshl_or_b32 v9, s6, 5, v9
	s_waitcnt lgkmcnt(0)
	v_cmp_gt_i32_e32 vcc_lo, s0, v9
	s_and_b32 exec_lo, exec_lo, vcc_lo
	s_cbranch_execz .LBB263_21
; %bb.4:
	s_load_dwordx8 s[8:15], s[4:5], 0x18
	v_ashrrev_i32_e32 v10, 31, v9
	v_and_b32_e32 v0, 3, v0
	s_cmp_lg_u32 s1, 0
	v_lshlrev_b64 v[10:11], 2, v[9:10]
	s_waitcnt lgkmcnt(0)
	v_add_co_u32 v10, vcc_lo, s8, v10
	v_add_co_ci_u32_e64 v11, null, s9, v11, vcc_lo
	global_load_dwordx2 v[10:11], v[10:11], off
	s_waitcnt vmcnt(0)
	v_subrev_nc_u32_e32 v10, s2, v10
	v_subrev_nc_u32_e32 v25, s2, v11
	v_add_nc_u32_e32 v10, v10, v0
	v_cmp_lt_i32_e64 s0, v10, v25
	s_cbranch_scc0 .LBB263_10
; %bb.5:
	v_mov_b32_e32 v14, 0
	v_mov_b32_e32 v18, 0
	;; [unrolled: 1-line block ×8, first 2 shown]
	s_and_saveexec_b32 s1, s0
	s_cbranch_execz .LBB263_9
; %bb.6:
	v_mad_u64_u32 v[20:21], null, v10, 18, 16
	v_mov_b32_e32 v14, 0
	v_mov_b32_e32 v18, 0
	;; [unrolled: 1-line block ×10, first 2 shown]
	s_mov_b32 s3, 0
.LBB263_7:                              ; =>This Inner Loop Header: Depth=1
	v_ashrrev_i32_e32 v24, 31, v23
	v_add_nc_u32_e32 v21, -16, v20
	v_mov_b32_e32 v95, v22
	v_lshlrev_b64 v[26:27], 2, v[23:24]
	v_add_nc_u32_e32 v23, 4, v23
	v_add_co_u32 v26, vcc_lo, s10, v26
	v_add_co_ci_u32_e64 v27, null, s11, v27, vcc_lo
	global_load_dword v11, v[26:27], off
	v_lshlrev_b64 v[26:27], 4, v[21:22]
	v_add_nc_u32_e32 v21, -14, v20
	v_lshlrev_b64 v[28:29], 4, v[21:22]
	v_add_co_u32 v30, vcc_lo, s12, v26
	v_add_co_ci_u32_e64 v31, null, s13, v27, vcc_lo
	v_add_co_u32 v38, vcc_lo, s12, v28
	v_add_co_ci_u32_e64 v39, null, s13, v29, vcc_lo
	s_clause 0x3
	global_load_dwordx4 v[26:29], v[30:31], off offset:16
	global_load_dwordx4 v[30:33], v[30:31], off
	global_load_dwordx4 v[34:37], v[38:39], off offset:16
	global_load_dwordx4 v[38:41], v[38:39], off
	s_waitcnt vmcnt(4)
	v_subrev_nc_u32_e32 v11, s2, v11
	v_lshl_add_u32 v94, v11, 3, v11
	v_lshlrev_b64 v[42:43], 4, v[94:95]
	v_add_nc_u32_e32 v21, 1, v94
	v_lshlrev_b64 v[46:47], 4, v[21:22]
	v_add_co_u32 v42, vcc_lo, s14, v42
	v_add_co_ci_u32_e64 v43, null, s15, v43, vcc_lo
	v_add_nc_u32_e32 v21, -12, v20
	v_add_co_u32 v46, vcc_lo, s14, v46
	global_load_dwordx4 v[42:45], v[42:43], off
	v_add_co_ci_u32_e64 v47, null, s15, v47, vcc_lo
	v_lshlrev_b64 v[50:51], 4, v[21:22]
	v_add_nc_u32_e32 v21, 2, v94
	global_load_dwordx4 v[46:49], v[46:47], off
	v_lshlrev_b64 v[52:53], 4, v[21:22]
	v_add_co_u32 v54, vcc_lo, s12, v50
	v_add_co_ci_u32_e64 v55, null, s13, v51, vcc_lo
	v_mov_b32_e32 v21, v22
	v_add_co_u32 v58, vcc_lo, s14, v52
	v_add_co_ci_u32_e64 v59, null, s15, v53, vcc_lo
	s_clause 0x1
	global_load_dwordx4 v[50:53], v[54:55], off offset:16
	global_load_dwordx4 v[54:57], v[54:55], off
	global_load_dwordx4 v[58:61], v[58:59], off
	v_lshlrev_b64 v[62:63], 4, v[20:21]
	v_add_nc_u32_e32 v21, -10, v20
	v_add_co_u32 v95, vcc_lo, s12, v62
	v_add_co_ci_u32_e64 v96, null, s13, v63, vcc_lo
	v_lshlrev_b64 v[62:63], 4, v[21:22]
	v_add_nc_u32_e32 v21, 3, v94
	v_lshlrev_b64 v[64:65], 4, v[21:22]
	v_add_co_u32 v66, vcc_lo, s12, v62
	v_add_co_ci_u32_e64 v67, null, s13, v63, vcc_lo
	v_add_nc_u32_e32 v21, -8, v20
	v_add_co_u32 v70, vcc_lo, s14, v64
	v_add_co_ci_u32_e64 v71, null, s15, v65, vcc_lo
	s_clause 0x1
	global_load_dwordx4 v[62:65], v[66:67], off offset:16
	global_load_dwordx4 v[66:69], v[66:67], off
	global_load_dwordx4 v[70:73], v[70:71], off
	v_lshlrev_b64 v[74:75], 4, v[21:22]
	v_add_nc_u32_e32 v21, 4, v94
	v_lshlrev_b64 v[76:77], 4, v[21:22]
	v_add_co_u32 v78, vcc_lo, s12, v74
	v_add_co_ci_u32_e64 v79, null, s13, v75, vcc_lo
	v_add_nc_u32_e32 v21, -6, v20
	v_add_co_u32 v82, vcc_lo, s14, v76
	v_add_co_ci_u32_e64 v83, null, s15, v77, vcc_lo
	s_clause 0x1
	global_load_dwordx4 v[74:77], v[78:79], off offset:16
	global_load_dwordx4 v[78:81], v[78:79], off
	v_lshlrev_b64 v[86:87], 4, v[21:22]
	v_add_nc_u32_e32 v21, 5, v94
	global_load_dwordx4 v[82:85], v[82:83], off
	v_lshlrev_b64 v[88:89], 4, v[21:22]
	v_add_co_u32 v90, vcc_lo, s12, v86
	v_add_co_ci_u32_e64 v91, null, s13, v87, vcc_lo
	v_add_nc_u32_e32 v21, -4, v20
	v_add_co_u32 v99, vcc_lo, s14, v88
	v_add_co_ci_u32_e64 v100, null, s15, v89, vcc_lo
	s_clause 0x1
	global_load_dwordx4 v[86:89], v[90:91], off offset:16
	global_load_dwordx4 v[90:93], v[90:91], off
	v_lshlrev_b64 v[97:98], 4, v[21:22]
	v_add_nc_u32_e32 v21, 6, v94
	s_waitcnt vmcnt(12)
	v_fma_f64 v[18:19], v[30:31], v[42:43], v[18:19]
	v_fma_f64 v[14:15], v[32:33], v[42:43], v[14:15]
	v_fma_f64 v[11:12], v[26:27], v[42:43], v[12:13]
	v_fma_f64 v[16:17], v[28:29], v[42:43], v[16:17]
	v_fma_f64 v[101:102], -v[32:33], v[44:45], v[18:19]
	v_fma_f64 v[103:104], v[30:31], v[44:45], v[14:15]
	global_load_dwordx4 v[30:33], v[99:100], off
	v_fma_f64 v[42:43], -v[28:29], v[44:45], v[11:12]
	v_lshlrev_b64 v[14:15], 4, v[21:22]
	v_add_co_u32 v18, vcc_lo, s12, v97
	v_add_co_ci_u32_e64 v19, null, s13, v98, vcc_lo
	v_fma_f64 v[44:45], v[26:27], v[44:45], v[16:17]
	v_add_co_u32 v26, vcc_lo, s14, v14
	v_add_co_ci_u32_e64 v27, null, s15, v15, vcc_lo
	s_clause 0x1
	global_load_dwordx4 v[11:14], v[18:19], off offset:16
	global_load_dwordx4 v[15:18], v[18:19], off
	v_add_nc_u32_e32 v21, -2, v20
	v_add_nc_u32_e32 v20, 0x48, v20
	v_lshlrev_b64 v[97:98], 4, v[21:22]
	s_waitcnt vmcnt(14)
	v_fma_f64 v[28:29], v[38:39], v[46:47], v[101:102]
	v_fma_f64 v[101:102], v[40:41], v[46:47], v[103:104]
	v_add_nc_u32_e32 v21, 7, v94
	v_fma_f64 v[103:104], -v[40:41], v[48:49], v[28:29]
	global_load_dwordx4 v[26:29], v[26:27], off
	v_fma_f64 v[101:102], v[38:39], v[48:49], v[101:102]
	v_fma_f64 v[40:41], v[34:35], v[46:47], v[42:43]
	;; [unrolled: 1-line block ×3, first 2 shown]
	v_lshlrev_b64 v[99:100], 4, v[21:22]
	v_add_co_u32 v38, vcc_lo, s12, v97
	v_add_co_ci_u32_e64 v39, null, s13, v98, vcc_lo
	v_add_nc_u32_e32 v21, 8, v94
	v_add_co_u32 v97, vcc_lo, s14, v99
	v_add_co_ci_u32_e64 v98, null, s15, v100, vcc_lo
	v_lshlrev_b64 v[99:100], 4, v[21:22]
	v_add_co_u32 v99, vcc_lo, s14, v99
	s_waitcnt vmcnt(12)
	v_fma_f64 v[46:47], v[54:55], v[58:59], v[103:104]
	v_add_co_ci_u32_e64 v100, null, s15, v100, vcc_lo
	v_fma_f64 v[105:106], -v[36:37], v[48:49], v[40:41]
	v_fma_f64 v[107:108], v[34:35], v[48:49], v[42:43]
	s_clause 0x1
	global_load_dwordx4 v[34:37], v[38:39], off offset:16
	global_load_dwordx4 v[38:41], v[38:39], off
	global_load_dwordx4 v[42:45], v[97:98], off
	v_fma_f64 v[48:49], v[56:57], v[58:59], v[101:102]
	v_cmp_ge_i32_e32 vcc_lo, v23, v25
	s_or_b32 s3, vcc_lo, s3
	v_fma_f64 v[97:98], -v[56:57], v[60:61], v[46:47]
	v_fma_f64 v[56:57], v[52:53], v[58:59], v[107:108]
	v_fma_f64 v[101:102], v[54:55], v[60:61], v[48:49]
	;; [unrolled: 1-line block ×3, first 2 shown]
	global_load_dwordx4 v[46:49], v[95:96], off offset:16
	v_fma_f64 v[58:59], -v[52:53], v[60:61], v[54:55]
	v_fma_f64 v[60:61], v[50:51], v[60:61], v[56:57]
	global_load_dwordx4 v[50:53], v[95:96], off
	global_load_dwordx4 v[54:57], v[99:100], off
	s_waitcnt vmcnt(15)
	v_fma_f64 v[94:95], v[66:67], v[70:71], v[97:98]
	v_fma_f64 v[96:97], v[68:69], v[70:71], v[101:102]
	v_fma_f64 v[58:59], v[62:63], v[70:71], v[58:59]
	v_fma_f64 v[60:61], v[64:65], v[70:71], v[60:61]
	v_fma_f64 v[68:69], -v[68:69], v[72:73], v[94:95]
	v_fma_f64 v[66:67], v[66:67], v[72:73], v[96:97]
	v_fma_f64 v[58:59], -v[64:65], v[72:73], v[58:59]
	v_fma_f64 v[60:61], v[62:63], v[72:73], v[60:61]
	s_waitcnt vmcnt(12)
	v_fma_f64 v[62:63], v[78:79], v[82:83], v[68:69]
	v_fma_f64 v[64:65], v[80:81], v[82:83], v[66:67]
	v_fma_f64 v[58:59], v[74:75], v[82:83], v[58:59]
	v_fma_f64 v[60:61], v[76:77], v[82:83], v[60:61]
	v_fma_f64 v[62:63], -v[80:81], v[84:85], v[62:63]
	v_fma_f64 v[64:65], v[78:79], v[84:85], v[64:65]
	v_fma_f64 v[58:59], -v[76:77], v[84:85], v[58:59]
	v_fma_f64 v[60:61], v[74:75], v[84:85], v[60:61]
	;; [unrolled: 9-line block ×6, first 2 shown]
	s_andn2_b32 exec_lo, exec_lo, s3
	s_cbranch_execnz .LBB263_7
; %bb.8:
	s_or_b32 exec_lo, exec_lo, s3
.LBB263_9:
	s_or_b32 exec_lo, exec_lo, s1
	s_cbranch_execz .LBB263_11
	s_branch .LBB263_16
.LBB263_10:
                                        ; implicit-def: $vgpr14_vgpr15
                                        ; implicit-def: $vgpr18_vgpr19
                                        ; implicit-def: $vgpr12_vgpr13
                                        ; implicit-def: $vgpr16_vgpr17
.LBB263_11:
	v_mov_b32_e32 v14, 0
	v_mov_b32_e32 v18, 0
	;; [unrolled: 1-line block ×8, first 2 shown]
	s_and_saveexec_b32 s1, s0
	s_cbranch_execz .LBB263_15
; %bb.12:
	v_mad_u64_u32 v[20:21], null, v10, 18, 17
	v_mov_b32_e32 v14, 0
	v_mov_b32_e32 v18, 0
	;; [unrolled: 1-line block ×9, first 2 shown]
	s_mov_b32 s0, 0
.LBB263_13:                             ; =>This Inner Loop Header: Depth=1
	v_ashrrev_i32_e32 v11, 31, v10
	v_add_nc_u32_e32 v26, -8, v20
	v_mov_b32_e32 v27, v23
	v_mov_b32_e32 v79, v23
	v_lshlrev_b64 v[21:22], 2, v[10:11]
	v_add_nc_u32_e32 v10, 4, v10
	v_lshlrev_b64 v[26:27], 4, v[26:27]
	v_add_co_u32 v21, vcc_lo, s10, v21
	v_add_co_ci_u32_e64 v22, null, s11, v22, vcc_lo
	global_load_dword v11, v[21:22], off
	v_subrev_nc_u32_e32 v22, 17, v20
	v_mov_b32_e32 v21, v23
	v_lshlrev_b64 v[28:29], 4, v[22:23]
	v_lshlrev_b64 v[21:22], 4, v[20:21]
	v_add_co_u32 v30, vcc_lo, s12, v28
	v_add_co_ci_u32_e64 v31, null, s13, v29, vcc_lo
	v_add_co_u32 v34, vcc_lo, s12, v26
	v_add_co_ci_u32_e64 v35, null, s13, v27, vcc_lo
	;; [unrolled: 2-line block ×3, first 2 shown]
	s_clause 0x2
	global_load_dwordx4 v[26:29], v[30:31], off offset:16
	global_load_dwordx4 v[30:33], v[30:31], off
	global_load_dwordx4 v[34:37], v[34:35], off
	s_waitcnt vmcnt(3)
	v_subrev_nc_u32_e32 v11, s2, v11
	v_lshl_add_u32 v78, v11, 3, v11
	v_lshlrev_b64 v[38:39], 4, v[78:79]
	v_add_nc_u32_e32 v22, 1, v78
	v_lshlrev_b64 v[42:43], 4, v[22:23]
	v_add_co_u32 v38, vcc_lo, s14, v38
	v_add_co_ci_u32_e64 v39, null, s15, v39, vcc_lo
	v_add_nc_u32_e32 v22, -7, v20
	v_add_co_u32 v42, vcc_lo, s14, v42
	global_load_dwordx4 v[38:41], v[38:39], off
	v_add_co_ci_u32_e64 v43, null, s15, v43, vcc_lo
	v_lshlrev_b64 v[46:47], 4, v[22:23]
	v_add_nc_u32_e32 v22, -15, v20
	global_load_dwordx4 v[42:45], v[42:43], off
	v_add_co_u32 v46, vcc_lo, s12, v46
	v_add_co_ci_u32_e64 v47, null, s13, v47, vcc_lo
	v_lshlrev_b64 v[50:51], 4, v[22:23]
	v_add_nc_u32_e32 v22, 2, v78
	global_load_dwordx4 v[46:49], v[46:47], off
	v_lshlrev_b64 v[52:53], 4, v[22:23]
	v_add_nc_u32_e32 v22, -6, v20
	v_add_co_u32 v50, vcc_lo, s12, v50
	v_add_co_ci_u32_e64 v51, null, s13, v51, vcc_lo
	v_add_co_u32 v54, vcc_lo, s14, v52
	v_lshlrev_b64 v[58:59], 4, v[22:23]
	v_add_co_ci_u32_e64 v55, null, s15, v53, vcc_lo
	global_load_dwordx4 v[50:53], v[50:51], off
	v_add_nc_u32_e32 v22, -14, v20
	global_load_dwordx4 v[54:57], v[54:55], off
	v_add_co_u32 v58, vcc_lo, s12, v58
	v_add_co_ci_u32_e64 v59, null, s13, v59, vcc_lo
	v_lshlrev_b64 v[62:63], 4, v[22:23]
	v_add_nc_u32_e32 v22, 3, v78
	global_load_dwordx4 v[58:61], v[58:59], off
	v_lshlrev_b64 v[64:65], 4, v[22:23]
	v_add_co_u32 v62, vcc_lo, s12, v62
	v_add_co_ci_u32_e64 v63, null, s13, v63, vcc_lo
	v_add_nc_u32_e32 v22, -5, v20
	v_add_co_u32 v66, vcc_lo, s14, v64
	v_add_co_ci_u32_e64 v67, null, s15, v65, vcc_lo
	global_load_dwordx4 v[62:65], v[62:63], off
	v_lshlrev_b64 v[70:71], 4, v[22:23]
	v_add_nc_u32_e32 v22, -13, v20
	global_load_dwordx4 v[66:69], v[66:67], off
	v_add_co_u32 v70, vcc_lo, s12, v70
	v_add_co_ci_u32_e64 v71, null, s13, v71, vcc_lo
	v_lshlrev_b64 v[74:75], 4, v[22:23]
	v_add_nc_u32_e32 v22, 4, v78
	global_load_dwordx4 v[70:73], v[70:71], off
	v_lshlrev_b64 v[76:77], 4, v[22:23]
	v_add_nc_u32_e32 v22, -4, v20
	v_add_co_u32 v74, vcc_lo, s12, v74
	v_add_co_ci_u32_e64 v75, null, s13, v75, vcc_lo
	v_lshlrev_b64 v[82:83], 4, v[22:23]
	v_add_nc_u32_e32 v22, -12, v20
	v_add_co_u32 v84, vcc_lo, s14, v76
	v_add_co_ci_u32_e64 v85, null, s15, v77, vcc_lo
	global_load_dwordx4 v[74:77], v[74:75], off
	s_waitcnt vmcnt(9)
	v_fma_f64 v[11:12], v[34:35], v[38:39], v[12:13]
	v_fma_f64 v[16:17], v[36:37], v[38:39], v[16:17]
	;; [unrolled: 1-line block ×4, first 2 shown]
	v_fma_f64 v[36:37], -v[36:37], v[40:41], v[11:12]
	v_fma_f64 v[34:35], v[34:35], v[40:41], v[16:17]
	v_fma_f64 v[88:89], v[30:31], v[40:41], v[14:15]
	v_lshlrev_b64 v[14:15], 4, v[22:23]
	v_add_nc_u32_e32 v22, 5, v78
	v_fma_f64 v[86:87], -v[32:33], v[40:41], v[18:19]
	v_add_co_u32 v18, vcc_lo, s12, v82
	v_add_co_ci_u32_e64 v19, null, s13, v83, vcc_lo
	v_lshlrev_b64 v[16:17], 4, v[22:23]
	v_add_nc_u32_e32 v22, -3, v20
	global_load_dwordx4 v[30:33], v[84:85], off
	v_add_co_u32 v38, vcc_lo, s12, v14
	global_load_dwordx4 v[11:14], v[18:19], off
	v_lshlrev_b64 v[40:41], 4, v[22:23]
	v_add_co_ci_u32_e64 v39, null, s13, v15, vcc_lo
	v_add_co_u32 v82, vcc_lo, s14, v16
	v_add_co_ci_u32_e64 v83, null, s15, v17, vcc_lo
	s_waitcnt vmcnt(9)
	v_fma_f64 v[36:37], v[46:47], v[42:43], v[36:37]
	v_fma_f64 v[34:35], v[48:49], v[42:43], v[34:35]
	v_add_co_u32 v40, vcc_lo, s12, v40
	v_add_co_ci_u32_e64 v41, null, s13, v41, vcc_lo
	v_fma_f64 v[84:85], v[28:29], v[42:43], v[88:89]
	v_add_nc_u32_e32 v22, -11, v20
	v_fma_f64 v[48:49], -v[48:49], v[44:45], v[36:37]
	v_fma_f64 v[46:47], v[46:47], v[44:45], v[34:35]
	s_clause 0x1
	global_load_dwordx4 v[34:37], v[40:41], off
	global_load_dwordx4 v[15:18], v[38:39], off
	v_fma_f64 v[38:39], v[26:27], v[42:43], v[86:87]
	v_fma_f64 v[84:85], v[26:27], v[44:45], v[84:85]
	s_waitcnt vmcnt(8)
	v_fma_f64 v[48:49], v[58:59], v[54:55], v[48:49]
	v_fma_f64 v[46:47], v[60:61], v[54:55], v[46:47]
	v_fma_f64 v[86:87], -v[28:29], v[44:45], v[38:39]
	global_load_dwordx4 v[26:29], v[82:83], off
	v_lshlrev_b64 v[38:39], 4, v[22:23]
	v_add_nc_u32_e32 v22, 6, v78
	v_fma_f64 v[84:85], v[52:53], v[54:55], v[84:85]
	v_lshlrev_b64 v[42:43], 4, v[22:23]
	v_add_nc_u32_e32 v22, -2, v20
	v_add_co_u32 v38, vcc_lo, s12, v38
	v_add_co_ci_u32_e64 v39, null, s13, v39, vcc_lo
	v_lshlrev_b64 v[44:45], 4, v[22:23]
	v_add_co_u32 v42, vcc_lo, s14, v42
	v_add_co_ci_u32_e64 v43, null, s15, v43, vcc_lo
	global_load_dwordx4 v[38:41], v[38:39], off
	v_fma_f64 v[88:89], v[58:59], v[56:57], v[46:47]
	v_add_nc_u32_e32 v22, -10, v20
	v_fma_f64 v[82:83], v[50:51], v[54:55], v[86:87]
	v_fma_f64 v[86:87], -v[60:61], v[56:57], v[48:49]
	v_fma_f64 v[84:85], v[50:51], v[56:57], v[84:85]
	v_lshlrev_b64 v[50:51], 4, v[22:23]
	v_add_nc_u32_e32 v22, 7, v78
	v_lshlrev_b64 v[54:55], 4, v[22:23]
	v_add_nc_u32_e32 v22, -1, v20
	v_lshlrev_b64 v[21:22], 4, v[22:23]
	v_fma_f64 v[82:83], -v[52:53], v[56:57], v[82:83]
	v_add_co_u32 v52, vcc_lo, s12, v44
	v_add_co_ci_u32_e64 v53, null, s13, v45, vcc_lo
	global_load_dwordx4 v[42:45], v[42:43], off
	v_add_co_u32 v50, vcc_lo, s12, v50
	global_load_dwordx4 v[46:49], v[52:53], off
	v_add_co_ci_u32_e64 v51, null, s13, v51, vcc_lo
	v_add_co_u32 v54, vcc_lo, s14, v54
	v_add_co_ci_u32_e64 v55, null, s15, v55, vcc_lo
	global_load_dwordx4 v[50:53], v[50:51], off
	s_waitcnt vmcnt(11)
	v_fma_f64 v[58:59], v[64:65], v[66:67], v[84:85]
	v_add_co_u32 v21, vcc_lo, s12, v21
	v_add_co_ci_u32_e64 v22, null, s13, v22, vcc_lo
	v_fma_f64 v[56:57], v[62:63], v[66:67], v[82:83]
	v_fma_f64 v[84:85], v[62:63], v[68:69], v[58:59]
	s_waitcnt vmcnt(10)
	v_fma_f64 v[62:63], v[72:73], v[66:67], v[88:89]
	v_fma_f64 v[82:83], -v[64:65], v[68:69], v[56:57]
	global_load_dwordx4 v[54:57], v[54:55], off
	global_load_dwordx4 v[58:61], v[21:22], off
	v_fma_f64 v[21:22], v[70:71], v[66:67], v[86:87]
	v_fma_f64 v[88:89], v[70:71], v[68:69], v[62:63]
	global_load_dwordx4 v[62:65], v[80:81], off
	v_fma_f64 v[86:87], -v[72:73], v[68:69], v[21:22]
	v_add_nc_u32_e32 v22, -9, v20
	v_add_nc_u32_e32 v20, 0x48, v20
	v_lshlrev_b64 v[66:67], 4, v[22:23]
	v_add_nc_u32_e32 v22, 8, v78
	v_lshlrev_b64 v[21:22], 4, v[22:23]
	v_add_co_u32 v66, vcc_lo, s12, v66
	v_add_co_ci_u32_e64 v67, null, s13, v67, vcc_lo
	v_add_co_u32 v21, vcc_lo, s14, v21
	v_add_co_ci_u32_e64 v22, null, s15, v22, vcc_lo
	global_load_dwordx4 v[66:69], v[66:67], off
	global_load_dwordx4 v[70:73], v[21:22], off
	v_cmp_ge_i32_e32 vcc_lo, v10, v25
	s_or_b32 s0, vcc_lo, s0
	s_waitcnt vmcnt(13)
	v_fma_f64 v[21:22], v[74:75], v[30:31], v[82:83]
	v_fma_f64 v[78:79], v[76:77], v[30:31], v[84:85]
	s_waitcnt vmcnt(12)
	v_fma_f64 v[80:81], v[11:12], v[30:31], v[86:87]
	v_fma_f64 v[30:31], v[13:14], v[30:31], v[88:89]
	v_fma_f64 v[21:22], -v[76:77], v[32:33], v[21:22]
	v_fma_f64 v[74:75], v[74:75], v[32:33], v[78:79]
	v_fma_f64 v[13:14], -v[13:14], v[32:33], v[80:81]
	v_fma_f64 v[11:12], v[11:12], v[32:33], v[30:31]
	s_waitcnt vmcnt(9)
	v_fma_f64 v[21:22], v[15:16], v[26:27], v[21:22]
	v_fma_f64 v[30:31], v[17:18], v[26:27], v[74:75]
	;; [unrolled: 1-line block ×4, first 2 shown]
	v_fma_f64 v[17:18], -v[17:18], v[28:29], v[21:22]
	v_fma_f64 v[15:16], v[15:16], v[28:29], v[30:31]
	v_fma_f64 v[13:14], -v[36:37], v[28:29], v[13:14]
	v_fma_f64 v[11:12], v[34:35], v[28:29], v[11:12]
	s_waitcnt vmcnt(7)
	v_fma_f64 v[17:18], v[38:39], v[42:43], v[17:18]
	v_fma_f64 v[15:16], v[40:41], v[42:43], v[15:16]
	s_waitcnt vmcnt(6)
	v_fma_f64 v[13:14], v[46:47], v[42:43], v[13:14]
	v_fma_f64 v[11:12], v[48:49], v[42:43], v[11:12]
	v_fma_f64 v[17:18], -v[40:41], v[44:45], v[17:18]
	v_fma_f64 v[15:16], v[38:39], v[44:45], v[15:16]
	v_fma_f64 v[13:14], -v[48:49], v[44:45], v[13:14]
	v_fma_f64 v[11:12], v[46:47], v[44:45], v[11:12]
	s_waitcnt vmcnt(4)
	v_fma_f64 v[17:18], v[50:51], v[54:55], v[17:18]
	v_fma_f64 v[15:16], v[52:53], v[54:55], v[15:16]
	s_waitcnt vmcnt(3)
	v_fma_f64 v[13:14], v[58:59], v[54:55], v[13:14]
	v_fma_f64 v[11:12], v[60:61], v[54:55], v[11:12]
	v_fma_f64 v[17:18], -v[52:53], v[56:57], v[17:18]
	v_fma_f64 v[15:16], v[50:51], v[56:57], v[15:16]
	v_fma_f64 v[13:14], -v[60:61], v[56:57], v[13:14]
	v_fma_f64 v[11:12], v[58:59], v[56:57], v[11:12]
	s_waitcnt vmcnt(0)
	v_fma_f64 v[17:18], v[66:67], v[70:71], v[17:18]
	v_fma_f64 v[15:16], v[68:69], v[70:71], v[15:16]
	;; [unrolled: 1-line block ×4, first 2 shown]
	v_fma_f64 v[18:19], -v[68:69], v[72:73], v[17:18]
	v_fma_f64 v[14:15], v[66:67], v[72:73], v[15:16]
	v_fma_f64 v[12:13], -v[64:65], v[72:73], v[21:22]
	v_fma_f64 v[16:17], v[62:63], v[72:73], v[26:27]
	s_andn2_b32 exec_lo, exec_lo, s0
	s_cbranch_execnz .LBB263_13
; %bb.14:
	s_or_b32 exec_lo, exec_lo, s0
.LBB263_15:
	s_or_b32 exec_lo, exec_lo, s1
.LBB263_16:
	v_mbcnt_lo_u32_b32 v26, -1, 0
	v_xor_b32_e32 v10, 2, v26
	v_cmp_gt_i32_e32 vcc_lo, 32, v10
	v_cndmask_b32_e32 v10, v26, v10, vcc_lo
	v_lshlrev_b32_e32 v25, 2, v10
	ds_bpermute_b32 v10, v25, v18
	ds_bpermute_b32 v11, v25, v19
	;; [unrolled: 1-line block ×8, first 2 shown]
	s_waitcnt lgkmcnt(6)
	v_add_f64 v[10:11], v[18:19], v[10:11]
	s_waitcnt lgkmcnt(4)
	v_add_f64 v[18:19], v[14:15], v[20:21]
	;; [unrolled: 2-line block ×4, first 2 shown]
	v_xor_b32_e32 v16, 1, v26
	v_cmp_gt_i32_e32 vcc_lo, 32, v16
	v_cndmask_b32_e32 v16, v26, v16, vcc_lo
	v_cmp_eq_u32_e32 vcc_lo, 3, v0
	v_lshlrev_b32_e32 v23, 2, v16
	ds_bpermute_b32 v24, v23, v10
	ds_bpermute_b32 v25, v23, v11
	;; [unrolled: 1-line block ×8, first 2 shown]
	s_and_b32 exec_lo, exec_lo, vcc_lo
	s_cbranch_execz .LBB263_21
; %bb.17:
	v_cmp_eq_f64_e32 vcc_lo, 0, v[5:6]
	v_cmp_eq_f64_e64 s0, 0, v[7:8]
	s_waitcnt lgkmcnt(6)
	v_add_f64 v[10:11], v[10:11], v[24:25]
	s_waitcnt lgkmcnt(4)
	v_add_f64 v[16:17], v[18:19], v[16:17]
	;; [unrolled: 2-line block ×4, first 2 shown]
	s_load_dwordx2 s[2:3], s[4:5], 0x48
	s_and_b32 s0, vcc_lo, s0
	s_and_saveexec_b32 s1, s0
	s_xor_b32 s0, exec_lo, s1
	s_cbranch_execz .LBB263_19
; %bb.18:
	v_mul_f64 v[5:6], v[16:17], -v[3:4]
	v_mul_f64 v[7:8], v[1:2], v[16:17]
	v_mul_f64 v[16:17], v[14:15], -v[3:4]
	v_mul_f64 v[14:15], v[1:2], v[14:15]
	v_lshlrev_b32_e32 v9, 1, v9
	v_fma_f64 v[5:6], v[1:2], v[10:11], v[5:6]
	v_fma_f64 v[7:8], v[3:4], v[10:11], v[7:8]
	;; [unrolled: 1-line block ×4, first 2 shown]
	v_ashrrev_i32_e32 v10, 31, v9
                                        ; implicit-def: $vgpr16_vgpr17
                                        ; implicit-def: $vgpr12_vgpr13
                                        ; implicit-def: $vgpr14_vgpr15
	v_lshlrev_b64 v[9:10], 4, v[9:10]
	s_waitcnt lgkmcnt(0)
	v_add_co_u32 v9, vcc_lo, s2, v9
	v_add_co_ci_u32_e64 v10, null, s3, v10, vcc_lo
	global_store_dwordx4 v[9:10], v[5:8], off
	global_store_dwordx4 v[9:10], v[0:3], off offset:16
                                        ; implicit-def: $vgpr9
                                        ; implicit-def: $vgpr10_vgpr11
                                        ; implicit-def: $vgpr7_vgpr8
                                        ; implicit-def: $vgpr3_vgpr4
.LBB263_19:
	s_andn2_saveexec_b32 s0, s0
	s_cbranch_execz .LBB263_21
; %bb.20:
	v_lshlrev_b32_e32 v18, 1, v9
	v_mul_f64 v[28:29], v[16:17], -v[3:4]
	v_mul_f64 v[16:17], v[1:2], v[16:17]
	v_mul_f64 v[30:31], v[14:15], -v[3:4]
	v_mul_f64 v[14:15], v[1:2], v[14:15]
	v_ashrrev_i32_e32 v19, 31, v18
	v_lshlrev_b64 v[18:19], 4, v[18:19]
	s_waitcnt lgkmcnt(0)
	v_add_co_u32 v26, vcc_lo, s2, v18
	v_add_co_ci_u32_e64 v27, null, s3, v19, vcc_lo
	s_clause 0x1
	global_load_dwordx4 v[18:21], v[26:27], off
	global_load_dwordx4 v[22:25], v[26:27], off offset:16
	v_fma_f64 v[28:29], v[1:2], v[10:11], v[28:29]
	v_fma_f64 v[9:10], v[3:4], v[10:11], v[16:17]
	;; [unrolled: 1-line block ×4, first 2 shown]
	s_waitcnt vmcnt(1)
	v_fma_f64 v[11:12], v[5:6], v[18:19], v[28:29]
	v_fma_f64 v[9:10], v[7:8], v[18:19], v[9:10]
	s_waitcnt vmcnt(0)
	v_fma_f64 v[13:14], v[5:6], v[22:23], v[0:1]
	v_fma_f64 v[15:16], v[7:8], v[22:23], v[2:3]
	v_fma_f64 v[0:1], -v[7:8], v[20:21], v[11:12]
	v_fma_f64 v[2:3], v[5:6], v[20:21], v[9:10]
	v_fma_f64 v[7:8], -v[7:8], v[24:25], v[13:14]
	v_fma_f64 v[9:10], v[5:6], v[24:25], v[15:16]
	global_store_dwordx4 v[26:27], v[0:3], off
	global_store_dwordx4 v[26:27], v[7:10], off offset:16
.LBB263_21:
	s_endpgm
	.section	.rodata,"a",@progbits
	.p2align	6, 0x0
	.amdhsa_kernel _ZN9rocsparseL19gebsrmvn_2xn_kernelILj128ELj9ELj4E21rocsparse_complex_numIdEEEvi20rocsparse_direction_NS_24const_host_device_scalarIT2_EEPKiS8_PKS5_SA_S6_PS5_21rocsparse_index_base_b
		.amdhsa_group_segment_fixed_size 0
		.amdhsa_private_segment_fixed_size 0
		.amdhsa_kernarg_size 88
		.amdhsa_user_sgpr_count 6
		.amdhsa_user_sgpr_private_segment_buffer 1
		.amdhsa_user_sgpr_dispatch_ptr 0
		.amdhsa_user_sgpr_queue_ptr 0
		.amdhsa_user_sgpr_kernarg_segment_ptr 1
		.amdhsa_user_sgpr_dispatch_id 0
		.amdhsa_user_sgpr_flat_scratch_init 0
		.amdhsa_user_sgpr_private_segment_size 0
		.amdhsa_wavefront_size32 1
		.amdhsa_uses_dynamic_stack 0
		.amdhsa_system_sgpr_private_segment_wavefront_offset 0
		.amdhsa_system_sgpr_workgroup_id_x 1
		.amdhsa_system_sgpr_workgroup_id_y 0
		.amdhsa_system_sgpr_workgroup_id_z 0
		.amdhsa_system_sgpr_workgroup_info 0
		.amdhsa_system_vgpr_workitem_id 0
		.amdhsa_next_free_vgpr 109
		.amdhsa_next_free_sgpr 16
		.amdhsa_reserve_vcc 1
		.amdhsa_reserve_flat_scratch 0
		.amdhsa_float_round_mode_32 0
		.amdhsa_float_round_mode_16_64 0
		.amdhsa_float_denorm_mode_32 3
		.amdhsa_float_denorm_mode_16_64 3
		.amdhsa_dx10_clamp 1
		.amdhsa_ieee_mode 1
		.amdhsa_fp16_overflow 0
		.amdhsa_workgroup_processor_mode 1
		.amdhsa_memory_ordered 1
		.amdhsa_forward_progress 1
		.amdhsa_shared_vgpr_count 0
		.amdhsa_exception_fp_ieee_invalid_op 0
		.amdhsa_exception_fp_denorm_src 0
		.amdhsa_exception_fp_ieee_div_zero 0
		.amdhsa_exception_fp_ieee_overflow 0
		.amdhsa_exception_fp_ieee_underflow 0
		.amdhsa_exception_fp_ieee_inexact 0
		.amdhsa_exception_int_div_zero 0
	.end_amdhsa_kernel
	.section	.text._ZN9rocsparseL19gebsrmvn_2xn_kernelILj128ELj9ELj4E21rocsparse_complex_numIdEEEvi20rocsparse_direction_NS_24const_host_device_scalarIT2_EEPKiS8_PKS5_SA_S6_PS5_21rocsparse_index_base_b,"axG",@progbits,_ZN9rocsparseL19gebsrmvn_2xn_kernelILj128ELj9ELj4E21rocsparse_complex_numIdEEEvi20rocsparse_direction_NS_24const_host_device_scalarIT2_EEPKiS8_PKS5_SA_S6_PS5_21rocsparse_index_base_b,comdat
.Lfunc_end263:
	.size	_ZN9rocsparseL19gebsrmvn_2xn_kernelILj128ELj9ELj4E21rocsparse_complex_numIdEEEvi20rocsparse_direction_NS_24const_host_device_scalarIT2_EEPKiS8_PKS5_SA_S6_PS5_21rocsparse_index_base_b, .Lfunc_end263-_ZN9rocsparseL19gebsrmvn_2xn_kernelILj128ELj9ELj4E21rocsparse_complex_numIdEEEvi20rocsparse_direction_NS_24const_host_device_scalarIT2_EEPKiS8_PKS5_SA_S6_PS5_21rocsparse_index_base_b
                                        ; -- End function
	.set _ZN9rocsparseL19gebsrmvn_2xn_kernelILj128ELj9ELj4E21rocsparse_complex_numIdEEEvi20rocsparse_direction_NS_24const_host_device_scalarIT2_EEPKiS8_PKS5_SA_S6_PS5_21rocsparse_index_base_b.num_vgpr, 109
	.set _ZN9rocsparseL19gebsrmvn_2xn_kernelILj128ELj9ELj4E21rocsparse_complex_numIdEEEvi20rocsparse_direction_NS_24const_host_device_scalarIT2_EEPKiS8_PKS5_SA_S6_PS5_21rocsparse_index_base_b.num_agpr, 0
	.set _ZN9rocsparseL19gebsrmvn_2xn_kernelILj128ELj9ELj4E21rocsparse_complex_numIdEEEvi20rocsparse_direction_NS_24const_host_device_scalarIT2_EEPKiS8_PKS5_SA_S6_PS5_21rocsparse_index_base_b.numbered_sgpr, 16
	.set _ZN9rocsparseL19gebsrmvn_2xn_kernelILj128ELj9ELj4E21rocsparse_complex_numIdEEEvi20rocsparse_direction_NS_24const_host_device_scalarIT2_EEPKiS8_PKS5_SA_S6_PS5_21rocsparse_index_base_b.num_named_barrier, 0
	.set _ZN9rocsparseL19gebsrmvn_2xn_kernelILj128ELj9ELj4E21rocsparse_complex_numIdEEEvi20rocsparse_direction_NS_24const_host_device_scalarIT2_EEPKiS8_PKS5_SA_S6_PS5_21rocsparse_index_base_b.private_seg_size, 0
	.set _ZN9rocsparseL19gebsrmvn_2xn_kernelILj128ELj9ELj4E21rocsparse_complex_numIdEEEvi20rocsparse_direction_NS_24const_host_device_scalarIT2_EEPKiS8_PKS5_SA_S6_PS5_21rocsparse_index_base_b.uses_vcc, 1
	.set _ZN9rocsparseL19gebsrmvn_2xn_kernelILj128ELj9ELj4E21rocsparse_complex_numIdEEEvi20rocsparse_direction_NS_24const_host_device_scalarIT2_EEPKiS8_PKS5_SA_S6_PS5_21rocsparse_index_base_b.uses_flat_scratch, 0
	.set _ZN9rocsparseL19gebsrmvn_2xn_kernelILj128ELj9ELj4E21rocsparse_complex_numIdEEEvi20rocsparse_direction_NS_24const_host_device_scalarIT2_EEPKiS8_PKS5_SA_S6_PS5_21rocsparse_index_base_b.has_dyn_sized_stack, 0
	.set _ZN9rocsparseL19gebsrmvn_2xn_kernelILj128ELj9ELj4E21rocsparse_complex_numIdEEEvi20rocsparse_direction_NS_24const_host_device_scalarIT2_EEPKiS8_PKS5_SA_S6_PS5_21rocsparse_index_base_b.has_recursion, 0
	.set _ZN9rocsparseL19gebsrmvn_2xn_kernelILj128ELj9ELj4E21rocsparse_complex_numIdEEEvi20rocsparse_direction_NS_24const_host_device_scalarIT2_EEPKiS8_PKS5_SA_S6_PS5_21rocsparse_index_base_b.has_indirect_call, 0
	.section	.AMDGPU.csdata,"",@progbits
; Kernel info:
; codeLenInByte = 4244
; TotalNumSgprs: 18
; NumVgprs: 109
; ScratchSize: 0
; MemoryBound: 0
; FloatMode: 240
; IeeeMode: 1
; LDSByteSize: 0 bytes/workgroup (compile time only)
; SGPRBlocks: 0
; VGPRBlocks: 13
; NumSGPRsForWavesPerEU: 18
; NumVGPRsForWavesPerEU: 109
; Occupancy: 9
; WaveLimiterHint : 1
; COMPUTE_PGM_RSRC2:SCRATCH_EN: 0
; COMPUTE_PGM_RSRC2:USER_SGPR: 6
; COMPUTE_PGM_RSRC2:TRAP_HANDLER: 0
; COMPUTE_PGM_RSRC2:TGID_X_EN: 1
; COMPUTE_PGM_RSRC2:TGID_Y_EN: 0
; COMPUTE_PGM_RSRC2:TGID_Z_EN: 0
; COMPUTE_PGM_RSRC2:TIDIG_COMP_CNT: 0
	.section	.text._ZN9rocsparseL19gebsrmvn_2xn_kernelILj128ELj9ELj8E21rocsparse_complex_numIdEEEvi20rocsparse_direction_NS_24const_host_device_scalarIT2_EEPKiS8_PKS5_SA_S6_PS5_21rocsparse_index_base_b,"axG",@progbits,_ZN9rocsparseL19gebsrmvn_2xn_kernelILj128ELj9ELj8E21rocsparse_complex_numIdEEEvi20rocsparse_direction_NS_24const_host_device_scalarIT2_EEPKiS8_PKS5_SA_S6_PS5_21rocsparse_index_base_b,comdat
	.globl	_ZN9rocsparseL19gebsrmvn_2xn_kernelILj128ELj9ELj8E21rocsparse_complex_numIdEEEvi20rocsparse_direction_NS_24const_host_device_scalarIT2_EEPKiS8_PKS5_SA_S6_PS5_21rocsparse_index_base_b ; -- Begin function _ZN9rocsparseL19gebsrmvn_2xn_kernelILj128ELj9ELj8E21rocsparse_complex_numIdEEEvi20rocsparse_direction_NS_24const_host_device_scalarIT2_EEPKiS8_PKS5_SA_S6_PS5_21rocsparse_index_base_b
	.p2align	8
	.type	_ZN9rocsparseL19gebsrmvn_2xn_kernelILj128ELj9ELj8E21rocsparse_complex_numIdEEEvi20rocsparse_direction_NS_24const_host_device_scalarIT2_EEPKiS8_PKS5_SA_S6_PS5_21rocsparse_index_base_b,@function
_ZN9rocsparseL19gebsrmvn_2xn_kernelILj128ELj9ELj8E21rocsparse_complex_numIdEEEvi20rocsparse_direction_NS_24const_host_device_scalarIT2_EEPKiS8_PKS5_SA_S6_PS5_21rocsparse_index_base_b: ; @_ZN9rocsparseL19gebsrmvn_2xn_kernelILj128ELj9ELj8E21rocsparse_complex_numIdEEEvi20rocsparse_direction_NS_24const_host_device_scalarIT2_EEPKiS8_PKS5_SA_S6_PS5_21rocsparse_index_base_b
; %bb.0:
	s_clause 0x1
	s_load_dwordx2 s[2:3], s[4:5], 0x50
	s_load_dwordx2 s[0:1], s[4:5], 0x8
	s_add_u32 s7, s4, 8
	s_addc_u32 s10, s5, 0
	s_add_u32 s11, s4, 56
	s_addc_u32 s12, s5, 0
	s_load_dwordx2 s[8:9], s[4:5], 0x38
	s_waitcnt lgkmcnt(0)
	s_bitcmp1_b32 s3, 0
	s_cselect_b32 s0, s7, s0
	s_cselect_b32 s1, s10, s1
	v_mov_b32_e32 v1, s0
	v_mov_b32_e32 v2, s1
	s_cselect_b32 s0, s11, s8
	s_cselect_b32 s1, s12, s9
	v_mov_b32_e32 v5, s0
	v_mov_b32_e32 v6, s1
	flat_load_dwordx4 v[1:4], v[1:2]
	flat_load_dwordx4 v[5:8], v[5:6]
	s_waitcnt vmcnt(1) lgkmcnt(1)
	v_cmp_eq_f64_e32 vcc_lo, 0, v[1:2]
	v_cmp_eq_f64_e64 s0, 0, v[3:4]
	s_and_b32 s3, vcc_lo, s0
	s_mov_b32 s0, -1
	s_and_saveexec_b32 s1, s3
	s_cbranch_execz .LBB264_2
; %bb.1:
	s_waitcnt vmcnt(0) lgkmcnt(0)
	v_cmp_neq_f64_e32 vcc_lo, 1.0, v[5:6]
	v_cmp_neq_f64_e64 s0, 0, v[7:8]
	s_or_b32 s0, vcc_lo, s0
	s_orn2_b32 s0, s0, exec_lo
.LBB264_2:
	s_or_b32 exec_lo, exec_lo, s1
	s_and_saveexec_b32 s1, s0
	s_cbranch_execz .LBB264_21
; %bb.3:
	s_load_dwordx2 s[0:1], s[4:5], 0x0
	v_lshrrev_b32_e32 v9, 3, v0
	v_lshl_or_b32 v9, s6, 4, v9
	s_waitcnt lgkmcnt(0)
	v_cmp_gt_i32_e32 vcc_lo, s0, v9
	s_and_b32 exec_lo, exec_lo, vcc_lo
	s_cbranch_execz .LBB264_21
; %bb.4:
	s_load_dwordx8 s[8:15], s[4:5], 0x18
	v_ashrrev_i32_e32 v10, 31, v9
	v_and_b32_e32 v0, 7, v0
	s_cmp_lg_u32 s1, 0
	v_lshlrev_b64 v[10:11], 2, v[9:10]
	s_waitcnt lgkmcnt(0)
	v_add_co_u32 v10, vcc_lo, s8, v10
	v_add_co_ci_u32_e64 v11, null, s9, v11, vcc_lo
	global_load_dwordx2 v[10:11], v[10:11], off
	s_waitcnt vmcnt(0)
	v_subrev_nc_u32_e32 v10, s2, v10
	v_subrev_nc_u32_e32 v25, s2, v11
	v_add_nc_u32_e32 v10, v10, v0
	v_cmp_lt_i32_e64 s0, v10, v25
	s_cbranch_scc0 .LBB264_10
; %bb.5:
	v_mov_b32_e32 v14, 0
	v_mov_b32_e32 v18, 0
	;; [unrolled: 1-line block ×8, first 2 shown]
	s_and_saveexec_b32 s1, s0
	s_cbranch_execz .LBB264_9
; %bb.6:
	v_mad_u64_u32 v[20:21], null, v10, 18, 16
	v_mov_b32_e32 v14, 0
	v_mov_b32_e32 v18, 0
	;; [unrolled: 1-line block ×10, first 2 shown]
	s_mov_b32 s3, 0
.LBB264_7:                              ; =>This Inner Loop Header: Depth=1
	v_ashrrev_i32_e32 v24, 31, v23
	v_add_nc_u32_e32 v21, -16, v20
	v_mov_b32_e32 v95, v22
	v_lshlrev_b64 v[26:27], 2, v[23:24]
	v_add_nc_u32_e32 v23, 8, v23
	v_add_co_u32 v26, vcc_lo, s10, v26
	v_add_co_ci_u32_e64 v27, null, s11, v27, vcc_lo
	global_load_dword v11, v[26:27], off
	v_lshlrev_b64 v[26:27], 4, v[21:22]
	v_add_nc_u32_e32 v21, -14, v20
	v_lshlrev_b64 v[28:29], 4, v[21:22]
	v_add_co_u32 v30, vcc_lo, s12, v26
	v_add_co_ci_u32_e64 v31, null, s13, v27, vcc_lo
	v_add_co_u32 v38, vcc_lo, s12, v28
	v_add_co_ci_u32_e64 v39, null, s13, v29, vcc_lo
	s_clause 0x3
	global_load_dwordx4 v[26:29], v[30:31], off offset:16
	global_load_dwordx4 v[30:33], v[30:31], off
	global_load_dwordx4 v[34:37], v[38:39], off offset:16
	global_load_dwordx4 v[38:41], v[38:39], off
	s_waitcnt vmcnt(4)
	v_subrev_nc_u32_e32 v11, s2, v11
	v_lshl_add_u32 v94, v11, 3, v11
	v_lshlrev_b64 v[42:43], 4, v[94:95]
	v_add_nc_u32_e32 v21, 1, v94
	v_lshlrev_b64 v[46:47], 4, v[21:22]
	v_add_co_u32 v42, vcc_lo, s14, v42
	v_add_co_ci_u32_e64 v43, null, s15, v43, vcc_lo
	v_add_nc_u32_e32 v21, -12, v20
	v_add_co_u32 v46, vcc_lo, s14, v46
	global_load_dwordx4 v[42:45], v[42:43], off
	v_add_co_ci_u32_e64 v47, null, s15, v47, vcc_lo
	v_lshlrev_b64 v[50:51], 4, v[21:22]
	v_add_nc_u32_e32 v21, 2, v94
	global_load_dwordx4 v[46:49], v[46:47], off
	v_lshlrev_b64 v[52:53], 4, v[21:22]
	v_add_co_u32 v54, vcc_lo, s12, v50
	v_add_co_ci_u32_e64 v55, null, s13, v51, vcc_lo
	v_mov_b32_e32 v21, v22
	v_add_co_u32 v58, vcc_lo, s14, v52
	v_add_co_ci_u32_e64 v59, null, s15, v53, vcc_lo
	s_clause 0x1
	global_load_dwordx4 v[50:53], v[54:55], off offset:16
	global_load_dwordx4 v[54:57], v[54:55], off
	global_load_dwordx4 v[58:61], v[58:59], off
	v_lshlrev_b64 v[62:63], 4, v[20:21]
	v_add_nc_u32_e32 v21, -10, v20
	v_add_co_u32 v95, vcc_lo, s12, v62
	v_add_co_ci_u32_e64 v96, null, s13, v63, vcc_lo
	v_lshlrev_b64 v[62:63], 4, v[21:22]
	v_add_nc_u32_e32 v21, 3, v94
	v_lshlrev_b64 v[64:65], 4, v[21:22]
	v_add_co_u32 v66, vcc_lo, s12, v62
	v_add_co_ci_u32_e64 v67, null, s13, v63, vcc_lo
	v_add_nc_u32_e32 v21, -8, v20
	v_add_co_u32 v70, vcc_lo, s14, v64
	v_add_co_ci_u32_e64 v71, null, s15, v65, vcc_lo
	s_clause 0x1
	global_load_dwordx4 v[62:65], v[66:67], off offset:16
	global_load_dwordx4 v[66:69], v[66:67], off
	global_load_dwordx4 v[70:73], v[70:71], off
	v_lshlrev_b64 v[74:75], 4, v[21:22]
	v_add_nc_u32_e32 v21, 4, v94
	v_lshlrev_b64 v[76:77], 4, v[21:22]
	v_add_co_u32 v78, vcc_lo, s12, v74
	v_add_co_ci_u32_e64 v79, null, s13, v75, vcc_lo
	v_add_nc_u32_e32 v21, -6, v20
	v_add_co_u32 v82, vcc_lo, s14, v76
	v_add_co_ci_u32_e64 v83, null, s15, v77, vcc_lo
	s_clause 0x1
	global_load_dwordx4 v[74:77], v[78:79], off offset:16
	global_load_dwordx4 v[78:81], v[78:79], off
	v_lshlrev_b64 v[86:87], 4, v[21:22]
	v_add_nc_u32_e32 v21, 5, v94
	global_load_dwordx4 v[82:85], v[82:83], off
	v_lshlrev_b64 v[88:89], 4, v[21:22]
	v_add_co_u32 v90, vcc_lo, s12, v86
	v_add_co_ci_u32_e64 v91, null, s13, v87, vcc_lo
	v_add_nc_u32_e32 v21, -4, v20
	v_add_co_u32 v99, vcc_lo, s14, v88
	v_add_co_ci_u32_e64 v100, null, s15, v89, vcc_lo
	s_clause 0x1
	global_load_dwordx4 v[86:89], v[90:91], off offset:16
	global_load_dwordx4 v[90:93], v[90:91], off
	v_lshlrev_b64 v[97:98], 4, v[21:22]
	v_add_nc_u32_e32 v21, 6, v94
	s_waitcnt vmcnt(12)
	v_fma_f64 v[18:19], v[30:31], v[42:43], v[18:19]
	v_fma_f64 v[14:15], v[32:33], v[42:43], v[14:15]
	;; [unrolled: 1-line block ×4, first 2 shown]
	v_fma_f64 v[101:102], -v[32:33], v[44:45], v[18:19]
	v_fma_f64 v[103:104], v[30:31], v[44:45], v[14:15]
	global_load_dwordx4 v[30:33], v[99:100], off
	v_fma_f64 v[42:43], -v[28:29], v[44:45], v[11:12]
	v_lshlrev_b64 v[14:15], 4, v[21:22]
	v_add_co_u32 v18, vcc_lo, s12, v97
	v_add_co_ci_u32_e64 v19, null, s13, v98, vcc_lo
	v_fma_f64 v[44:45], v[26:27], v[44:45], v[16:17]
	v_add_co_u32 v26, vcc_lo, s14, v14
	v_add_co_ci_u32_e64 v27, null, s15, v15, vcc_lo
	s_clause 0x1
	global_load_dwordx4 v[11:14], v[18:19], off offset:16
	global_load_dwordx4 v[15:18], v[18:19], off
	v_add_nc_u32_e32 v21, -2, v20
	v_add_nc_u32_e32 v20, 0x90, v20
	v_lshlrev_b64 v[97:98], 4, v[21:22]
	s_waitcnt vmcnt(14)
	v_fma_f64 v[28:29], v[38:39], v[46:47], v[101:102]
	v_fma_f64 v[101:102], v[40:41], v[46:47], v[103:104]
	v_add_nc_u32_e32 v21, 7, v94
	v_fma_f64 v[103:104], -v[40:41], v[48:49], v[28:29]
	global_load_dwordx4 v[26:29], v[26:27], off
	v_fma_f64 v[101:102], v[38:39], v[48:49], v[101:102]
	v_fma_f64 v[40:41], v[34:35], v[46:47], v[42:43]
	;; [unrolled: 1-line block ×3, first 2 shown]
	v_lshlrev_b64 v[99:100], 4, v[21:22]
	v_add_co_u32 v38, vcc_lo, s12, v97
	v_add_co_ci_u32_e64 v39, null, s13, v98, vcc_lo
	v_add_nc_u32_e32 v21, 8, v94
	v_add_co_u32 v97, vcc_lo, s14, v99
	v_add_co_ci_u32_e64 v98, null, s15, v100, vcc_lo
	v_lshlrev_b64 v[99:100], 4, v[21:22]
	v_add_co_u32 v99, vcc_lo, s14, v99
	s_waitcnt vmcnt(12)
	v_fma_f64 v[46:47], v[54:55], v[58:59], v[103:104]
	v_add_co_ci_u32_e64 v100, null, s15, v100, vcc_lo
	v_fma_f64 v[105:106], -v[36:37], v[48:49], v[40:41]
	v_fma_f64 v[107:108], v[34:35], v[48:49], v[42:43]
	s_clause 0x1
	global_load_dwordx4 v[34:37], v[38:39], off offset:16
	global_load_dwordx4 v[38:41], v[38:39], off
	global_load_dwordx4 v[42:45], v[97:98], off
	v_fma_f64 v[48:49], v[56:57], v[58:59], v[101:102]
	v_cmp_ge_i32_e32 vcc_lo, v23, v25
	s_or_b32 s3, vcc_lo, s3
	v_fma_f64 v[97:98], -v[56:57], v[60:61], v[46:47]
	v_fma_f64 v[56:57], v[52:53], v[58:59], v[107:108]
	v_fma_f64 v[101:102], v[54:55], v[60:61], v[48:49]
	;; [unrolled: 1-line block ×3, first 2 shown]
	global_load_dwordx4 v[46:49], v[95:96], off offset:16
	v_fma_f64 v[58:59], -v[52:53], v[60:61], v[54:55]
	v_fma_f64 v[60:61], v[50:51], v[60:61], v[56:57]
	global_load_dwordx4 v[50:53], v[95:96], off
	global_load_dwordx4 v[54:57], v[99:100], off
	s_waitcnt vmcnt(15)
	v_fma_f64 v[94:95], v[66:67], v[70:71], v[97:98]
	v_fma_f64 v[96:97], v[68:69], v[70:71], v[101:102]
	v_fma_f64 v[58:59], v[62:63], v[70:71], v[58:59]
	v_fma_f64 v[60:61], v[64:65], v[70:71], v[60:61]
	v_fma_f64 v[68:69], -v[68:69], v[72:73], v[94:95]
	v_fma_f64 v[66:67], v[66:67], v[72:73], v[96:97]
	v_fma_f64 v[58:59], -v[64:65], v[72:73], v[58:59]
	v_fma_f64 v[60:61], v[62:63], v[72:73], v[60:61]
	s_waitcnt vmcnt(12)
	v_fma_f64 v[62:63], v[78:79], v[82:83], v[68:69]
	v_fma_f64 v[64:65], v[80:81], v[82:83], v[66:67]
	v_fma_f64 v[58:59], v[74:75], v[82:83], v[58:59]
	v_fma_f64 v[60:61], v[76:77], v[82:83], v[60:61]
	v_fma_f64 v[62:63], -v[80:81], v[84:85], v[62:63]
	v_fma_f64 v[64:65], v[78:79], v[84:85], v[64:65]
	v_fma_f64 v[58:59], -v[76:77], v[84:85], v[58:59]
	v_fma_f64 v[60:61], v[74:75], v[84:85], v[60:61]
	;; [unrolled: 9-line block ×6, first 2 shown]
	s_andn2_b32 exec_lo, exec_lo, s3
	s_cbranch_execnz .LBB264_7
; %bb.8:
	s_or_b32 exec_lo, exec_lo, s3
.LBB264_9:
	s_or_b32 exec_lo, exec_lo, s1
	s_cbranch_execz .LBB264_11
	s_branch .LBB264_16
.LBB264_10:
                                        ; implicit-def: $vgpr14_vgpr15
                                        ; implicit-def: $vgpr18_vgpr19
                                        ; implicit-def: $vgpr12_vgpr13
                                        ; implicit-def: $vgpr16_vgpr17
.LBB264_11:
	v_mov_b32_e32 v14, 0
	v_mov_b32_e32 v18, 0
	;; [unrolled: 1-line block ×8, first 2 shown]
	s_and_saveexec_b32 s1, s0
	s_cbranch_execz .LBB264_15
; %bb.12:
	v_mad_u64_u32 v[20:21], null, v10, 18, 17
	v_mov_b32_e32 v14, 0
	v_mov_b32_e32 v18, 0
	;; [unrolled: 1-line block ×9, first 2 shown]
	s_mov_b32 s0, 0
.LBB264_13:                             ; =>This Inner Loop Header: Depth=1
	v_ashrrev_i32_e32 v11, 31, v10
	v_add_nc_u32_e32 v26, -8, v20
	v_mov_b32_e32 v27, v23
	v_mov_b32_e32 v79, v23
	v_lshlrev_b64 v[21:22], 2, v[10:11]
	v_add_nc_u32_e32 v10, 8, v10
	v_lshlrev_b64 v[26:27], 4, v[26:27]
	v_add_co_u32 v21, vcc_lo, s10, v21
	v_add_co_ci_u32_e64 v22, null, s11, v22, vcc_lo
	global_load_dword v11, v[21:22], off
	v_subrev_nc_u32_e32 v22, 17, v20
	v_mov_b32_e32 v21, v23
	v_lshlrev_b64 v[28:29], 4, v[22:23]
	v_lshlrev_b64 v[21:22], 4, v[20:21]
	v_add_co_u32 v30, vcc_lo, s12, v28
	v_add_co_ci_u32_e64 v31, null, s13, v29, vcc_lo
	v_add_co_u32 v34, vcc_lo, s12, v26
	v_add_co_ci_u32_e64 v35, null, s13, v27, vcc_lo
	;; [unrolled: 2-line block ×3, first 2 shown]
	s_clause 0x2
	global_load_dwordx4 v[26:29], v[30:31], off offset:16
	global_load_dwordx4 v[30:33], v[30:31], off
	global_load_dwordx4 v[34:37], v[34:35], off
	s_waitcnt vmcnt(3)
	v_subrev_nc_u32_e32 v11, s2, v11
	v_lshl_add_u32 v78, v11, 3, v11
	v_lshlrev_b64 v[38:39], 4, v[78:79]
	v_add_nc_u32_e32 v22, 1, v78
	v_lshlrev_b64 v[42:43], 4, v[22:23]
	v_add_co_u32 v38, vcc_lo, s14, v38
	v_add_co_ci_u32_e64 v39, null, s15, v39, vcc_lo
	v_add_nc_u32_e32 v22, -7, v20
	v_add_co_u32 v42, vcc_lo, s14, v42
	global_load_dwordx4 v[38:41], v[38:39], off
	v_add_co_ci_u32_e64 v43, null, s15, v43, vcc_lo
	v_lshlrev_b64 v[46:47], 4, v[22:23]
	v_add_nc_u32_e32 v22, -15, v20
	global_load_dwordx4 v[42:45], v[42:43], off
	v_add_co_u32 v46, vcc_lo, s12, v46
	v_add_co_ci_u32_e64 v47, null, s13, v47, vcc_lo
	v_lshlrev_b64 v[50:51], 4, v[22:23]
	v_add_nc_u32_e32 v22, 2, v78
	global_load_dwordx4 v[46:49], v[46:47], off
	v_lshlrev_b64 v[52:53], 4, v[22:23]
	v_add_nc_u32_e32 v22, -6, v20
	v_add_co_u32 v50, vcc_lo, s12, v50
	v_add_co_ci_u32_e64 v51, null, s13, v51, vcc_lo
	v_add_co_u32 v54, vcc_lo, s14, v52
	v_lshlrev_b64 v[58:59], 4, v[22:23]
	v_add_co_ci_u32_e64 v55, null, s15, v53, vcc_lo
	global_load_dwordx4 v[50:53], v[50:51], off
	v_add_nc_u32_e32 v22, -14, v20
	global_load_dwordx4 v[54:57], v[54:55], off
	v_add_co_u32 v58, vcc_lo, s12, v58
	v_add_co_ci_u32_e64 v59, null, s13, v59, vcc_lo
	v_lshlrev_b64 v[62:63], 4, v[22:23]
	v_add_nc_u32_e32 v22, 3, v78
	global_load_dwordx4 v[58:61], v[58:59], off
	v_lshlrev_b64 v[64:65], 4, v[22:23]
	v_add_co_u32 v62, vcc_lo, s12, v62
	v_add_co_ci_u32_e64 v63, null, s13, v63, vcc_lo
	v_add_nc_u32_e32 v22, -5, v20
	v_add_co_u32 v66, vcc_lo, s14, v64
	v_add_co_ci_u32_e64 v67, null, s15, v65, vcc_lo
	global_load_dwordx4 v[62:65], v[62:63], off
	v_lshlrev_b64 v[70:71], 4, v[22:23]
	v_add_nc_u32_e32 v22, -13, v20
	global_load_dwordx4 v[66:69], v[66:67], off
	v_add_co_u32 v70, vcc_lo, s12, v70
	v_add_co_ci_u32_e64 v71, null, s13, v71, vcc_lo
	v_lshlrev_b64 v[74:75], 4, v[22:23]
	v_add_nc_u32_e32 v22, 4, v78
	global_load_dwordx4 v[70:73], v[70:71], off
	v_lshlrev_b64 v[76:77], 4, v[22:23]
	v_add_nc_u32_e32 v22, -4, v20
	v_add_co_u32 v74, vcc_lo, s12, v74
	v_add_co_ci_u32_e64 v75, null, s13, v75, vcc_lo
	v_lshlrev_b64 v[82:83], 4, v[22:23]
	v_add_nc_u32_e32 v22, -12, v20
	v_add_co_u32 v84, vcc_lo, s14, v76
	v_add_co_ci_u32_e64 v85, null, s15, v77, vcc_lo
	global_load_dwordx4 v[74:77], v[74:75], off
	s_waitcnt vmcnt(9)
	v_fma_f64 v[11:12], v[34:35], v[38:39], v[12:13]
	v_fma_f64 v[16:17], v[36:37], v[38:39], v[16:17]
	;; [unrolled: 1-line block ×4, first 2 shown]
	v_fma_f64 v[36:37], -v[36:37], v[40:41], v[11:12]
	v_fma_f64 v[34:35], v[34:35], v[40:41], v[16:17]
	v_fma_f64 v[88:89], v[30:31], v[40:41], v[14:15]
	v_lshlrev_b64 v[14:15], 4, v[22:23]
	v_add_nc_u32_e32 v22, 5, v78
	v_fma_f64 v[86:87], -v[32:33], v[40:41], v[18:19]
	v_add_co_u32 v18, vcc_lo, s12, v82
	v_add_co_ci_u32_e64 v19, null, s13, v83, vcc_lo
	v_lshlrev_b64 v[16:17], 4, v[22:23]
	v_add_nc_u32_e32 v22, -3, v20
	global_load_dwordx4 v[30:33], v[84:85], off
	v_add_co_u32 v38, vcc_lo, s12, v14
	global_load_dwordx4 v[11:14], v[18:19], off
	v_lshlrev_b64 v[40:41], 4, v[22:23]
	v_add_co_ci_u32_e64 v39, null, s13, v15, vcc_lo
	v_add_co_u32 v82, vcc_lo, s14, v16
	v_add_co_ci_u32_e64 v83, null, s15, v17, vcc_lo
	s_waitcnt vmcnt(9)
	v_fma_f64 v[36:37], v[46:47], v[42:43], v[36:37]
	v_fma_f64 v[34:35], v[48:49], v[42:43], v[34:35]
	v_add_co_u32 v40, vcc_lo, s12, v40
	v_add_co_ci_u32_e64 v41, null, s13, v41, vcc_lo
	v_fma_f64 v[84:85], v[28:29], v[42:43], v[88:89]
	v_add_nc_u32_e32 v22, -11, v20
	v_fma_f64 v[48:49], -v[48:49], v[44:45], v[36:37]
	v_fma_f64 v[46:47], v[46:47], v[44:45], v[34:35]
	s_clause 0x1
	global_load_dwordx4 v[34:37], v[40:41], off
	global_load_dwordx4 v[15:18], v[38:39], off
	v_fma_f64 v[38:39], v[26:27], v[42:43], v[86:87]
	v_fma_f64 v[84:85], v[26:27], v[44:45], v[84:85]
	s_waitcnt vmcnt(8)
	v_fma_f64 v[48:49], v[58:59], v[54:55], v[48:49]
	v_fma_f64 v[46:47], v[60:61], v[54:55], v[46:47]
	v_fma_f64 v[86:87], -v[28:29], v[44:45], v[38:39]
	global_load_dwordx4 v[26:29], v[82:83], off
	v_lshlrev_b64 v[38:39], 4, v[22:23]
	v_add_nc_u32_e32 v22, 6, v78
	v_fma_f64 v[84:85], v[52:53], v[54:55], v[84:85]
	v_lshlrev_b64 v[42:43], 4, v[22:23]
	v_add_nc_u32_e32 v22, -2, v20
	v_add_co_u32 v38, vcc_lo, s12, v38
	v_add_co_ci_u32_e64 v39, null, s13, v39, vcc_lo
	v_lshlrev_b64 v[44:45], 4, v[22:23]
	v_add_co_u32 v42, vcc_lo, s14, v42
	v_add_co_ci_u32_e64 v43, null, s15, v43, vcc_lo
	global_load_dwordx4 v[38:41], v[38:39], off
	v_fma_f64 v[88:89], v[58:59], v[56:57], v[46:47]
	v_add_nc_u32_e32 v22, -10, v20
	v_fma_f64 v[82:83], v[50:51], v[54:55], v[86:87]
	v_fma_f64 v[86:87], -v[60:61], v[56:57], v[48:49]
	v_fma_f64 v[84:85], v[50:51], v[56:57], v[84:85]
	v_lshlrev_b64 v[50:51], 4, v[22:23]
	v_add_nc_u32_e32 v22, 7, v78
	v_lshlrev_b64 v[54:55], 4, v[22:23]
	v_add_nc_u32_e32 v22, -1, v20
	v_lshlrev_b64 v[21:22], 4, v[22:23]
	v_fma_f64 v[82:83], -v[52:53], v[56:57], v[82:83]
	v_add_co_u32 v52, vcc_lo, s12, v44
	v_add_co_ci_u32_e64 v53, null, s13, v45, vcc_lo
	global_load_dwordx4 v[42:45], v[42:43], off
	v_add_co_u32 v50, vcc_lo, s12, v50
	global_load_dwordx4 v[46:49], v[52:53], off
	v_add_co_ci_u32_e64 v51, null, s13, v51, vcc_lo
	v_add_co_u32 v54, vcc_lo, s14, v54
	v_add_co_ci_u32_e64 v55, null, s15, v55, vcc_lo
	global_load_dwordx4 v[50:53], v[50:51], off
	s_waitcnt vmcnt(11)
	v_fma_f64 v[58:59], v[64:65], v[66:67], v[84:85]
	v_add_co_u32 v21, vcc_lo, s12, v21
	v_add_co_ci_u32_e64 v22, null, s13, v22, vcc_lo
	v_fma_f64 v[56:57], v[62:63], v[66:67], v[82:83]
	v_fma_f64 v[84:85], v[62:63], v[68:69], v[58:59]
	s_waitcnt vmcnt(10)
	v_fma_f64 v[62:63], v[72:73], v[66:67], v[88:89]
	v_fma_f64 v[82:83], -v[64:65], v[68:69], v[56:57]
	global_load_dwordx4 v[54:57], v[54:55], off
	global_load_dwordx4 v[58:61], v[21:22], off
	v_fma_f64 v[21:22], v[70:71], v[66:67], v[86:87]
	v_fma_f64 v[88:89], v[70:71], v[68:69], v[62:63]
	global_load_dwordx4 v[62:65], v[80:81], off
	v_fma_f64 v[86:87], -v[72:73], v[68:69], v[21:22]
	v_add_nc_u32_e32 v22, -9, v20
	v_add_nc_u32_e32 v20, 0x90, v20
	v_lshlrev_b64 v[66:67], 4, v[22:23]
	v_add_nc_u32_e32 v22, 8, v78
	v_lshlrev_b64 v[21:22], 4, v[22:23]
	v_add_co_u32 v66, vcc_lo, s12, v66
	v_add_co_ci_u32_e64 v67, null, s13, v67, vcc_lo
	v_add_co_u32 v21, vcc_lo, s14, v21
	v_add_co_ci_u32_e64 v22, null, s15, v22, vcc_lo
	global_load_dwordx4 v[66:69], v[66:67], off
	global_load_dwordx4 v[70:73], v[21:22], off
	v_cmp_ge_i32_e32 vcc_lo, v10, v25
	s_or_b32 s0, vcc_lo, s0
	s_waitcnt vmcnt(13)
	v_fma_f64 v[21:22], v[74:75], v[30:31], v[82:83]
	v_fma_f64 v[78:79], v[76:77], v[30:31], v[84:85]
	s_waitcnt vmcnt(12)
	v_fma_f64 v[80:81], v[11:12], v[30:31], v[86:87]
	v_fma_f64 v[30:31], v[13:14], v[30:31], v[88:89]
	v_fma_f64 v[21:22], -v[76:77], v[32:33], v[21:22]
	v_fma_f64 v[74:75], v[74:75], v[32:33], v[78:79]
	v_fma_f64 v[13:14], -v[13:14], v[32:33], v[80:81]
	v_fma_f64 v[11:12], v[11:12], v[32:33], v[30:31]
	s_waitcnt vmcnt(9)
	v_fma_f64 v[21:22], v[15:16], v[26:27], v[21:22]
	v_fma_f64 v[30:31], v[17:18], v[26:27], v[74:75]
	;; [unrolled: 1-line block ×4, first 2 shown]
	v_fma_f64 v[17:18], -v[17:18], v[28:29], v[21:22]
	v_fma_f64 v[15:16], v[15:16], v[28:29], v[30:31]
	v_fma_f64 v[13:14], -v[36:37], v[28:29], v[13:14]
	v_fma_f64 v[11:12], v[34:35], v[28:29], v[11:12]
	s_waitcnt vmcnt(7)
	v_fma_f64 v[17:18], v[38:39], v[42:43], v[17:18]
	v_fma_f64 v[15:16], v[40:41], v[42:43], v[15:16]
	s_waitcnt vmcnt(6)
	v_fma_f64 v[13:14], v[46:47], v[42:43], v[13:14]
	v_fma_f64 v[11:12], v[48:49], v[42:43], v[11:12]
	v_fma_f64 v[17:18], -v[40:41], v[44:45], v[17:18]
	v_fma_f64 v[15:16], v[38:39], v[44:45], v[15:16]
	v_fma_f64 v[13:14], -v[48:49], v[44:45], v[13:14]
	v_fma_f64 v[11:12], v[46:47], v[44:45], v[11:12]
	s_waitcnt vmcnt(4)
	v_fma_f64 v[17:18], v[50:51], v[54:55], v[17:18]
	v_fma_f64 v[15:16], v[52:53], v[54:55], v[15:16]
	s_waitcnt vmcnt(3)
	v_fma_f64 v[13:14], v[58:59], v[54:55], v[13:14]
	v_fma_f64 v[11:12], v[60:61], v[54:55], v[11:12]
	v_fma_f64 v[17:18], -v[52:53], v[56:57], v[17:18]
	v_fma_f64 v[15:16], v[50:51], v[56:57], v[15:16]
	v_fma_f64 v[13:14], -v[60:61], v[56:57], v[13:14]
	v_fma_f64 v[11:12], v[58:59], v[56:57], v[11:12]
	s_waitcnt vmcnt(0)
	v_fma_f64 v[17:18], v[66:67], v[70:71], v[17:18]
	v_fma_f64 v[15:16], v[68:69], v[70:71], v[15:16]
	;; [unrolled: 1-line block ×4, first 2 shown]
	v_fma_f64 v[18:19], -v[68:69], v[72:73], v[17:18]
	v_fma_f64 v[14:15], v[66:67], v[72:73], v[15:16]
	v_fma_f64 v[12:13], -v[64:65], v[72:73], v[21:22]
	v_fma_f64 v[16:17], v[62:63], v[72:73], v[26:27]
	s_andn2_b32 exec_lo, exec_lo, s0
	s_cbranch_execnz .LBB264_13
; %bb.14:
	s_or_b32 exec_lo, exec_lo, s0
.LBB264_15:
	s_or_b32 exec_lo, exec_lo, s1
.LBB264_16:
	v_mbcnt_lo_u32_b32 v26, -1, 0
	v_xor_b32_e32 v10, 4, v26
	v_cmp_gt_i32_e32 vcc_lo, 32, v10
	v_cndmask_b32_e32 v10, v26, v10, vcc_lo
	v_lshlrev_b32_e32 v25, 2, v10
	ds_bpermute_b32 v10, v25, v18
	ds_bpermute_b32 v11, v25, v19
	;; [unrolled: 1-line block ×8, first 2 shown]
	s_waitcnt lgkmcnt(6)
	v_add_f64 v[10:11], v[18:19], v[10:11]
	s_waitcnt lgkmcnt(4)
	v_add_f64 v[14:15], v[14:15], v[20:21]
	;; [unrolled: 2-line block ×4, first 2 shown]
	v_xor_b32_e32 v16, 2, v26
	v_cmp_gt_i32_e32 vcc_lo, 32, v16
	v_cndmask_b32_e32 v16, v26, v16, vcc_lo
	v_lshlrev_b32_e32 v25, 2, v16
	ds_bpermute_b32 v16, v25, v10
	ds_bpermute_b32 v17, v25, v11
	ds_bpermute_b32 v20, v25, v14
	ds_bpermute_b32 v21, v25, v15
	ds_bpermute_b32 v22, v25, v12
	ds_bpermute_b32 v23, v25, v13
	ds_bpermute_b32 v24, v25, v18
	ds_bpermute_b32 v25, v25, v19
	s_waitcnt lgkmcnt(6)
	v_add_f64 v[10:11], v[10:11], v[16:17]
	s_waitcnt lgkmcnt(4)
	v_add_f64 v[16:17], v[14:15], v[20:21]
	s_waitcnt lgkmcnt(2)
	v_add_f64 v[12:13], v[12:13], v[22:23]
	s_waitcnt lgkmcnt(0)
	v_add_f64 v[14:15], v[18:19], v[24:25]
	v_xor_b32_e32 v18, 1, v26
	v_cmp_gt_i32_e32 vcc_lo, 32, v18
	v_cndmask_b32_e32 v18, v26, v18, vcc_lo
	v_cmp_eq_u32_e32 vcc_lo, 7, v0
	v_lshlrev_b32_e32 v21, 2, v18
	ds_bpermute_b32 v24, v21, v10
	ds_bpermute_b32 v25, v21, v11
	;; [unrolled: 1-line block ×8, first 2 shown]
	s_and_b32 exec_lo, exec_lo, vcc_lo
	s_cbranch_execz .LBB264_21
; %bb.17:
	v_cmp_eq_f64_e32 vcc_lo, 0, v[5:6]
	v_cmp_eq_f64_e64 s0, 0, v[7:8]
	s_waitcnt lgkmcnt(6)
	v_add_f64 v[10:11], v[10:11], v[24:25]
	s_waitcnt lgkmcnt(4)
	v_add_f64 v[16:17], v[16:17], v[22:23]
	;; [unrolled: 2-line block ×4, first 2 shown]
	s_load_dwordx2 s[2:3], s[4:5], 0x48
	s_and_b32 s0, vcc_lo, s0
	s_and_saveexec_b32 s1, s0
	s_xor_b32 s0, exec_lo, s1
	s_cbranch_execz .LBB264_19
; %bb.18:
	v_mul_f64 v[5:6], v[16:17], -v[3:4]
	v_mul_f64 v[7:8], v[1:2], v[16:17]
	v_mul_f64 v[16:17], v[14:15], -v[3:4]
	v_mul_f64 v[14:15], v[1:2], v[14:15]
	v_lshlrev_b32_e32 v9, 1, v9
	v_fma_f64 v[5:6], v[1:2], v[10:11], v[5:6]
	v_fma_f64 v[7:8], v[3:4], v[10:11], v[7:8]
	;; [unrolled: 1-line block ×4, first 2 shown]
	v_ashrrev_i32_e32 v10, 31, v9
                                        ; implicit-def: $vgpr16_vgpr17
                                        ; implicit-def: $vgpr12_vgpr13
                                        ; implicit-def: $vgpr14_vgpr15
	v_lshlrev_b64 v[9:10], 4, v[9:10]
	s_waitcnt lgkmcnt(0)
	v_add_co_u32 v9, vcc_lo, s2, v9
	v_add_co_ci_u32_e64 v10, null, s3, v10, vcc_lo
	global_store_dwordx4 v[9:10], v[5:8], off
	global_store_dwordx4 v[9:10], v[0:3], off offset:16
                                        ; implicit-def: $vgpr9
                                        ; implicit-def: $vgpr10_vgpr11
                                        ; implicit-def: $vgpr7_vgpr8
                                        ; implicit-def: $vgpr3_vgpr4
.LBB264_19:
	s_andn2_saveexec_b32 s0, s0
	s_cbranch_execz .LBB264_21
; %bb.20:
	v_lshlrev_b32_e32 v18, 1, v9
	v_mul_f64 v[28:29], v[16:17], -v[3:4]
	v_mul_f64 v[16:17], v[1:2], v[16:17]
	v_mul_f64 v[30:31], v[14:15], -v[3:4]
	v_mul_f64 v[14:15], v[1:2], v[14:15]
	v_ashrrev_i32_e32 v19, 31, v18
	v_lshlrev_b64 v[18:19], 4, v[18:19]
	s_waitcnt lgkmcnt(0)
	v_add_co_u32 v26, vcc_lo, s2, v18
	v_add_co_ci_u32_e64 v27, null, s3, v19, vcc_lo
	s_clause 0x1
	global_load_dwordx4 v[18:21], v[26:27], off
	global_load_dwordx4 v[22:25], v[26:27], off offset:16
	v_fma_f64 v[28:29], v[1:2], v[10:11], v[28:29]
	v_fma_f64 v[9:10], v[3:4], v[10:11], v[16:17]
	;; [unrolled: 1-line block ×4, first 2 shown]
	s_waitcnt vmcnt(1)
	v_fma_f64 v[11:12], v[5:6], v[18:19], v[28:29]
	v_fma_f64 v[9:10], v[7:8], v[18:19], v[9:10]
	s_waitcnt vmcnt(0)
	v_fma_f64 v[13:14], v[5:6], v[22:23], v[0:1]
	v_fma_f64 v[15:16], v[7:8], v[22:23], v[2:3]
	v_fma_f64 v[0:1], -v[7:8], v[20:21], v[11:12]
	v_fma_f64 v[2:3], v[5:6], v[20:21], v[9:10]
	v_fma_f64 v[7:8], -v[7:8], v[24:25], v[13:14]
	v_fma_f64 v[9:10], v[5:6], v[24:25], v[15:16]
	global_store_dwordx4 v[26:27], v[0:3], off
	global_store_dwordx4 v[26:27], v[7:10], off offset:16
.LBB264_21:
	s_endpgm
	.section	.rodata,"a",@progbits
	.p2align	6, 0x0
	.amdhsa_kernel _ZN9rocsparseL19gebsrmvn_2xn_kernelILj128ELj9ELj8E21rocsparse_complex_numIdEEEvi20rocsparse_direction_NS_24const_host_device_scalarIT2_EEPKiS8_PKS5_SA_S6_PS5_21rocsparse_index_base_b
		.amdhsa_group_segment_fixed_size 0
		.amdhsa_private_segment_fixed_size 0
		.amdhsa_kernarg_size 88
		.amdhsa_user_sgpr_count 6
		.amdhsa_user_sgpr_private_segment_buffer 1
		.amdhsa_user_sgpr_dispatch_ptr 0
		.amdhsa_user_sgpr_queue_ptr 0
		.amdhsa_user_sgpr_kernarg_segment_ptr 1
		.amdhsa_user_sgpr_dispatch_id 0
		.amdhsa_user_sgpr_flat_scratch_init 0
		.amdhsa_user_sgpr_private_segment_size 0
		.amdhsa_wavefront_size32 1
		.amdhsa_uses_dynamic_stack 0
		.amdhsa_system_sgpr_private_segment_wavefront_offset 0
		.amdhsa_system_sgpr_workgroup_id_x 1
		.amdhsa_system_sgpr_workgroup_id_y 0
		.amdhsa_system_sgpr_workgroup_id_z 0
		.amdhsa_system_sgpr_workgroup_info 0
		.amdhsa_system_vgpr_workitem_id 0
		.amdhsa_next_free_vgpr 109
		.amdhsa_next_free_sgpr 16
		.amdhsa_reserve_vcc 1
		.amdhsa_reserve_flat_scratch 0
		.amdhsa_float_round_mode_32 0
		.amdhsa_float_round_mode_16_64 0
		.amdhsa_float_denorm_mode_32 3
		.amdhsa_float_denorm_mode_16_64 3
		.amdhsa_dx10_clamp 1
		.amdhsa_ieee_mode 1
		.amdhsa_fp16_overflow 0
		.amdhsa_workgroup_processor_mode 1
		.amdhsa_memory_ordered 1
		.amdhsa_forward_progress 1
		.amdhsa_shared_vgpr_count 0
		.amdhsa_exception_fp_ieee_invalid_op 0
		.amdhsa_exception_fp_denorm_src 0
		.amdhsa_exception_fp_ieee_div_zero 0
		.amdhsa_exception_fp_ieee_overflow 0
		.amdhsa_exception_fp_ieee_underflow 0
		.amdhsa_exception_fp_ieee_inexact 0
		.amdhsa_exception_int_div_zero 0
	.end_amdhsa_kernel
	.section	.text._ZN9rocsparseL19gebsrmvn_2xn_kernelILj128ELj9ELj8E21rocsparse_complex_numIdEEEvi20rocsparse_direction_NS_24const_host_device_scalarIT2_EEPKiS8_PKS5_SA_S6_PS5_21rocsparse_index_base_b,"axG",@progbits,_ZN9rocsparseL19gebsrmvn_2xn_kernelILj128ELj9ELj8E21rocsparse_complex_numIdEEEvi20rocsparse_direction_NS_24const_host_device_scalarIT2_EEPKiS8_PKS5_SA_S6_PS5_21rocsparse_index_base_b,comdat
.Lfunc_end264:
	.size	_ZN9rocsparseL19gebsrmvn_2xn_kernelILj128ELj9ELj8E21rocsparse_complex_numIdEEEvi20rocsparse_direction_NS_24const_host_device_scalarIT2_EEPKiS8_PKS5_SA_S6_PS5_21rocsparse_index_base_b, .Lfunc_end264-_ZN9rocsparseL19gebsrmvn_2xn_kernelILj128ELj9ELj8E21rocsparse_complex_numIdEEEvi20rocsparse_direction_NS_24const_host_device_scalarIT2_EEPKiS8_PKS5_SA_S6_PS5_21rocsparse_index_base_b
                                        ; -- End function
	.set _ZN9rocsparseL19gebsrmvn_2xn_kernelILj128ELj9ELj8E21rocsparse_complex_numIdEEEvi20rocsparse_direction_NS_24const_host_device_scalarIT2_EEPKiS8_PKS5_SA_S6_PS5_21rocsparse_index_base_b.num_vgpr, 109
	.set _ZN9rocsparseL19gebsrmvn_2xn_kernelILj128ELj9ELj8E21rocsparse_complex_numIdEEEvi20rocsparse_direction_NS_24const_host_device_scalarIT2_EEPKiS8_PKS5_SA_S6_PS5_21rocsparse_index_base_b.num_agpr, 0
	.set _ZN9rocsparseL19gebsrmvn_2xn_kernelILj128ELj9ELj8E21rocsparse_complex_numIdEEEvi20rocsparse_direction_NS_24const_host_device_scalarIT2_EEPKiS8_PKS5_SA_S6_PS5_21rocsparse_index_base_b.numbered_sgpr, 16
	.set _ZN9rocsparseL19gebsrmvn_2xn_kernelILj128ELj9ELj8E21rocsparse_complex_numIdEEEvi20rocsparse_direction_NS_24const_host_device_scalarIT2_EEPKiS8_PKS5_SA_S6_PS5_21rocsparse_index_base_b.num_named_barrier, 0
	.set _ZN9rocsparseL19gebsrmvn_2xn_kernelILj128ELj9ELj8E21rocsparse_complex_numIdEEEvi20rocsparse_direction_NS_24const_host_device_scalarIT2_EEPKiS8_PKS5_SA_S6_PS5_21rocsparse_index_base_b.private_seg_size, 0
	.set _ZN9rocsparseL19gebsrmvn_2xn_kernelILj128ELj9ELj8E21rocsparse_complex_numIdEEEvi20rocsparse_direction_NS_24const_host_device_scalarIT2_EEPKiS8_PKS5_SA_S6_PS5_21rocsparse_index_base_b.uses_vcc, 1
	.set _ZN9rocsparseL19gebsrmvn_2xn_kernelILj128ELj9ELj8E21rocsparse_complex_numIdEEEvi20rocsparse_direction_NS_24const_host_device_scalarIT2_EEPKiS8_PKS5_SA_S6_PS5_21rocsparse_index_base_b.uses_flat_scratch, 0
	.set _ZN9rocsparseL19gebsrmvn_2xn_kernelILj128ELj9ELj8E21rocsparse_complex_numIdEEEvi20rocsparse_direction_NS_24const_host_device_scalarIT2_EEPKiS8_PKS5_SA_S6_PS5_21rocsparse_index_base_b.has_dyn_sized_stack, 0
	.set _ZN9rocsparseL19gebsrmvn_2xn_kernelILj128ELj9ELj8E21rocsparse_complex_numIdEEEvi20rocsparse_direction_NS_24const_host_device_scalarIT2_EEPKiS8_PKS5_SA_S6_PS5_21rocsparse_index_base_b.has_recursion, 0
	.set _ZN9rocsparseL19gebsrmvn_2xn_kernelILj128ELj9ELj8E21rocsparse_complex_numIdEEEvi20rocsparse_direction_NS_24const_host_device_scalarIT2_EEPKiS8_PKS5_SA_S6_PS5_21rocsparse_index_base_b.has_indirect_call, 0
	.section	.AMDGPU.csdata,"",@progbits
; Kernel info:
; codeLenInByte = 4372
; TotalNumSgprs: 18
; NumVgprs: 109
; ScratchSize: 0
; MemoryBound: 0
; FloatMode: 240
; IeeeMode: 1
; LDSByteSize: 0 bytes/workgroup (compile time only)
; SGPRBlocks: 0
; VGPRBlocks: 13
; NumSGPRsForWavesPerEU: 18
; NumVGPRsForWavesPerEU: 109
; Occupancy: 9
; WaveLimiterHint : 1
; COMPUTE_PGM_RSRC2:SCRATCH_EN: 0
; COMPUTE_PGM_RSRC2:USER_SGPR: 6
; COMPUTE_PGM_RSRC2:TRAP_HANDLER: 0
; COMPUTE_PGM_RSRC2:TGID_X_EN: 1
; COMPUTE_PGM_RSRC2:TGID_Y_EN: 0
; COMPUTE_PGM_RSRC2:TGID_Z_EN: 0
; COMPUTE_PGM_RSRC2:TIDIG_COMP_CNT: 0
	.section	.text._ZN9rocsparseL19gebsrmvn_2xn_kernelILj128ELj9ELj16E21rocsparse_complex_numIdEEEvi20rocsparse_direction_NS_24const_host_device_scalarIT2_EEPKiS8_PKS5_SA_S6_PS5_21rocsparse_index_base_b,"axG",@progbits,_ZN9rocsparseL19gebsrmvn_2xn_kernelILj128ELj9ELj16E21rocsparse_complex_numIdEEEvi20rocsparse_direction_NS_24const_host_device_scalarIT2_EEPKiS8_PKS5_SA_S6_PS5_21rocsparse_index_base_b,comdat
	.globl	_ZN9rocsparseL19gebsrmvn_2xn_kernelILj128ELj9ELj16E21rocsparse_complex_numIdEEEvi20rocsparse_direction_NS_24const_host_device_scalarIT2_EEPKiS8_PKS5_SA_S6_PS5_21rocsparse_index_base_b ; -- Begin function _ZN9rocsparseL19gebsrmvn_2xn_kernelILj128ELj9ELj16E21rocsparse_complex_numIdEEEvi20rocsparse_direction_NS_24const_host_device_scalarIT2_EEPKiS8_PKS5_SA_S6_PS5_21rocsparse_index_base_b
	.p2align	8
	.type	_ZN9rocsparseL19gebsrmvn_2xn_kernelILj128ELj9ELj16E21rocsparse_complex_numIdEEEvi20rocsparse_direction_NS_24const_host_device_scalarIT2_EEPKiS8_PKS5_SA_S6_PS5_21rocsparse_index_base_b,@function
_ZN9rocsparseL19gebsrmvn_2xn_kernelILj128ELj9ELj16E21rocsparse_complex_numIdEEEvi20rocsparse_direction_NS_24const_host_device_scalarIT2_EEPKiS8_PKS5_SA_S6_PS5_21rocsparse_index_base_b: ; @_ZN9rocsparseL19gebsrmvn_2xn_kernelILj128ELj9ELj16E21rocsparse_complex_numIdEEEvi20rocsparse_direction_NS_24const_host_device_scalarIT2_EEPKiS8_PKS5_SA_S6_PS5_21rocsparse_index_base_b
; %bb.0:
	s_clause 0x1
	s_load_dwordx2 s[2:3], s[4:5], 0x50
	s_load_dwordx2 s[0:1], s[4:5], 0x8
	s_add_u32 s7, s4, 8
	s_addc_u32 s10, s5, 0
	s_add_u32 s11, s4, 56
	s_addc_u32 s12, s5, 0
	s_load_dwordx2 s[8:9], s[4:5], 0x38
	s_waitcnt lgkmcnt(0)
	s_bitcmp1_b32 s3, 0
	s_cselect_b32 s0, s7, s0
	s_cselect_b32 s1, s10, s1
	v_mov_b32_e32 v1, s0
	v_mov_b32_e32 v2, s1
	s_cselect_b32 s0, s11, s8
	s_cselect_b32 s1, s12, s9
	v_mov_b32_e32 v5, s0
	v_mov_b32_e32 v6, s1
	flat_load_dwordx4 v[1:4], v[1:2]
	flat_load_dwordx4 v[5:8], v[5:6]
	s_waitcnt vmcnt(1) lgkmcnt(1)
	v_cmp_eq_f64_e32 vcc_lo, 0, v[1:2]
	v_cmp_eq_f64_e64 s0, 0, v[3:4]
	s_and_b32 s3, vcc_lo, s0
	s_mov_b32 s0, -1
	s_and_saveexec_b32 s1, s3
	s_cbranch_execz .LBB265_2
; %bb.1:
	s_waitcnt vmcnt(0) lgkmcnt(0)
	v_cmp_neq_f64_e32 vcc_lo, 1.0, v[5:6]
	v_cmp_neq_f64_e64 s0, 0, v[7:8]
	s_or_b32 s0, vcc_lo, s0
	s_orn2_b32 s0, s0, exec_lo
.LBB265_2:
	s_or_b32 exec_lo, exec_lo, s1
	s_and_saveexec_b32 s1, s0
	s_cbranch_execz .LBB265_21
; %bb.3:
	s_load_dwordx2 s[0:1], s[4:5], 0x0
	v_lshrrev_b32_e32 v9, 4, v0
	v_lshl_or_b32 v9, s6, 3, v9
	s_waitcnt lgkmcnt(0)
	v_cmp_gt_i32_e32 vcc_lo, s0, v9
	s_and_b32 exec_lo, exec_lo, vcc_lo
	s_cbranch_execz .LBB265_21
; %bb.4:
	s_load_dwordx8 s[8:15], s[4:5], 0x18
	v_ashrrev_i32_e32 v10, 31, v9
	v_and_b32_e32 v0, 15, v0
	s_cmp_lg_u32 s1, 0
	v_lshlrev_b64 v[10:11], 2, v[9:10]
	s_waitcnt lgkmcnt(0)
	v_add_co_u32 v10, vcc_lo, s8, v10
	v_add_co_ci_u32_e64 v11, null, s9, v11, vcc_lo
	global_load_dwordx2 v[10:11], v[10:11], off
	s_waitcnt vmcnt(0)
	v_subrev_nc_u32_e32 v10, s2, v10
	v_subrev_nc_u32_e32 v25, s2, v11
	v_add_nc_u32_e32 v10, v10, v0
	v_cmp_lt_i32_e64 s0, v10, v25
	s_cbranch_scc0 .LBB265_10
; %bb.5:
	v_mov_b32_e32 v14, 0
	v_mov_b32_e32 v18, 0
	;; [unrolled: 1-line block ×8, first 2 shown]
	s_and_saveexec_b32 s1, s0
	s_cbranch_execz .LBB265_9
; %bb.6:
	v_mad_u64_u32 v[20:21], null, v10, 18, 16
	v_mov_b32_e32 v14, 0
	v_mov_b32_e32 v18, 0
	;; [unrolled: 1-line block ×10, first 2 shown]
	s_mov_b32 s3, 0
.LBB265_7:                              ; =>This Inner Loop Header: Depth=1
	v_ashrrev_i32_e32 v24, 31, v23
	v_add_nc_u32_e32 v21, -16, v20
	v_mov_b32_e32 v95, v22
	v_lshlrev_b64 v[26:27], 2, v[23:24]
	v_add_nc_u32_e32 v23, 16, v23
	v_add_co_u32 v26, vcc_lo, s10, v26
	v_add_co_ci_u32_e64 v27, null, s11, v27, vcc_lo
	global_load_dword v11, v[26:27], off
	v_lshlrev_b64 v[26:27], 4, v[21:22]
	v_add_nc_u32_e32 v21, -14, v20
	v_lshlrev_b64 v[28:29], 4, v[21:22]
	v_add_co_u32 v30, vcc_lo, s12, v26
	v_add_co_ci_u32_e64 v31, null, s13, v27, vcc_lo
	v_add_co_u32 v38, vcc_lo, s12, v28
	v_add_co_ci_u32_e64 v39, null, s13, v29, vcc_lo
	s_clause 0x3
	global_load_dwordx4 v[26:29], v[30:31], off offset:16
	global_load_dwordx4 v[30:33], v[30:31], off
	global_load_dwordx4 v[34:37], v[38:39], off offset:16
	global_load_dwordx4 v[38:41], v[38:39], off
	s_waitcnt vmcnt(4)
	v_subrev_nc_u32_e32 v11, s2, v11
	v_lshl_add_u32 v94, v11, 3, v11
	v_lshlrev_b64 v[42:43], 4, v[94:95]
	v_add_nc_u32_e32 v21, 1, v94
	v_lshlrev_b64 v[46:47], 4, v[21:22]
	v_add_co_u32 v42, vcc_lo, s14, v42
	v_add_co_ci_u32_e64 v43, null, s15, v43, vcc_lo
	v_add_nc_u32_e32 v21, -12, v20
	v_add_co_u32 v46, vcc_lo, s14, v46
	global_load_dwordx4 v[42:45], v[42:43], off
	v_add_co_ci_u32_e64 v47, null, s15, v47, vcc_lo
	v_lshlrev_b64 v[50:51], 4, v[21:22]
	v_add_nc_u32_e32 v21, 2, v94
	global_load_dwordx4 v[46:49], v[46:47], off
	v_lshlrev_b64 v[52:53], 4, v[21:22]
	v_add_co_u32 v54, vcc_lo, s12, v50
	v_add_co_ci_u32_e64 v55, null, s13, v51, vcc_lo
	v_mov_b32_e32 v21, v22
	v_add_co_u32 v58, vcc_lo, s14, v52
	v_add_co_ci_u32_e64 v59, null, s15, v53, vcc_lo
	s_clause 0x1
	global_load_dwordx4 v[50:53], v[54:55], off offset:16
	global_load_dwordx4 v[54:57], v[54:55], off
	global_load_dwordx4 v[58:61], v[58:59], off
	v_lshlrev_b64 v[62:63], 4, v[20:21]
	v_add_nc_u32_e32 v21, -10, v20
	v_add_co_u32 v95, vcc_lo, s12, v62
	v_add_co_ci_u32_e64 v96, null, s13, v63, vcc_lo
	v_lshlrev_b64 v[62:63], 4, v[21:22]
	v_add_nc_u32_e32 v21, 3, v94
	v_lshlrev_b64 v[64:65], 4, v[21:22]
	v_add_co_u32 v66, vcc_lo, s12, v62
	v_add_co_ci_u32_e64 v67, null, s13, v63, vcc_lo
	v_add_nc_u32_e32 v21, -8, v20
	v_add_co_u32 v70, vcc_lo, s14, v64
	v_add_co_ci_u32_e64 v71, null, s15, v65, vcc_lo
	s_clause 0x1
	global_load_dwordx4 v[62:65], v[66:67], off offset:16
	global_load_dwordx4 v[66:69], v[66:67], off
	global_load_dwordx4 v[70:73], v[70:71], off
	v_lshlrev_b64 v[74:75], 4, v[21:22]
	v_add_nc_u32_e32 v21, 4, v94
	v_lshlrev_b64 v[76:77], 4, v[21:22]
	v_add_co_u32 v78, vcc_lo, s12, v74
	v_add_co_ci_u32_e64 v79, null, s13, v75, vcc_lo
	v_add_nc_u32_e32 v21, -6, v20
	v_add_co_u32 v82, vcc_lo, s14, v76
	v_add_co_ci_u32_e64 v83, null, s15, v77, vcc_lo
	s_clause 0x1
	global_load_dwordx4 v[74:77], v[78:79], off offset:16
	global_load_dwordx4 v[78:81], v[78:79], off
	v_lshlrev_b64 v[86:87], 4, v[21:22]
	v_add_nc_u32_e32 v21, 5, v94
	global_load_dwordx4 v[82:85], v[82:83], off
	v_lshlrev_b64 v[88:89], 4, v[21:22]
	v_add_co_u32 v90, vcc_lo, s12, v86
	v_add_co_ci_u32_e64 v91, null, s13, v87, vcc_lo
	v_add_nc_u32_e32 v21, -4, v20
	v_add_co_u32 v99, vcc_lo, s14, v88
	v_add_co_ci_u32_e64 v100, null, s15, v89, vcc_lo
	s_clause 0x1
	global_load_dwordx4 v[86:89], v[90:91], off offset:16
	global_load_dwordx4 v[90:93], v[90:91], off
	v_lshlrev_b64 v[97:98], 4, v[21:22]
	v_add_nc_u32_e32 v21, 6, v94
	s_waitcnt vmcnt(12)
	v_fma_f64 v[18:19], v[30:31], v[42:43], v[18:19]
	v_fma_f64 v[14:15], v[32:33], v[42:43], v[14:15]
	;; [unrolled: 1-line block ×4, first 2 shown]
	v_fma_f64 v[101:102], -v[32:33], v[44:45], v[18:19]
	v_fma_f64 v[103:104], v[30:31], v[44:45], v[14:15]
	global_load_dwordx4 v[30:33], v[99:100], off
	v_fma_f64 v[42:43], -v[28:29], v[44:45], v[11:12]
	v_lshlrev_b64 v[14:15], 4, v[21:22]
	v_add_co_u32 v18, vcc_lo, s12, v97
	v_add_co_ci_u32_e64 v19, null, s13, v98, vcc_lo
	v_fma_f64 v[44:45], v[26:27], v[44:45], v[16:17]
	v_add_co_u32 v26, vcc_lo, s14, v14
	v_add_co_ci_u32_e64 v27, null, s15, v15, vcc_lo
	s_clause 0x1
	global_load_dwordx4 v[11:14], v[18:19], off offset:16
	global_load_dwordx4 v[15:18], v[18:19], off
	v_add_nc_u32_e32 v21, -2, v20
	v_add_nc_u32_e32 v20, 0x120, v20
	v_lshlrev_b64 v[97:98], 4, v[21:22]
	s_waitcnt vmcnt(14)
	v_fma_f64 v[28:29], v[38:39], v[46:47], v[101:102]
	v_fma_f64 v[101:102], v[40:41], v[46:47], v[103:104]
	v_add_nc_u32_e32 v21, 7, v94
	v_fma_f64 v[103:104], -v[40:41], v[48:49], v[28:29]
	global_load_dwordx4 v[26:29], v[26:27], off
	v_fma_f64 v[101:102], v[38:39], v[48:49], v[101:102]
	v_fma_f64 v[40:41], v[34:35], v[46:47], v[42:43]
	;; [unrolled: 1-line block ×3, first 2 shown]
	v_lshlrev_b64 v[99:100], 4, v[21:22]
	v_add_co_u32 v38, vcc_lo, s12, v97
	v_add_co_ci_u32_e64 v39, null, s13, v98, vcc_lo
	v_add_nc_u32_e32 v21, 8, v94
	v_add_co_u32 v97, vcc_lo, s14, v99
	v_add_co_ci_u32_e64 v98, null, s15, v100, vcc_lo
	v_lshlrev_b64 v[99:100], 4, v[21:22]
	v_add_co_u32 v99, vcc_lo, s14, v99
	s_waitcnt vmcnt(12)
	v_fma_f64 v[46:47], v[54:55], v[58:59], v[103:104]
	v_add_co_ci_u32_e64 v100, null, s15, v100, vcc_lo
	v_fma_f64 v[105:106], -v[36:37], v[48:49], v[40:41]
	v_fma_f64 v[107:108], v[34:35], v[48:49], v[42:43]
	s_clause 0x1
	global_load_dwordx4 v[34:37], v[38:39], off offset:16
	global_load_dwordx4 v[38:41], v[38:39], off
	global_load_dwordx4 v[42:45], v[97:98], off
	v_fma_f64 v[48:49], v[56:57], v[58:59], v[101:102]
	v_cmp_ge_i32_e32 vcc_lo, v23, v25
	s_or_b32 s3, vcc_lo, s3
	v_fma_f64 v[97:98], -v[56:57], v[60:61], v[46:47]
	v_fma_f64 v[56:57], v[52:53], v[58:59], v[107:108]
	v_fma_f64 v[101:102], v[54:55], v[60:61], v[48:49]
	;; [unrolled: 1-line block ×3, first 2 shown]
	global_load_dwordx4 v[46:49], v[95:96], off offset:16
	v_fma_f64 v[58:59], -v[52:53], v[60:61], v[54:55]
	v_fma_f64 v[60:61], v[50:51], v[60:61], v[56:57]
	global_load_dwordx4 v[50:53], v[95:96], off
	global_load_dwordx4 v[54:57], v[99:100], off
	s_waitcnt vmcnt(15)
	v_fma_f64 v[94:95], v[66:67], v[70:71], v[97:98]
	v_fma_f64 v[96:97], v[68:69], v[70:71], v[101:102]
	v_fma_f64 v[58:59], v[62:63], v[70:71], v[58:59]
	v_fma_f64 v[60:61], v[64:65], v[70:71], v[60:61]
	v_fma_f64 v[68:69], -v[68:69], v[72:73], v[94:95]
	v_fma_f64 v[66:67], v[66:67], v[72:73], v[96:97]
	v_fma_f64 v[58:59], -v[64:65], v[72:73], v[58:59]
	v_fma_f64 v[60:61], v[62:63], v[72:73], v[60:61]
	s_waitcnt vmcnt(12)
	v_fma_f64 v[62:63], v[78:79], v[82:83], v[68:69]
	v_fma_f64 v[64:65], v[80:81], v[82:83], v[66:67]
	v_fma_f64 v[58:59], v[74:75], v[82:83], v[58:59]
	v_fma_f64 v[60:61], v[76:77], v[82:83], v[60:61]
	v_fma_f64 v[62:63], -v[80:81], v[84:85], v[62:63]
	v_fma_f64 v[64:65], v[78:79], v[84:85], v[64:65]
	v_fma_f64 v[58:59], -v[76:77], v[84:85], v[58:59]
	v_fma_f64 v[60:61], v[74:75], v[84:85], v[60:61]
	;; [unrolled: 9-line block ×6, first 2 shown]
	s_andn2_b32 exec_lo, exec_lo, s3
	s_cbranch_execnz .LBB265_7
; %bb.8:
	s_or_b32 exec_lo, exec_lo, s3
.LBB265_9:
	s_or_b32 exec_lo, exec_lo, s1
	s_cbranch_execz .LBB265_11
	s_branch .LBB265_16
.LBB265_10:
                                        ; implicit-def: $vgpr14_vgpr15
                                        ; implicit-def: $vgpr18_vgpr19
                                        ; implicit-def: $vgpr12_vgpr13
                                        ; implicit-def: $vgpr16_vgpr17
.LBB265_11:
	v_mov_b32_e32 v14, 0
	v_mov_b32_e32 v18, 0
	;; [unrolled: 1-line block ×8, first 2 shown]
	s_and_saveexec_b32 s1, s0
	s_cbranch_execz .LBB265_15
; %bb.12:
	v_mad_u64_u32 v[20:21], null, v10, 18, 17
	v_mov_b32_e32 v14, 0
	v_mov_b32_e32 v18, 0
	;; [unrolled: 1-line block ×9, first 2 shown]
	s_mov_b32 s0, 0
.LBB265_13:                             ; =>This Inner Loop Header: Depth=1
	v_ashrrev_i32_e32 v11, 31, v10
	v_add_nc_u32_e32 v26, -8, v20
	v_mov_b32_e32 v27, v23
	v_mov_b32_e32 v79, v23
	v_lshlrev_b64 v[21:22], 2, v[10:11]
	v_add_nc_u32_e32 v10, 16, v10
	v_lshlrev_b64 v[26:27], 4, v[26:27]
	v_add_co_u32 v21, vcc_lo, s10, v21
	v_add_co_ci_u32_e64 v22, null, s11, v22, vcc_lo
	global_load_dword v11, v[21:22], off
	v_subrev_nc_u32_e32 v22, 17, v20
	v_mov_b32_e32 v21, v23
	v_lshlrev_b64 v[28:29], 4, v[22:23]
	v_lshlrev_b64 v[21:22], 4, v[20:21]
	v_add_co_u32 v30, vcc_lo, s12, v28
	v_add_co_ci_u32_e64 v31, null, s13, v29, vcc_lo
	v_add_co_u32 v34, vcc_lo, s12, v26
	v_add_co_ci_u32_e64 v35, null, s13, v27, vcc_lo
	;; [unrolled: 2-line block ×3, first 2 shown]
	s_clause 0x2
	global_load_dwordx4 v[26:29], v[30:31], off offset:16
	global_load_dwordx4 v[30:33], v[30:31], off
	global_load_dwordx4 v[34:37], v[34:35], off
	s_waitcnt vmcnt(3)
	v_subrev_nc_u32_e32 v11, s2, v11
	v_lshl_add_u32 v78, v11, 3, v11
	v_lshlrev_b64 v[38:39], 4, v[78:79]
	v_add_nc_u32_e32 v22, 1, v78
	v_lshlrev_b64 v[42:43], 4, v[22:23]
	v_add_co_u32 v38, vcc_lo, s14, v38
	v_add_co_ci_u32_e64 v39, null, s15, v39, vcc_lo
	v_add_nc_u32_e32 v22, -7, v20
	v_add_co_u32 v42, vcc_lo, s14, v42
	global_load_dwordx4 v[38:41], v[38:39], off
	v_add_co_ci_u32_e64 v43, null, s15, v43, vcc_lo
	v_lshlrev_b64 v[46:47], 4, v[22:23]
	v_add_nc_u32_e32 v22, -15, v20
	global_load_dwordx4 v[42:45], v[42:43], off
	v_add_co_u32 v46, vcc_lo, s12, v46
	v_add_co_ci_u32_e64 v47, null, s13, v47, vcc_lo
	v_lshlrev_b64 v[50:51], 4, v[22:23]
	v_add_nc_u32_e32 v22, 2, v78
	global_load_dwordx4 v[46:49], v[46:47], off
	v_lshlrev_b64 v[52:53], 4, v[22:23]
	v_add_nc_u32_e32 v22, -6, v20
	v_add_co_u32 v50, vcc_lo, s12, v50
	v_add_co_ci_u32_e64 v51, null, s13, v51, vcc_lo
	v_add_co_u32 v54, vcc_lo, s14, v52
	v_lshlrev_b64 v[58:59], 4, v[22:23]
	v_add_co_ci_u32_e64 v55, null, s15, v53, vcc_lo
	global_load_dwordx4 v[50:53], v[50:51], off
	v_add_nc_u32_e32 v22, -14, v20
	global_load_dwordx4 v[54:57], v[54:55], off
	v_add_co_u32 v58, vcc_lo, s12, v58
	v_add_co_ci_u32_e64 v59, null, s13, v59, vcc_lo
	v_lshlrev_b64 v[62:63], 4, v[22:23]
	v_add_nc_u32_e32 v22, 3, v78
	global_load_dwordx4 v[58:61], v[58:59], off
	v_lshlrev_b64 v[64:65], 4, v[22:23]
	v_add_co_u32 v62, vcc_lo, s12, v62
	v_add_co_ci_u32_e64 v63, null, s13, v63, vcc_lo
	v_add_nc_u32_e32 v22, -5, v20
	v_add_co_u32 v66, vcc_lo, s14, v64
	v_add_co_ci_u32_e64 v67, null, s15, v65, vcc_lo
	global_load_dwordx4 v[62:65], v[62:63], off
	v_lshlrev_b64 v[70:71], 4, v[22:23]
	v_add_nc_u32_e32 v22, -13, v20
	global_load_dwordx4 v[66:69], v[66:67], off
	v_add_co_u32 v70, vcc_lo, s12, v70
	v_add_co_ci_u32_e64 v71, null, s13, v71, vcc_lo
	v_lshlrev_b64 v[74:75], 4, v[22:23]
	v_add_nc_u32_e32 v22, 4, v78
	global_load_dwordx4 v[70:73], v[70:71], off
	v_lshlrev_b64 v[76:77], 4, v[22:23]
	v_add_nc_u32_e32 v22, -4, v20
	v_add_co_u32 v74, vcc_lo, s12, v74
	v_add_co_ci_u32_e64 v75, null, s13, v75, vcc_lo
	v_lshlrev_b64 v[82:83], 4, v[22:23]
	v_add_nc_u32_e32 v22, -12, v20
	v_add_co_u32 v84, vcc_lo, s14, v76
	v_add_co_ci_u32_e64 v85, null, s15, v77, vcc_lo
	global_load_dwordx4 v[74:77], v[74:75], off
	s_waitcnt vmcnt(9)
	v_fma_f64 v[11:12], v[34:35], v[38:39], v[12:13]
	v_fma_f64 v[16:17], v[36:37], v[38:39], v[16:17]
	;; [unrolled: 1-line block ×4, first 2 shown]
	v_fma_f64 v[36:37], -v[36:37], v[40:41], v[11:12]
	v_fma_f64 v[34:35], v[34:35], v[40:41], v[16:17]
	v_fma_f64 v[88:89], v[30:31], v[40:41], v[14:15]
	v_lshlrev_b64 v[14:15], 4, v[22:23]
	v_add_nc_u32_e32 v22, 5, v78
	v_fma_f64 v[86:87], -v[32:33], v[40:41], v[18:19]
	v_add_co_u32 v18, vcc_lo, s12, v82
	v_add_co_ci_u32_e64 v19, null, s13, v83, vcc_lo
	v_lshlrev_b64 v[16:17], 4, v[22:23]
	v_add_nc_u32_e32 v22, -3, v20
	global_load_dwordx4 v[30:33], v[84:85], off
	v_add_co_u32 v38, vcc_lo, s12, v14
	global_load_dwordx4 v[11:14], v[18:19], off
	v_lshlrev_b64 v[40:41], 4, v[22:23]
	v_add_co_ci_u32_e64 v39, null, s13, v15, vcc_lo
	v_add_co_u32 v82, vcc_lo, s14, v16
	v_add_co_ci_u32_e64 v83, null, s15, v17, vcc_lo
	s_waitcnt vmcnt(9)
	v_fma_f64 v[36:37], v[46:47], v[42:43], v[36:37]
	v_fma_f64 v[34:35], v[48:49], v[42:43], v[34:35]
	v_add_co_u32 v40, vcc_lo, s12, v40
	v_add_co_ci_u32_e64 v41, null, s13, v41, vcc_lo
	v_fma_f64 v[84:85], v[28:29], v[42:43], v[88:89]
	v_add_nc_u32_e32 v22, -11, v20
	v_fma_f64 v[48:49], -v[48:49], v[44:45], v[36:37]
	v_fma_f64 v[46:47], v[46:47], v[44:45], v[34:35]
	s_clause 0x1
	global_load_dwordx4 v[34:37], v[40:41], off
	global_load_dwordx4 v[15:18], v[38:39], off
	v_fma_f64 v[38:39], v[26:27], v[42:43], v[86:87]
	v_fma_f64 v[84:85], v[26:27], v[44:45], v[84:85]
	s_waitcnt vmcnt(8)
	v_fma_f64 v[48:49], v[58:59], v[54:55], v[48:49]
	v_fma_f64 v[46:47], v[60:61], v[54:55], v[46:47]
	v_fma_f64 v[86:87], -v[28:29], v[44:45], v[38:39]
	global_load_dwordx4 v[26:29], v[82:83], off
	v_lshlrev_b64 v[38:39], 4, v[22:23]
	v_add_nc_u32_e32 v22, 6, v78
	v_fma_f64 v[84:85], v[52:53], v[54:55], v[84:85]
	v_lshlrev_b64 v[42:43], 4, v[22:23]
	v_add_nc_u32_e32 v22, -2, v20
	v_add_co_u32 v38, vcc_lo, s12, v38
	v_add_co_ci_u32_e64 v39, null, s13, v39, vcc_lo
	v_lshlrev_b64 v[44:45], 4, v[22:23]
	v_add_co_u32 v42, vcc_lo, s14, v42
	v_add_co_ci_u32_e64 v43, null, s15, v43, vcc_lo
	global_load_dwordx4 v[38:41], v[38:39], off
	v_fma_f64 v[88:89], v[58:59], v[56:57], v[46:47]
	v_add_nc_u32_e32 v22, -10, v20
	v_fma_f64 v[82:83], v[50:51], v[54:55], v[86:87]
	v_fma_f64 v[86:87], -v[60:61], v[56:57], v[48:49]
	v_fma_f64 v[84:85], v[50:51], v[56:57], v[84:85]
	v_lshlrev_b64 v[50:51], 4, v[22:23]
	v_add_nc_u32_e32 v22, 7, v78
	v_lshlrev_b64 v[54:55], 4, v[22:23]
	v_add_nc_u32_e32 v22, -1, v20
	v_lshlrev_b64 v[21:22], 4, v[22:23]
	v_fma_f64 v[82:83], -v[52:53], v[56:57], v[82:83]
	v_add_co_u32 v52, vcc_lo, s12, v44
	v_add_co_ci_u32_e64 v53, null, s13, v45, vcc_lo
	global_load_dwordx4 v[42:45], v[42:43], off
	v_add_co_u32 v50, vcc_lo, s12, v50
	global_load_dwordx4 v[46:49], v[52:53], off
	v_add_co_ci_u32_e64 v51, null, s13, v51, vcc_lo
	v_add_co_u32 v54, vcc_lo, s14, v54
	v_add_co_ci_u32_e64 v55, null, s15, v55, vcc_lo
	global_load_dwordx4 v[50:53], v[50:51], off
	s_waitcnt vmcnt(11)
	v_fma_f64 v[58:59], v[64:65], v[66:67], v[84:85]
	v_add_co_u32 v21, vcc_lo, s12, v21
	v_add_co_ci_u32_e64 v22, null, s13, v22, vcc_lo
	v_fma_f64 v[56:57], v[62:63], v[66:67], v[82:83]
	v_fma_f64 v[84:85], v[62:63], v[68:69], v[58:59]
	s_waitcnt vmcnt(10)
	v_fma_f64 v[62:63], v[72:73], v[66:67], v[88:89]
	v_fma_f64 v[82:83], -v[64:65], v[68:69], v[56:57]
	global_load_dwordx4 v[54:57], v[54:55], off
	global_load_dwordx4 v[58:61], v[21:22], off
	v_fma_f64 v[21:22], v[70:71], v[66:67], v[86:87]
	v_fma_f64 v[88:89], v[70:71], v[68:69], v[62:63]
	global_load_dwordx4 v[62:65], v[80:81], off
	v_fma_f64 v[86:87], -v[72:73], v[68:69], v[21:22]
	v_add_nc_u32_e32 v22, -9, v20
	v_add_nc_u32_e32 v20, 0x120, v20
	v_lshlrev_b64 v[66:67], 4, v[22:23]
	v_add_nc_u32_e32 v22, 8, v78
	v_lshlrev_b64 v[21:22], 4, v[22:23]
	v_add_co_u32 v66, vcc_lo, s12, v66
	v_add_co_ci_u32_e64 v67, null, s13, v67, vcc_lo
	v_add_co_u32 v21, vcc_lo, s14, v21
	v_add_co_ci_u32_e64 v22, null, s15, v22, vcc_lo
	global_load_dwordx4 v[66:69], v[66:67], off
	global_load_dwordx4 v[70:73], v[21:22], off
	v_cmp_ge_i32_e32 vcc_lo, v10, v25
	s_or_b32 s0, vcc_lo, s0
	s_waitcnt vmcnt(13)
	v_fma_f64 v[21:22], v[74:75], v[30:31], v[82:83]
	v_fma_f64 v[78:79], v[76:77], v[30:31], v[84:85]
	s_waitcnt vmcnt(12)
	v_fma_f64 v[80:81], v[11:12], v[30:31], v[86:87]
	v_fma_f64 v[30:31], v[13:14], v[30:31], v[88:89]
	v_fma_f64 v[21:22], -v[76:77], v[32:33], v[21:22]
	v_fma_f64 v[74:75], v[74:75], v[32:33], v[78:79]
	v_fma_f64 v[13:14], -v[13:14], v[32:33], v[80:81]
	v_fma_f64 v[11:12], v[11:12], v[32:33], v[30:31]
	s_waitcnt vmcnt(9)
	v_fma_f64 v[21:22], v[15:16], v[26:27], v[21:22]
	v_fma_f64 v[30:31], v[17:18], v[26:27], v[74:75]
	v_fma_f64 v[13:14], v[34:35], v[26:27], v[13:14]
	v_fma_f64 v[11:12], v[36:37], v[26:27], v[11:12]
	v_fma_f64 v[17:18], -v[17:18], v[28:29], v[21:22]
	v_fma_f64 v[15:16], v[15:16], v[28:29], v[30:31]
	v_fma_f64 v[13:14], -v[36:37], v[28:29], v[13:14]
	v_fma_f64 v[11:12], v[34:35], v[28:29], v[11:12]
	s_waitcnt vmcnt(7)
	v_fma_f64 v[17:18], v[38:39], v[42:43], v[17:18]
	v_fma_f64 v[15:16], v[40:41], v[42:43], v[15:16]
	s_waitcnt vmcnt(6)
	v_fma_f64 v[13:14], v[46:47], v[42:43], v[13:14]
	v_fma_f64 v[11:12], v[48:49], v[42:43], v[11:12]
	v_fma_f64 v[17:18], -v[40:41], v[44:45], v[17:18]
	v_fma_f64 v[15:16], v[38:39], v[44:45], v[15:16]
	v_fma_f64 v[13:14], -v[48:49], v[44:45], v[13:14]
	v_fma_f64 v[11:12], v[46:47], v[44:45], v[11:12]
	s_waitcnt vmcnt(4)
	v_fma_f64 v[17:18], v[50:51], v[54:55], v[17:18]
	v_fma_f64 v[15:16], v[52:53], v[54:55], v[15:16]
	s_waitcnt vmcnt(3)
	v_fma_f64 v[13:14], v[58:59], v[54:55], v[13:14]
	v_fma_f64 v[11:12], v[60:61], v[54:55], v[11:12]
	v_fma_f64 v[17:18], -v[52:53], v[56:57], v[17:18]
	v_fma_f64 v[15:16], v[50:51], v[56:57], v[15:16]
	v_fma_f64 v[13:14], -v[60:61], v[56:57], v[13:14]
	v_fma_f64 v[11:12], v[58:59], v[56:57], v[11:12]
	s_waitcnt vmcnt(0)
	v_fma_f64 v[17:18], v[66:67], v[70:71], v[17:18]
	v_fma_f64 v[15:16], v[68:69], v[70:71], v[15:16]
	;; [unrolled: 1-line block ×4, first 2 shown]
	v_fma_f64 v[18:19], -v[68:69], v[72:73], v[17:18]
	v_fma_f64 v[14:15], v[66:67], v[72:73], v[15:16]
	v_fma_f64 v[12:13], -v[64:65], v[72:73], v[21:22]
	v_fma_f64 v[16:17], v[62:63], v[72:73], v[26:27]
	s_andn2_b32 exec_lo, exec_lo, s0
	s_cbranch_execnz .LBB265_13
; %bb.14:
	s_or_b32 exec_lo, exec_lo, s0
.LBB265_15:
	s_or_b32 exec_lo, exec_lo, s1
.LBB265_16:
	v_mbcnt_lo_u32_b32 v26, -1, 0
	v_xor_b32_e32 v10, 8, v26
	v_cmp_gt_i32_e32 vcc_lo, 32, v10
	v_cndmask_b32_e32 v10, v26, v10, vcc_lo
	v_lshlrev_b32_e32 v25, 2, v10
	ds_bpermute_b32 v10, v25, v18
	ds_bpermute_b32 v11, v25, v19
	ds_bpermute_b32 v20, v25, v14
	ds_bpermute_b32 v21, v25, v15
	ds_bpermute_b32 v22, v25, v12
	ds_bpermute_b32 v23, v25, v13
	ds_bpermute_b32 v24, v25, v16
	ds_bpermute_b32 v25, v25, v17
	s_waitcnt lgkmcnt(6)
	v_add_f64 v[10:11], v[18:19], v[10:11]
	v_xor_b32_e32 v18, 4, v26
	s_waitcnt lgkmcnt(4)
	v_add_f64 v[14:15], v[14:15], v[20:21]
	s_waitcnt lgkmcnt(2)
	v_add_f64 v[12:13], v[12:13], v[22:23]
	;; [unrolled: 2-line block ×3, first 2 shown]
	v_cmp_gt_i32_e32 vcc_lo, 32, v18
	v_cndmask_b32_e32 v18, v26, v18, vcc_lo
	v_lshlrev_b32_e32 v25, 2, v18
	ds_bpermute_b32 v18, v25, v10
	ds_bpermute_b32 v19, v25, v11
	;; [unrolled: 1-line block ×8, first 2 shown]
	s_waitcnt lgkmcnt(6)
	v_add_f64 v[10:11], v[10:11], v[18:19]
	s_waitcnt lgkmcnt(4)
	v_add_f64 v[14:15], v[14:15], v[20:21]
	;; [unrolled: 2-line block ×4, first 2 shown]
	v_xor_b32_e32 v16, 2, v26
	v_cmp_gt_i32_e32 vcc_lo, 32, v16
	v_cndmask_b32_e32 v16, v26, v16, vcc_lo
	v_lshlrev_b32_e32 v25, 2, v16
	ds_bpermute_b32 v16, v25, v10
	ds_bpermute_b32 v17, v25, v11
	;; [unrolled: 1-line block ×8, first 2 shown]
	s_waitcnt lgkmcnt(6)
	v_add_f64 v[10:11], v[10:11], v[16:17]
	s_waitcnt lgkmcnt(4)
	v_add_f64 v[16:17], v[14:15], v[20:21]
	;; [unrolled: 2-line block ×4, first 2 shown]
	v_xor_b32_e32 v18, 1, v26
	v_cmp_gt_i32_e32 vcc_lo, 32, v18
	v_cndmask_b32_e32 v18, v26, v18, vcc_lo
	v_cmp_eq_u32_e32 vcc_lo, 15, v0
	v_lshlrev_b32_e32 v21, 2, v18
	ds_bpermute_b32 v24, v21, v10
	ds_bpermute_b32 v25, v21, v11
	;; [unrolled: 1-line block ×8, first 2 shown]
	s_and_b32 exec_lo, exec_lo, vcc_lo
	s_cbranch_execz .LBB265_21
; %bb.17:
	v_cmp_eq_f64_e32 vcc_lo, 0, v[5:6]
	v_cmp_eq_f64_e64 s0, 0, v[7:8]
	s_waitcnt lgkmcnt(6)
	v_add_f64 v[10:11], v[10:11], v[24:25]
	s_waitcnt lgkmcnt(4)
	v_add_f64 v[16:17], v[16:17], v[22:23]
	;; [unrolled: 2-line block ×4, first 2 shown]
	s_load_dwordx2 s[2:3], s[4:5], 0x48
	s_and_b32 s0, vcc_lo, s0
	s_and_saveexec_b32 s1, s0
	s_xor_b32 s0, exec_lo, s1
	s_cbranch_execz .LBB265_19
; %bb.18:
	v_mul_f64 v[5:6], v[16:17], -v[3:4]
	v_mul_f64 v[7:8], v[1:2], v[16:17]
	v_mul_f64 v[16:17], v[14:15], -v[3:4]
	v_mul_f64 v[14:15], v[1:2], v[14:15]
	v_lshlrev_b32_e32 v9, 1, v9
	v_fma_f64 v[5:6], v[1:2], v[10:11], v[5:6]
	v_fma_f64 v[7:8], v[3:4], v[10:11], v[7:8]
	;; [unrolled: 1-line block ×4, first 2 shown]
	v_ashrrev_i32_e32 v10, 31, v9
                                        ; implicit-def: $vgpr16_vgpr17
                                        ; implicit-def: $vgpr12_vgpr13
                                        ; implicit-def: $vgpr14_vgpr15
	v_lshlrev_b64 v[9:10], 4, v[9:10]
	s_waitcnt lgkmcnt(0)
	v_add_co_u32 v9, vcc_lo, s2, v9
	v_add_co_ci_u32_e64 v10, null, s3, v10, vcc_lo
	global_store_dwordx4 v[9:10], v[5:8], off
	global_store_dwordx4 v[9:10], v[0:3], off offset:16
                                        ; implicit-def: $vgpr9
                                        ; implicit-def: $vgpr10_vgpr11
                                        ; implicit-def: $vgpr7_vgpr8
                                        ; implicit-def: $vgpr3_vgpr4
.LBB265_19:
	s_andn2_saveexec_b32 s0, s0
	s_cbranch_execz .LBB265_21
; %bb.20:
	v_lshlrev_b32_e32 v18, 1, v9
	v_mul_f64 v[28:29], v[16:17], -v[3:4]
	v_mul_f64 v[16:17], v[1:2], v[16:17]
	v_mul_f64 v[30:31], v[14:15], -v[3:4]
	v_mul_f64 v[14:15], v[1:2], v[14:15]
	v_ashrrev_i32_e32 v19, 31, v18
	v_lshlrev_b64 v[18:19], 4, v[18:19]
	s_waitcnt lgkmcnt(0)
	v_add_co_u32 v26, vcc_lo, s2, v18
	v_add_co_ci_u32_e64 v27, null, s3, v19, vcc_lo
	s_clause 0x1
	global_load_dwordx4 v[18:21], v[26:27], off
	global_load_dwordx4 v[22:25], v[26:27], off offset:16
	v_fma_f64 v[28:29], v[1:2], v[10:11], v[28:29]
	v_fma_f64 v[9:10], v[3:4], v[10:11], v[16:17]
	;; [unrolled: 1-line block ×4, first 2 shown]
	s_waitcnt vmcnt(1)
	v_fma_f64 v[11:12], v[5:6], v[18:19], v[28:29]
	v_fma_f64 v[9:10], v[7:8], v[18:19], v[9:10]
	s_waitcnt vmcnt(0)
	v_fma_f64 v[13:14], v[5:6], v[22:23], v[0:1]
	v_fma_f64 v[15:16], v[7:8], v[22:23], v[2:3]
	v_fma_f64 v[0:1], -v[7:8], v[20:21], v[11:12]
	v_fma_f64 v[2:3], v[5:6], v[20:21], v[9:10]
	v_fma_f64 v[7:8], -v[7:8], v[24:25], v[13:14]
	v_fma_f64 v[9:10], v[5:6], v[24:25], v[15:16]
	global_store_dwordx4 v[26:27], v[0:3], off
	global_store_dwordx4 v[26:27], v[7:10], off offset:16
.LBB265_21:
	s_endpgm
	.section	.rodata,"a",@progbits
	.p2align	6, 0x0
	.amdhsa_kernel _ZN9rocsparseL19gebsrmvn_2xn_kernelILj128ELj9ELj16E21rocsparse_complex_numIdEEEvi20rocsparse_direction_NS_24const_host_device_scalarIT2_EEPKiS8_PKS5_SA_S6_PS5_21rocsparse_index_base_b
		.amdhsa_group_segment_fixed_size 0
		.amdhsa_private_segment_fixed_size 0
		.amdhsa_kernarg_size 88
		.amdhsa_user_sgpr_count 6
		.amdhsa_user_sgpr_private_segment_buffer 1
		.amdhsa_user_sgpr_dispatch_ptr 0
		.amdhsa_user_sgpr_queue_ptr 0
		.amdhsa_user_sgpr_kernarg_segment_ptr 1
		.amdhsa_user_sgpr_dispatch_id 0
		.amdhsa_user_sgpr_flat_scratch_init 0
		.amdhsa_user_sgpr_private_segment_size 0
		.amdhsa_wavefront_size32 1
		.amdhsa_uses_dynamic_stack 0
		.amdhsa_system_sgpr_private_segment_wavefront_offset 0
		.amdhsa_system_sgpr_workgroup_id_x 1
		.amdhsa_system_sgpr_workgroup_id_y 0
		.amdhsa_system_sgpr_workgroup_id_z 0
		.amdhsa_system_sgpr_workgroup_info 0
		.amdhsa_system_vgpr_workitem_id 0
		.amdhsa_next_free_vgpr 109
		.amdhsa_next_free_sgpr 16
		.amdhsa_reserve_vcc 1
		.amdhsa_reserve_flat_scratch 0
		.amdhsa_float_round_mode_32 0
		.amdhsa_float_round_mode_16_64 0
		.amdhsa_float_denorm_mode_32 3
		.amdhsa_float_denorm_mode_16_64 3
		.amdhsa_dx10_clamp 1
		.amdhsa_ieee_mode 1
		.amdhsa_fp16_overflow 0
		.amdhsa_workgroup_processor_mode 1
		.amdhsa_memory_ordered 1
		.amdhsa_forward_progress 1
		.amdhsa_shared_vgpr_count 0
		.amdhsa_exception_fp_ieee_invalid_op 0
		.amdhsa_exception_fp_denorm_src 0
		.amdhsa_exception_fp_ieee_div_zero 0
		.amdhsa_exception_fp_ieee_overflow 0
		.amdhsa_exception_fp_ieee_underflow 0
		.amdhsa_exception_fp_ieee_inexact 0
		.amdhsa_exception_int_div_zero 0
	.end_amdhsa_kernel
	.section	.text._ZN9rocsparseL19gebsrmvn_2xn_kernelILj128ELj9ELj16E21rocsparse_complex_numIdEEEvi20rocsparse_direction_NS_24const_host_device_scalarIT2_EEPKiS8_PKS5_SA_S6_PS5_21rocsparse_index_base_b,"axG",@progbits,_ZN9rocsparseL19gebsrmvn_2xn_kernelILj128ELj9ELj16E21rocsparse_complex_numIdEEEvi20rocsparse_direction_NS_24const_host_device_scalarIT2_EEPKiS8_PKS5_SA_S6_PS5_21rocsparse_index_base_b,comdat
.Lfunc_end265:
	.size	_ZN9rocsparseL19gebsrmvn_2xn_kernelILj128ELj9ELj16E21rocsparse_complex_numIdEEEvi20rocsparse_direction_NS_24const_host_device_scalarIT2_EEPKiS8_PKS5_SA_S6_PS5_21rocsparse_index_base_b, .Lfunc_end265-_ZN9rocsparseL19gebsrmvn_2xn_kernelILj128ELj9ELj16E21rocsparse_complex_numIdEEEvi20rocsparse_direction_NS_24const_host_device_scalarIT2_EEPKiS8_PKS5_SA_S6_PS5_21rocsparse_index_base_b
                                        ; -- End function
	.set _ZN9rocsparseL19gebsrmvn_2xn_kernelILj128ELj9ELj16E21rocsparse_complex_numIdEEEvi20rocsparse_direction_NS_24const_host_device_scalarIT2_EEPKiS8_PKS5_SA_S6_PS5_21rocsparse_index_base_b.num_vgpr, 109
	.set _ZN9rocsparseL19gebsrmvn_2xn_kernelILj128ELj9ELj16E21rocsparse_complex_numIdEEEvi20rocsparse_direction_NS_24const_host_device_scalarIT2_EEPKiS8_PKS5_SA_S6_PS5_21rocsparse_index_base_b.num_agpr, 0
	.set _ZN9rocsparseL19gebsrmvn_2xn_kernelILj128ELj9ELj16E21rocsparse_complex_numIdEEEvi20rocsparse_direction_NS_24const_host_device_scalarIT2_EEPKiS8_PKS5_SA_S6_PS5_21rocsparse_index_base_b.numbered_sgpr, 16
	.set _ZN9rocsparseL19gebsrmvn_2xn_kernelILj128ELj9ELj16E21rocsparse_complex_numIdEEEvi20rocsparse_direction_NS_24const_host_device_scalarIT2_EEPKiS8_PKS5_SA_S6_PS5_21rocsparse_index_base_b.num_named_barrier, 0
	.set _ZN9rocsparseL19gebsrmvn_2xn_kernelILj128ELj9ELj16E21rocsparse_complex_numIdEEEvi20rocsparse_direction_NS_24const_host_device_scalarIT2_EEPKiS8_PKS5_SA_S6_PS5_21rocsparse_index_base_b.private_seg_size, 0
	.set _ZN9rocsparseL19gebsrmvn_2xn_kernelILj128ELj9ELj16E21rocsparse_complex_numIdEEEvi20rocsparse_direction_NS_24const_host_device_scalarIT2_EEPKiS8_PKS5_SA_S6_PS5_21rocsparse_index_base_b.uses_vcc, 1
	.set _ZN9rocsparseL19gebsrmvn_2xn_kernelILj128ELj9ELj16E21rocsparse_complex_numIdEEEvi20rocsparse_direction_NS_24const_host_device_scalarIT2_EEPKiS8_PKS5_SA_S6_PS5_21rocsparse_index_base_b.uses_flat_scratch, 0
	.set _ZN9rocsparseL19gebsrmvn_2xn_kernelILj128ELj9ELj16E21rocsparse_complex_numIdEEEvi20rocsparse_direction_NS_24const_host_device_scalarIT2_EEPKiS8_PKS5_SA_S6_PS5_21rocsparse_index_base_b.has_dyn_sized_stack, 0
	.set _ZN9rocsparseL19gebsrmvn_2xn_kernelILj128ELj9ELj16E21rocsparse_complex_numIdEEEvi20rocsparse_direction_NS_24const_host_device_scalarIT2_EEPKiS8_PKS5_SA_S6_PS5_21rocsparse_index_base_b.has_recursion, 0
	.set _ZN9rocsparseL19gebsrmvn_2xn_kernelILj128ELj9ELj16E21rocsparse_complex_numIdEEEvi20rocsparse_direction_NS_24const_host_device_scalarIT2_EEPKiS8_PKS5_SA_S6_PS5_21rocsparse_index_base_b.has_indirect_call, 0
	.section	.AMDGPU.csdata,"",@progbits
; Kernel info:
; codeLenInByte = 4500
; TotalNumSgprs: 18
; NumVgprs: 109
; ScratchSize: 0
; MemoryBound: 0
; FloatMode: 240
; IeeeMode: 1
; LDSByteSize: 0 bytes/workgroup (compile time only)
; SGPRBlocks: 0
; VGPRBlocks: 13
; NumSGPRsForWavesPerEU: 18
; NumVGPRsForWavesPerEU: 109
; Occupancy: 9
; WaveLimiterHint : 1
; COMPUTE_PGM_RSRC2:SCRATCH_EN: 0
; COMPUTE_PGM_RSRC2:USER_SGPR: 6
; COMPUTE_PGM_RSRC2:TRAP_HANDLER: 0
; COMPUTE_PGM_RSRC2:TGID_X_EN: 1
; COMPUTE_PGM_RSRC2:TGID_Y_EN: 0
; COMPUTE_PGM_RSRC2:TGID_Z_EN: 0
; COMPUTE_PGM_RSRC2:TIDIG_COMP_CNT: 0
	.section	.text._ZN9rocsparseL19gebsrmvn_2xn_kernelILj128ELj9ELj32E21rocsparse_complex_numIdEEEvi20rocsparse_direction_NS_24const_host_device_scalarIT2_EEPKiS8_PKS5_SA_S6_PS5_21rocsparse_index_base_b,"axG",@progbits,_ZN9rocsparseL19gebsrmvn_2xn_kernelILj128ELj9ELj32E21rocsparse_complex_numIdEEEvi20rocsparse_direction_NS_24const_host_device_scalarIT2_EEPKiS8_PKS5_SA_S6_PS5_21rocsparse_index_base_b,comdat
	.globl	_ZN9rocsparseL19gebsrmvn_2xn_kernelILj128ELj9ELj32E21rocsparse_complex_numIdEEEvi20rocsparse_direction_NS_24const_host_device_scalarIT2_EEPKiS8_PKS5_SA_S6_PS5_21rocsparse_index_base_b ; -- Begin function _ZN9rocsparseL19gebsrmvn_2xn_kernelILj128ELj9ELj32E21rocsparse_complex_numIdEEEvi20rocsparse_direction_NS_24const_host_device_scalarIT2_EEPKiS8_PKS5_SA_S6_PS5_21rocsparse_index_base_b
	.p2align	8
	.type	_ZN9rocsparseL19gebsrmvn_2xn_kernelILj128ELj9ELj32E21rocsparse_complex_numIdEEEvi20rocsparse_direction_NS_24const_host_device_scalarIT2_EEPKiS8_PKS5_SA_S6_PS5_21rocsparse_index_base_b,@function
_ZN9rocsparseL19gebsrmvn_2xn_kernelILj128ELj9ELj32E21rocsparse_complex_numIdEEEvi20rocsparse_direction_NS_24const_host_device_scalarIT2_EEPKiS8_PKS5_SA_S6_PS5_21rocsparse_index_base_b: ; @_ZN9rocsparseL19gebsrmvn_2xn_kernelILj128ELj9ELj32E21rocsparse_complex_numIdEEEvi20rocsparse_direction_NS_24const_host_device_scalarIT2_EEPKiS8_PKS5_SA_S6_PS5_21rocsparse_index_base_b
; %bb.0:
	s_clause 0x1
	s_load_dwordx2 s[2:3], s[4:5], 0x50
	s_load_dwordx2 s[0:1], s[4:5], 0x8
	s_add_u32 s7, s4, 8
	s_addc_u32 s10, s5, 0
	s_add_u32 s11, s4, 56
	s_addc_u32 s12, s5, 0
	s_load_dwordx2 s[8:9], s[4:5], 0x38
	s_waitcnt lgkmcnt(0)
	s_bitcmp1_b32 s3, 0
	s_cselect_b32 s0, s7, s0
	s_cselect_b32 s1, s10, s1
	v_mov_b32_e32 v1, s0
	v_mov_b32_e32 v2, s1
	s_cselect_b32 s0, s11, s8
	s_cselect_b32 s1, s12, s9
	v_mov_b32_e32 v5, s0
	v_mov_b32_e32 v6, s1
	flat_load_dwordx4 v[1:4], v[1:2]
	flat_load_dwordx4 v[5:8], v[5:6]
	s_waitcnt vmcnt(1) lgkmcnt(1)
	v_cmp_eq_f64_e32 vcc_lo, 0, v[1:2]
	v_cmp_eq_f64_e64 s0, 0, v[3:4]
	s_and_b32 s3, vcc_lo, s0
	s_mov_b32 s0, -1
	s_and_saveexec_b32 s1, s3
	s_cbranch_execz .LBB266_2
; %bb.1:
	s_waitcnt vmcnt(0) lgkmcnt(0)
	v_cmp_neq_f64_e32 vcc_lo, 1.0, v[5:6]
	v_cmp_neq_f64_e64 s0, 0, v[7:8]
	s_or_b32 s0, vcc_lo, s0
	s_orn2_b32 s0, s0, exec_lo
.LBB266_2:
	s_or_b32 exec_lo, exec_lo, s1
	s_and_saveexec_b32 s1, s0
	s_cbranch_execz .LBB266_21
; %bb.3:
	s_load_dwordx2 s[0:1], s[4:5], 0x0
	v_lshrrev_b32_e32 v9, 5, v0
	v_lshl_or_b32 v9, s6, 2, v9
	s_waitcnt lgkmcnt(0)
	v_cmp_gt_i32_e32 vcc_lo, s0, v9
	s_and_b32 exec_lo, exec_lo, vcc_lo
	s_cbranch_execz .LBB266_21
; %bb.4:
	s_load_dwordx8 s[8:15], s[4:5], 0x18
	v_ashrrev_i32_e32 v10, 31, v9
	v_and_b32_e32 v0, 31, v0
	s_cmp_lg_u32 s1, 0
	v_lshlrev_b64 v[10:11], 2, v[9:10]
	s_waitcnt lgkmcnt(0)
	v_add_co_u32 v10, vcc_lo, s8, v10
	v_add_co_ci_u32_e64 v11, null, s9, v11, vcc_lo
	global_load_dwordx2 v[10:11], v[10:11], off
	s_waitcnt vmcnt(0)
	v_subrev_nc_u32_e32 v10, s2, v10
	v_subrev_nc_u32_e32 v25, s2, v11
	v_add_nc_u32_e32 v10, v10, v0
	v_cmp_lt_i32_e64 s0, v10, v25
	s_cbranch_scc0 .LBB266_10
; %bb.5:
	v_mov_b32_e32 v14, 0
	v_mov_b32_e32 v18, 0
	;; [unrolled: 1-line block ×8, first 2 shown]
	s_and_saveexec_b32 s1, s0
	s_cbranch_execz .LBB266_9
; %bb.6:
	v_mad_u64_u32 v[20:21], null, v10, 18, 16
	v_mov_b32_e32 v14, 0
	v_mov_b32_e32 v18, 0
	;; [unrolled: 1-line block ×10, first 2 shown]
	s_mov_b32 s3, 0
.LBB266_7:                              ; =>This Inner Loop Header: Depth=1
	v_ashrrev_i32_e32 v24, 31, v23
	v_add_nc_u32_e32 v21, -16, v20
	v_mov_b32_e32 v95, v22
	v_lshlrev_b64 v[26:27], 2, v[23:24]
	v_add_nc_u32_e32 v23, 32, v23
	v_add_co_u32 v26, vcc_lo, s10, v26
	v_add_co_ci_u32_e64 v27, null, s11, v27, vcc_lo
	global_load_dword v11, v[26:27], off
	v_lshlrev_b64 v[26:27], 4, v[21:22]
	v_add_nc_u32_e32 v21, -14, v20
	v_lshlrev_b64 v[28:29], 4, v[21:22]
	v_add_co_u32 v30, vcc_lo, s12, v26
	v_add_co_ci_u32_e64 v31, null, s13, v27, vcc_lo
	v_add_co_u32 v38, vcc_lo, s12, v28
	v_add_co_ci_u32_e64 v39, null, s13, v29, vcc_lo
	s_clause 0x3
	global_load_dwordx4 v[26:29], v[30:31], off offset:16
	global_load_dwordx4 v[30:33], v[30:31], off
	global_load_dwordx4 v[34:37], v[38:39], off offset:16
	global_load_dwordx4 v[38:41], v[38:39], off
	s_waitcnt vmcnt(4)
	v_subrev_nc_u32_e32 v11, s2, v11
	v_lshl_add_u32 v94, v11, 3, v11
	v_lshlrev_b64 v[42:43], 4, v[94:95]
	v_add_nc_u32_e32 v21, 1, v94
	v_lshlrev_b64 v[46:47], 4, v[21:22]
	v_add_co_u32 v42, vcc_lo, s14, v42
	v_add_co_ci_u32_e64 v43, null, s15, v43, vcc_lo
	v_add_nc_u32_e32 v21, -12, v20
	v_add_co_u32 v46, vcc_lo, s14, v46
	global_load_dwordx4 v[42:45], v[42:43], off
	v_add_co_ci_u32_e64 v47, null, s15, v47, vcc_lo
	v_lshlrev_b64 v[50:51], 4, v[21:22]
	v_add_nc_u32_e32 v21, 2, v94
	global_load_dwordx4 v[46:49], v[46:47], off
	v_lshlrev_b64 v[52:53], 4, v[21:22]
	v_add_co_u32 v54, vcc_lo, s12, v50
	v_add_co_ci_u32_e64 v55, null, s13, v51, vcc_lo
	v_mov_b32_e32 v21, v22
	v_add_co_u32 v58, vcc_lo, s14, v52
	v_add_co_ci_u32_e64 v59, null, s15, v53, vcc_lo
	s_clause 0x1
	global_load_dwordx4 v[50:53], v[54:55], off offset:16
	global_load_dwordx4 v[54:57], v[54:55], off
	global_load_dwordx4 v[58:61], v[58:59], off
	v_lshlrev_b64 v[62:63], 4, v[20:21]
	v_add_nc_u32_e32 v21, -10, v20
	v_add_co_u32 v95, vcc_lo, s12, v62
	v_add_co_ci_u32_e64 v96, null, s13, v63, vcc_lo
	v_lshlrev_b64 v[62:63], 4, v[21:22]
	v_add_nc_u32_e32 v21, 3, v94
	v_lshlrev_b64 v[64:65], 4, v[21:22]
	v_add_co_u32 v66, vcc_lo, s12, v62
	v_add_co_ci_u32_e64 v67, null, s13, v63, vcc_lo
	v_add_nc_u32_e32 v21, -8, v20
	v_add_co_u32 v70, vcc_lo, s14, v64
	v_add_co_ci_u32_e64 v71, null, s15, v65, vcc_lo
	s_clause 0x1
	global_load_dwordx4 v[62:65], v[66:67], off offset:16
	global_load_dwordx4 v[66:69], v[66:67], off
	global_load_dwordx4 v[70:73], v[70:71], off
	v_lshlrev_b64 v[74:75], 4, v[21:22]
	v_add_nc_u32_e32 v21, 4, v94
	v_lshlrev_b64 v[76:77], 4, v[21:22]
	v_add_co_u32 v78, vcc_lo, s12, v74
	v_add_co_ci_u32_e64 v79, null, s13, v75, vcc_lo
	v_add_nc_u32_e32 v21, -6, v20
	v_add_co_u32 v82, vcc_lo, s14, v76
	v_add_co_ci_u32_e64 v83, null, s15, v77, vcc_lo
	s_clause 0x1
	global_load_dwordx4 v[74:77], v[78:79], off offset:16
	global_load_dwordx4 v[78:81], v[78:79], off
	v_lshlrev_b64 v[86:87], 4, v[21:22]
	v_add_nc_u32_e32 v21, 5, v94
	global_load_dwordx4 v[82:85], v[82:83], off
	v_lshlrev_b64 v[88:89], 4, v[21:22]
	v_add_co_u32 v90, vcc_lo, s12, v86
	v_add_co_ci_u32_e64 v91, null, s13, v87, vcc_lo
	v_add_nc_u32_e32 v21, -4, v20
	v_add_co_u32 v99, vcc_lo, s14, v88
	v_add_co_ci_u32_e64 v100, null, s15, v89, vcc_lo
	s_clause 0x1
	global_load_dwordx4 v[86:89], v[90:91], off offset:16
	global_load_dwordx4 v[90:93], v[90:91], off
	v_lshlrev_b64 v[97:98], 4, v[21:22]
	v_add_nc_u32_e32 v21, 6, v94
	s_waitcnt vmcnt(12)
	v_fma_f64 v[18:19], v[30:31], v[42:43], v[18:19]
	v_fma_f64 v[14:15], v[32:33], v[42:43], v[14:15]
	;; [unrolled: 1-line block ×4, first 2 shown]
	v_fma_f64 v[101:102], -v[32:33], v[44:45], v[18:19]
	v_fma_f64 v[103:104], v[30:31], v[44:45], v[14:15]
	global_load_dwordx4 v[30:33], v[99:100], off
	v_fma_f64 v[42:43], -v[28:29], v[44:45], v[11:12]
	v_lshlrev_b64 v[14:15], 4, v[21:22]
	v_add_co_u32 v18, vcc_lo, s12, v97
	v_add_co_ci_u32_e64 v19, null, s13, v98, vcc_lo
	v_fma_f64 v[44:45], v[26:27], v[44:45], v[16:17]
	v_add_co_u32 v26, vcc_lo, s14, v14
	v_add_co_ci_u32_e64 v27, null, s15, v15, vcc_lo
	s_clause 0x1
	global_load_dwordx4 v[11:14], v[18:19], off offset:16
	global_load_dwordx4 v[15:18], v[18:19], off
	v_add_nc_u32_e32 v21, -2, v20
	v_add_nc_u32_e32 v20, 0x240, v20
	v_lshlrev_b64 v[97:98], 4, v[21:22]
	s_waitcnt vmcnt(14)
	v_fma_f64 v[28:29], v[38:39], v[46:47], v[101:102]
	v_fma_f64 v[101:102], v[40:41], v[46:47], v[103:104]
	v_add_nc_u32_e32 v21, 7, v94
	v_fma_f64 v[103:104], -v[40:41], v[48:49], v[28:29]
	global_load_dwordx4 v[26:29], v[26:27], off
	v_fma_f64 v[101:102], v[38:39], v[48:49], v[101:102]
	v_fma_f64 v[40:41], v[34:35], v[46:47], v[42:43]
	;; [unrolled: 1-line block ×3, first 2 shown]
	v_lshlrev_b64 v[99:100], 4, v[21:22]
	v_add_co_u32 v38, vcc_lo, s12, v97
	v_add_co_ci_u32_e64 v39, null, s13, v98, vcc_lo
	v_add_nc_u32_e32 v21, 8, v94
	v_add_co_u32 v97, vcc_lo, s14, v99
	v_add_co_ci_u32_e64 v98, null, s15, v100, vcc_lo
	v_lshlrev_b64 v[99:100], 4, v[21:22]
	v_add_co_u32 v99, vcc_lo, s14, v99
	s_waitcnt vmcnt(12)
	v_fma_f64 v[46:47], v[54:55], v[58:59], v[103:104]
	v_add_co_ci_u32_e64 v100, null, s15, v100, vcc_lo
	v_fma_f64 v[105:106], -v[36:37], v[48:49], v[40:41]
	v_fma_f64 v[107:108], v[34:35], v[48:49], v[42:43]
	s_clause 0x1
	global_load_dwordx4 v[34:37], v[38:39], off offset:16
	global_load_dwordx4 v[38:41], v[38:39], off
	global_load_dwordx4 v[42:45], v[97:98], off
	v_fma_f64 v[48:49], v[56:57], v[58:59], v[101:102]
	v_cmp_ge_i32_e32 vcc_lo, v23, v25
	s_or_b32 s3, vcc_lo, s3
	v_fma_f64 v[97:98], -v[56:57], v[60:61], v[46:47]
	v_fma_f64 v[56:57], v[52:53], v[58:59], v[107:108]
	v_fma_f64 v[101:102], v[54:55], v[60:61], v[48:49]
	;; [unrolled: 1-line block ×3, first 2 shown]
	global_load_dwordx4 v[46:49], v[95:96], off offset:16
	v_fma_f64 v[58:59], -v[52:53], v[60:61], v[54:55]
	v_fma_f64 v[60:61], v[50:51], v[60:61], v[56:57]
	global_load_dwordx4 v[50:53], v[95:96], off
	global_load_dwordx4 v[54:57], v[99:100], off
	s_waitcnt vmcnt(15)
	v_fma_f64 v[94:95], v[66:67], v[70:71], v[97:98]
	v_fma_f64 v[96:97], v[68:69], v[70:71], v[101:102]
	v_fma_f64 v[58:59], v[62:63], v[70:71], v[58:59]
	v_fma_f64 v[60:61], v[64:65], v[70:71], v[60:61]
	v_fma_f64 v[68:69], -v[68:69], v[72:73], v[94:95]
	v_fma_f64 v[66:67], v[66:67], v[72:73], v[96:97]
	v_fma_f64 v[58:59], -v[64:65], v[72:73], v[58:59]
	v_fma_f64 v[60:61], v[62:63], v[72:73], v[60:61]
	s_waitcnt vmcnt(12)
	v_fma_f64 v[62:63], v[78:79], v[82:83], v[68:69]
	v_fma_f64 v[64:65], v[80:81], v[82:83], v[66:67]
	v_fma_f64 v[58:59], v[74:75], v[82:83], v[58:59]
	v_fma_f64 v[60:61], v[76:77], v[82:83], v[60:61]
	v_fma_f64 v[62:63], -v[80:81], v[84:85], v[62:63]
	v_fma_f64 v[64:65], v[78:79], v[84:85], v[64:65]
	v_fma_f64 v[58:59], -v[76:77], v[84:85], v[58:59]
	v_fma_f64 v[60:61], v[74:75], v[84:85], v[60:61]
	;; [unrolled: 9-line block ×6, first 2 shown]
	s_andn2_b32 exec_lo, exec_lo, s3
	s_cbranch_execnz .LBB266_7
; %bb.8:
	s_or_b32 exec_lo, exec_lo, s3
.LBB266_9:
	s_or_b32 exec_lo, exec_lo, s1
	s_cbranch_execz .LBB266_11
	s_branch .LBB266_16
.LBB266_10:
                                        ; implicit-def: $vgpr14_vgpr15
                                        ; implicit-def: $vgpr18_vgpr19
                                        ; implicit-def: $vgpr12_vgpr13
                                        ; implicit-def: $vgpr16_vgpr17
.LBB266_11:
	v_mov_b32_e32 v14, 0
	v_mov_b32_e32 v18, 0
	;; [unrolled: 1-line block ×8, first 2 shown]
	s_and_saveexec_b32 s1, s0
	s_cbranch_execz .LBB266_15
; %bb.12:
	v_mad_u64_u32 v[20:21], null, v10, 18, 17
	v_mov_b32_e32 v14, 0
	v_mov_b32_e32 v18, 0
	;; [unrolled: 1-line block ×9, first 2 shown]
	s_mov_b32 s0, 0
.LBB266_13:                             ; =>This Inner Loop Header: Depth=1
	v_ashrrev_i32_e32 v11, 31, v10
	v_add_nc_u32_e32 v26, -8, v20
	v_mov_b32_e32 v27, v23
	v_mov_b32_e32 v79, v23
	v_lshlrev_b64 v[21:22], 2, v[10:11]
	v_add_nc_u32_e32 v10, 32, v10
	v_lshlrev_b64 v[26:27], 4, v[26:27]
	v_add_co_u32 v21, vcc_lo, s10, v21
	v_add_co_ci_u32_e64 v22, null, s11, v22, vcc_lo
	global_load_dword v11, v[21:22], off
	v_subrev_nc_u32_e32 v22, 17, v20
	v_mov_b32_e32 v21, v23
	v_lshlrev_b64 v[28:29], 4, v[22:23]
	v_lshlrev_b64 v[21:22], 4, v[20:21]
	v_add_co_u32 v30, vcc_lo, s12, v28
	v_add_co_ci_u32_e64 v31, null, s13, v29, vcc_lo
	v_add_co_u32 v34, vcc_lo, s12, v26
	v_add_co_ci_u32_e64 v35, null, s13, v27, vcc_lo
	v_add_co_u32 v80, vcc_lo, s12, v21
	v_add_co_ci_u32_e64 v81, null, s13, v22, vcc_lo
	s_clause 0x2
	global_load_dwordx4 v[26:29], v[30:31], off offset:16
	global_load_dwordx4 v[30:33], v[30:31], off
	global_load_dwordx4 v[34:37], v[34:35], off
	s_waitcnt vmcnt(3)
	v_subrev_nc_u32_e32 v11, s2, v11
	v_lshl_add_u32 v78, v11, 3, v11
	v_lshlrev_b64 v[38:39], 4, v[78:79]
	v_add_nc_u32_e32 v22, 1, v78
	v_lshlrev_b64 v[42:43], 4, v[22:23]
	v_add_co_u32 v38, vcc_lo, s14, v38
	v_add_co_ci_u32_e64 v39, null, s15, v39, vcc_lo
	v_add_nc_u32_e32 v22, -7, v20
	v_add_co_u32 v42, vcc_lo, s14, v42
	global_load_dwordx4 v[38:41], v[38:39], off
	v_add_co_ci_u32_e64 v43, null, s15, v43, vcc_lo
	v_lshlrev_b64 v[46:47], 4, v[22:23]
	v_add_nc_u32_e32 v22, -15, v20
	global_load_dwordx4 v[42:45], v[42:43], off
	v_add_co_u32 v46, vcc_lo, s12, v46
	v_add_co_ci_u32_e64 v47, null, s13, v47, vcc_lo
	v_lshlrev_b64 v[50:51], 4, v[22:23]
	v_add_nc_u32_e32 v22, 2, v78
	global_load_dwordx4 v[46:49], v[46:47], off
	v_lshlrev_b64 v[52:53], 4, v[22:23]
	v_add_nc_u32_e32 v22, -6, v20
	v_add_co_u32 v50, vcc_lo, s12, v50
	v_add_co_ci_u32_e64 v51, null, s13, v51, vcc_lo
	v_add_co_u32 v54, vcc_lo, s14, v52
	v_lshlrev_b64 v[58:59], 4, v[22:23]
	v_add_co_ci_u32_e64 v55, null, s15, v53, vcc_lo
	global_load_dwordx4 v[50:53], v[50:51], off
	v_add_nc_u32_e32 v22, -14, v20
	global_load_dwordx4 v[54:57], v[54:55], off
	v_add_co_u32 v58, vcc_lo, s12, v58
	v_add_co_ci_u32_e64 v59, null, s13, v59, vcc_lo
	v_lshlrev_b64 v[62:63], 4, v[22:23]
	v_add_nc_u32_e32 v22, 3, v78
	global_load_dwordx4 v[58:61], v[58:59], off
	v_lshlrev_b64 v[64:65], 4, v[22:23]
	v_add_co_u32 v62, vcc_lo, s12, v62
	v_add_co_ci_u32_e64 v63, null, s13, v63, vcc_lo
	v_add_nc_u32_e32 v22, -5, v20
	v_add_co_u32 v66, vcc_lo, s14, v64
	v_add_co_ci_u32_e64 v67, null, s15, v65, vcc_lo
	global_load_dwordx4 v[62:65], v[62:63], off
	v_lshlrev_b64 v[70:71], 4, v[22:23]
	v_add_nc_u32_e32 v22, -13, v20
	global_load_dwordx4 v[66:69], v[66:67], off
	v_add_co_u32 v70, vcc_lo, s12, v70
	v_add_co_ci_u32_e64 v71, null, s13, v71, vcc_lo
	v_lshlrev_b64 v[74:75], 4, v[22:23]
	v_add_nc_u32_e32 v22, 4, v78
	global_load_dwordx4 v[70:73], v[70:71], off
	v_lshlrev_b64 v[76:77], 4, v[22:23]
	v_add_nc_u32_e32 v22, -4, v20
	v_add_co_u32 v74, vcc_lo, s12, v74
	v_add_co_ci_u32_e64 v75, null, s13, v75, vcc_lo
	v_lshlrev_b64 v[82:83], 4, v[22:23]
	v_add_nc_u32_e32 v22, -12, v20
	v_add_co_u32 v84, vcc_lo, s14, v76
	v_add_co_ci_u32_e64 v85, null, s15, v77, vcc_lo
	global_load_dwordx4 v[74:77], v[74:75], off
	s_waitcnt vmcnt(9)
	v_fma_f64 v[11:12], v[34:35], v[38:39], v[12:13]
	v_fma_f64 v[16:17], v[36:37], v[38:39], v[16:17]
	;; [unrolled: 1-line block ×4, first 2 shown]
	v_fma_f64 v[36:37], -v[36:37], v[40:41], v[11:12]
	v_fma_f64 v[34:35], v[34:35], v[40:41], v[16:17]
	v_fma_f64 v[88:89], v[30:31], v[40:41], v[14:15]
	v_lshlrev_b64 v[14:15], 4, v[22:23]
	v_add_nc_u32_e32 v22, 5, v78
	v_fma_f64 v[86:87], -v[32:33], v[40:41], v[18:19]
	v_add_co_u32 v18, vcc_lo, s12, v82
	v_add_co_ci_u32_e64 v19, null, s13, v83, vcc_lo
	v_lshlrev_b64 v[16:17], 4, v[22:23]
	v_add_nc_u32_e32 v22, -3, v20
	global_load_dwordx4 v[30:33], v[84:85], off
	v_add_co_u32 v38, vcc_lo, s12, v14
	global_load_dwordx4 v[11:14], v[18:19], off
	v_lshlrev_b64 v[40:41], 4, v[22:23]
	v_add_co_ci_u32_e64 v39, null, s13, v15, vcc_lo
	v_add_co_u32 v82, vcc_lo, s14, v16
	v_add_co_ci_u32_e64 v83, null, s15, v17, vcc_lo
	s_waitcnt vmcnt(9)
	v_fma_f64 v[36:37], v[46:47], v[42:43], v[36:37]
	v_fma_f64 v[34:35], v[48:49], v[42:43], v[34:35]
	v_add_co_u32 v40, vcc_lo, s12, v40
	v_add_co_ci_u32_e64 v41, null, s13, v41, vcc_lo
	v_fma_f64 v[84:85], v[28:29], v[42:43], v[88:89]
	v_add_nc_u32_e32 v22, -11, v20
	v_fma_f64 v[48:49], -v[48:49], v[44:45], v[36:37]
	v_fma_f64 v[46:47], v[46:47], v[44:45], v[34:35]
	s_clause 0x1
	global_load_dwordx4 v[34:37], v[40:41], off
	global_load_dwordx4 v[15:18], v[38:39], off
	v_fma_f64 v[38:39], v[26:27], v[42:43], v[86:87]
	v_fma_f64 v[84:85], v[26:27], v[44:45], v[84:85]
	s_waitcnt vmcnt(8)
	v_fma_f64 v[48:49], v[58:59], v[54:55], v[48:49]
	v_fma_f64 v[46:47], v[60:61], v[54:55], v[46:47]
	v_fma_f64 v[86:87], -v[28:29], v[44:45], v[38:39]
	global_load_dwordx4 v[26:29], v[82:83], off
	v_lshlrev_b64 v[38:39], 4, v[22:23]
	v_add_nc_u32_e32 v22, 6, v78
	v_fma_f64 v[84:85], v[52:53], v[54:55], v[84:85]
	v_lshlrev_b64 v[42:43], 4, v[22:23]
	v_add_nc_u32_e32 v22, -2, v20
	v_add_co_u32 v38, vcc_lo, s12, v38
	v_add_co_ci_u32_e64 v39, null, s13, v39, vcc_lo
	v_lshlrev_b64 v[44:45], 4, v[22:23]
	v_add_co_u32 v42, vcc_lo, s14, v42
	v_add_co_ci_u32_e64 v43, null, s15, v43, vcc_lo
	global_load_dwordx4 v[38:41], v[38:39], off
	v_fma_f64 v[88:89], v[58:59], v[56:57], v[46:47]
	v_add_nc_u32_e32 v22, -10, v20
	v_fma_f64 v[82:83], v[50:51], v[54:55], v[86:87]
	v_fma_f64 v[86:87], -v[60:61], v[56:57], v[48:49]
	v_fma_f64 v[84:85], v[50:51], v[56:57], v[84:85]
	v_lshlrev_b64 v[50:51], 4, v[22:23]
	v_add_nc_u32_e32 v22, 7, v78
	v_lshlrev_b64 v[54:55], 4, v[22:23]
	v_add_nc_u32_e32 v22, -1, v20
	v_lshlrev_b64 v[21:22], 4, v[22:23]
	v_fma_f64 v[82:83], -v[52:53], v[56:57], v[82:83]
	v_add_co_u32 v52, vcc_lo, s12, v44
	v_add_co_ci_u32_e64 v53, null, s13, v45, vcc_lo
	global_load_dwordx4 v[42:45], v[42:43], off
	v_add_co_u32 v50, vcc_lo, s12, v50
	global_load_dwordx4 v[46:49], v[52:53], off
	v_add_co_ci_u32_e64 v51, null, s13, v51, vcc_lo
	v_add_co_u32 v54, vcc_lo, s14, v54
	v_add_co_ci_u32_e64 v55, null, s15, v55, vcc_lo
	global_load_dwordx4 v[50:53], v[50:51], off
	s_waitcnt vmcnt(11)
	v_fma_f64 v[58:59], v[64:65], v[66:67], v[84:85]
	v_add_co_u32 v21, vcc_lo, s12, v21
	v_add_co_ci_u32_e64 v22, null, s13, v22, vcc_lo
	v_fma_f64 v[56:57], v[62:63], v[66:67], v[82:83]
	v_fma_f64 v[84:85], v[62:63], v[68:69], v[58:59]
	s_waitcnt vmcnt(10)
	v_fma_f64 v[62:63], v[72:73], v[66:67], v[88:89]
	v_fma_f64 v[82:83], -v[64:65], v[68:69], v[56:57]
	global_load_dwordx4 v[54:57], v[54:55], off
	global_load_dwordx4 v[58:61], v[21:22], off
	v_fma_f64 v[21:22], v[70:71], v[66:67], v[86:87]
	v_fma_f64 v[88:89], v[70:71], v[68:69], v[62:63]
	global_load_dwordx4 v[62:65], v[80:81], off
	v_fma_f64 v[86:87], -v[72:73], v[68:69], v[21:22]
	v_add_nc_u32_e32 v22, -9, v20
	v_add_nc_u32_e32 v20, 0x240, v20
	v_lshlrev_b64 v[66:67], 4, v[22:23]
	v_add_nc_u32_e32 v22, 8, v78
	v_lshlrev_b64 v[21:22], 4, v[22:23]
	v_add_co_u32 v66, vcc_lo, s12, v66
	v_add_co_ci_u32_e64 v67, null, s13, v67, vcc_lo
	v_add_co_u32 v21, vcc_lo, s14, v21
	v_add_co_ci_u32_e64 v22, null, s15, v22, vcc_lo
	global_load_dwordx4 v[66:69], v[66:67], off
	global_load_dwordx4 v[70:73], v[21:22], off
	v_cmp_ge_i32_e32 vcc_lo, v10, v25
	s_or_b32 s0, vcc_lo, s0
	s_waitcnt vmcnt(13)
	v_fma_f64 v[21:22], v[74:75], v[30:31], v[82:83]
	v_fma_f64 v[78:79], v[76:77], v[30:31], v[84:85]
	s_waitcnt vmcnt(12)
	v_fma_f64 v[80:81], v[11:12], v[30:31], v[86:87]
	v_fma_f64 v[30:31], v[13:14], v[30:31], v[88:89]
	v_fma_f64 v[21:22], -v[76:77], v[32:33], v[21:22]
	v_fma_f64 v[74:75], v[74:75], v[32:33], v[78:79]
	v_fma_f64 v[13:14], -v[13:14], v[32:33], v[80:81]
	v_fma_f64 v[11:12], v[11:12], v[32:33], v[30:31]
	s_waitcnt vmcnt(9)
	v_fma_f64 v[21:22], v[15:16], v[26:27], v[21:22]
	v_fma_f64 v[30:31], v[17:18], v[26:27], v[74:75]
	;; [unrolled: 1-line block ×4, first 2 shown]
	v_fma_f64 v[17:18], -v[17:18], v[28:29], v[21:22]
	v_fma_f64 v[15:16], v[15:16], v[28:29], v[30:31]
	v_fma_f64 v[13:14], -v[36:37], v[28:29], v[13:14]
	v_fma_f64 v[11:12], v[34:35], v[28:29], v[11:12]
	s_waitcnt vmcnt(7)
	v_fma_f64 v[17:18], v[38:39], v[42:43], v[17:18]
	v_fma_f64 v[15:16], v[40:41], v[42:43], v[15:16]
	s_waitcnt vmcnt(6)
	v_fma_f64 v[13:14], v[46:47], v[42:43], v[13:14]
	v_fma_f64 v[11:12], v[48:49], v[42:43], v[11:12]
	v_fma_f64 v[17:18], -v[40:41], v[44:45], v[17:18]
	v_fma_f64 v[15:16], v[38:39], v[44:45], v[15:16]
	v_fma_f64 v[13:14], -v[48:49], v[44:45], v[13:14]
	v_fma_f64 v[11:12], v[46:47], v[44:45], v[11:12]
	s_waitcnt vmcnt(4)
	v_fma_f64 v[17:18], v[50:51], v[54:55], v[17:18]
	v_fma_f64 v[15:16], v[52:53], v[54:55], v[15:16]
	s_waitcnt vmcnt(3)
	v_fma_f64 v[13:14], v[58:59], v[54:55], v[13:14]
	v_fma_f64 v[11:12], v[60:61], v[54:55], v[11:12]
	v_fma_f64 v[17:18], -v[52:53], v[56:57], v[17:18]
	v_fma_f64 v[15:16], v[50:51], v[56:57], v[15:16]
	v_fma_f64 v[13:14], -v[60:61], v[56:57], v[13:14]
	v_fma_f64 v[11:12], v[58:59], v[56:57], v[11:12]
	s_waitcnt vmcnt(0)
	v_fma_f64 v[17:18], v[66:67], v[70:71], v[17:18]
	v_fma_f64 v[15:16], v[68:69], v[70:71], v[15:16]
	;; [unrolled: 1-line block ×4, first 2 shown]
	v_fma_f64 v[18:19], -v[68:69], v[72:73], v[17:18]
	v_fma_f64 v[14:15], v[66:67], v[72:73], v[15:16]
	v_fma_f64 v[12:13], -v[64:65], v[72:73], v[21:22]
	v_fma_f64 v[16:17], v[62:63], v[72:73], v[26:27]
	s_andn2_b32 exec_lo, exec_lo, s0
	s_cbranch_execnz .LBB266_13
; %bb.14:
	s_or_b32 exec_lo, exec_lo, s0
.LBB266_15:
	s_or_b32 exec_lo, exec_lo, s1
.LBB266_16:
	v_mbcnt_lo_u32_b32 v26, -1, 0
	v_xor_b32_e32 v10, 16, v26
	v_cmp_gt_i32_e32 vcc_lo, 32, v10
	v_cndmask_b32_e32 v10, v26, v10, vcc_lo
	v_lshlrev_b32_e32 v25, 2, v10
	ds_bpermute_b32 v10, v25, v18
	ds_bpermute_b32 v11, v25, v19
	;; [unrolled: 1-line block ×8, first 2 shown]
	s_waitcnt lgkmcnt(6)
	v_add_f64 v[10:11], v[18:19], v[10:11]
	v_xor_b32_e32 v18, 8, v26
	s_waitcnt lgkmcnt(4)
	v_add_f64 v[14:15], v[14:15], v[20:21]
	s_waitcnt lgkmcnt(2)
	v_add_f64 v[12:13], v[12:13], v[22:23]
	;; [unrolled: 2-line block ×3, first 2 shown]
	v_cmp_gt_i32_e32 vcc_lo, 32, v18
	v_cndmask_b32_e32 v18, v26, v18, vcc_lo
	v_lshlrev_b32_e32 v25, 2, v18
	ds_bpermute_b32 v18, v25, v10
	ds_bpermute_b32 v19, v25, v11
	;; [unrolled: 1-line block ×8, first 2 shown]
	s_waitcnt lgkmcnt(6)
	v_add_f64 v[10:11], v[10:11], v[18:19]
	v_xor_b32_e32 v18, 4, v26
	s_waitcnt lgkmcnt(4)
	v_add_f64 v[14:15], v[14:15], v[20:21]
	s_waitcnt lgkmcnt(2)
	v_add_f64 v[12:13], v[12:13], v[22:23]
	;; [unrolled: 2-line block ×3, first 2 shown]
	v_cmp_gt_i32_e32 vcc_lo, 32, v18
	v_cndmask_b32_e32 v18, v26, v18, vcc_lo
	v_lshlrev_b32_e32 v25, 2, v18
	ds_bpermute_b32 v18, v25, v10
	ds_bpermute_b32 v19, v25, v11
	;; [unrolled: 1-line block ×8, first 2 shown]
	s_waitcnt lgkmcnt(6)
	v_add_f64 v[10:11], v[10:11], v[18:19]
	s_waitcnt lgkmcnt(4)
	v_add_f64 v[14:15], v[14:15], v[20:21]
	;; [unrolled: 2-line block ×4, first 2 shown]
	v_xor_b32_e32 v16, 2, v26
	v_cmp_gt_i32_e32 vcc_lo, 32, v16
	v_cndmask_b32_e32 v16, v26, v16, vcc_lo
	v_lshlrev_b32_e32 v25, 2, v16
	ds_bpermute_b32 v16, v25, v10
	ds_bpermute_b32 v17, v25, v11
	;; [unrolled: 1-line block ×8, first 2 shown]
	s_waitcnt lgkmcnt(6)
	v_add_f64 v[10:11], v[10:11], v[16:17]
	s_waitcnt lgkmcnt(4)
	v_add_f64 v[16:17], v[14:15], v[20:21]
	;; [unrolled: 2-line block ×4, first 2 shown]
	v_xor_b32_e32 v18, 1, v26
	v_cmp_gt_i32_e32 vcc_lo, 32, v18
	v_cndmask_b32_e32 v18, v26, v18, vcc_lo
	v_cmp_eq_u32_e32 vcc_lo, 31, v0
	v_lshlrev_b32_e32 v21, 2, v18
	ds_bpermute_b32 v24, v21, v10
	ds_bpermute_b32 v25, v21, v11
	;; [unrolled: 1-line block ×8, first 2 shown]
	s_and_b32 exec_lo, exec_lo, vcc_lo
	s_cbranch_execz .LBB266_21
; %bb.17:
	v_cmp_eq_f64_e32 vcc_lo, 0, v[5:6]
	v_cmp_eq_f64_e64 s0, 0, v[7:8]
	s_waitcnt lgkmcnt(6)
	v_add_f64 v[10:11], v[10:11], v[24:25]
	s_waitcnt lgkmcnt(4)
	v_add_f64 v[16:17], v[16:17], v[22:23]
	;; [unrolled: 2-line block ×4, first 2 shown]
	s_load_dwordx2 s[2:3], s[4:5], 0x48
	s_and_b32 s0, vcc_lo, s0
	s_and_saveexec_b32 s1, s0
	s_xor_b32 s0, exec_lo, s1
	s_cbranch_execz .LBB266_19
; %bb.18:
	v_mul_f64 v[5:6], v[16:17], -v[3:4]
	v_mul_f64 v[7:8], v[1:2], v[16:17]
	v_mul_f64 v[16:17], v[14:15], -v[3:4]
	v_mul_f64 v[14:15], v[1:2], v[14:15]
	v_lshlrev_b32_e32 v9, 1, v9
	v_fma_f64 v[5:6], v[1:2], v[10:11], v[5:6]
	v_fma_f64 v[7:8], v[3:4], v[10:11], v[7:8]
	;; [unrolled: 1-line block ×4, first 2 shown]
	v_ashrrev_i32_e32 v10, 31, v9
                                        ; implicit-def: $vgpr16_vgpr17
                                        ; implicit-def: $vgpr12_vgpr13
                                        ; implicit-def: $vgpr14_vgpr15
	v_lshlrev_b64 v[9:10], 4, v[9:10]
	s_waitcnt lgkmcnt(0)
	v_add_co_u32 v9, vcc_lo, s2, v9
	v_add_co_ci_u32_e64 v10, null, s3, v10, vcc_lo
	global_store_dwordx4 v[9:10], v[5:8], off
	global_store_dwordx4 v[9:10], v[0:3], off offset:16
                                        ; implicit-def: $vgpr9
                                        ; implicit-def: $vgpr10_vgpr11
                                        ; implicit-def: $vgpr7_vgpr8
                                        ; implicit-def: $vgpr3_vgpr4
.LBB266_19:
	s_andn2_saveexec_b32 s0, s0
	s_cbranch_execz .LBB266_21
; %bb.20:
	v_lshlrev_b32_e32 v18, 1, v9
	v_mul_f64 v[28:29], v[16:17], -v[3:4]
	v_mul_f64 v[16:17], v[1:2], v[16:17]
	v_mul_f64 v[30:31], v[14:15], -v[3:4]
	v_mul_f64 v[14:15], v[1:2], v[14:15]
	v_ashrrev_i32_e32 v19, 31, v18
	v_lshlrev_b64 v[18:19], 4, v[18:19]
	s_waitcnt lgkmcnt(0)
	v_add_co_u32 v26, vcc_lo, s2, v18
	v_add_co_ci_u32_e64 v27, null, s3, v19, vcc_lo
	s_clause 0x1
	global_load_dwordx4 v[18:21], v[26:27], off
	global_load_dwordx4 v[22:25], v[26:27], off offset:16
	v_fma_f64 v[28:29], v[1:2], v[10:11], v[28:29]
	v_fma_f64 v[9:10], v[3:4], v[10:11], v[16:17]
	;; [unrolled: 1-line block ×4, first 2 shown]
	s_waitcnt vmcnt(1)
	v_fma_f64 v[11:12], v[5:6], v[18:19], v[28:29]
	v_fma_f64 v[9:10], v[7:8], v[18:19], v[9:10]
	s_waitcnt vmcnt(0)
	v_fma_f64 v[13:14], v[5:6], v[22:23], v[0:1]
	v_fma_f64 v[15:16], v[7:8], v[22:23], v[2:3]
	v_fma_f64 v[0:1], -v[7:8], v[20:21], v[11:12]
	v_fma_f64 v[2:3], v[5:6], v[20:21], v[9:10]
	v_fma_f64 v[7:8], -v[7:8], v[24:25], v[13:14]
	v_fma_f64 v[9:10], v[5:6], v[24:25], v[15:16]
	global_store_dwordx4 v[26:27], v[0:3], off
	global_store_dwordx4 v[26:27], v[7:10], off offset:16
.LBB266_21:
	s_endpgm
	.section	.rodata,"a",@progbits
	.p2align	6, 0x0
	.amdhsa_kernel _ZN9rocsparseL19gebsrmvn_2xn_kernelILj128ELj9ELj32E21rocsparse_complex_numIdEEEvi20rocsparse_direction_NS_24const_host_device_scalarIT2_EEPKiS8_PKS5_SA_S6_PS5_21rocsparse_index_base_b
		.amdhsa_group_segment_fixed_size 0
		.amdhsa_private_segment_fixed_size 0
		.amdhsa_kernarg_size 88
		.amdhsa_user_sgpr_count 6
		.amdhsa_user_sgpr_private_segment_buffer 1
		.amdhsa_user_sgpr_dispatch_ptr 0
		.amdhsa_user_sgpr_queue_ptr 0
		.amdhsa_user_sgpr_kernarg_segment_ptr 1
		.amdhsa_user_sgpr_dispatch_id 0
		.amdhsa_user_sgpr_flat_scratch_init 0
		.amdhsa_user_sgpr_private_segment_size 0
		.amdhsa_wavefront_size32 1
		.amdhsa_uses_dynamic_stack 0
		.amdhsa_system_sgpr_private_segment_wavefront_offset 0
		.amdhsa_system_sgpr_workgroup_id_x 1
		.amdhsa_system_sgpr_workgroup_id_y 0
		.amdhsa_system_sgpr_workgroup_id_z 0
		.amdhsa_system_sgpr_workgroup_info 0
		.amdhsa_system_vgpr_workitem_id 0
		.amdhsa_next_free_vgpr 109
		.amdhsa_next_free_sgpr 16
		.amdhsa_reserve_vcc 1
		.amdhsa_reserve_flat_scratch 0
		.amdhsa_float_round_mode_32 0
		.amdhsa_float_round_mode_16_64 0
		.amdhsa_float_denorm_mode_32 3
		.amdhsa_float_denorm_mode_16_64 3
		.amdhsa_dx10_clamp 1
		.amdhsa_ieee_mode 1
		.amdhsa_fp16_overflow 0
		.amdhsa_workgroup_processor_mode 1
		.amdhsa_memory_ordered 1
		.amdhsa_forward_progress 1
		.amdhsa_shared_vgpr_count 0
		.amdhsa_exception_fp_ieee_invalid_op 0
		.amdhsa_exception_fp_denorm_src 0
		.amdhsa_exception_fp_ieee_div_zero 0
		.amdhsa_exception_fp_ieee_overflow 0
		.amdhsa_exception_fp_ieee_underflow 0
		.amdhsa_exception_fp_ieee_inexact 0
		.amdhsa_exception_int_div_zero 0
	.end_amdhsa_kernel
	.section	.text._ZN9rocsparseL19gebsrmvn_2xn_kernelILj128ELj9ELj32E21rocsparse_complex_numIdEEEvi20rocsparse_direction_NS_24const_host_device_scalarIT2_EEPKiS8_PKS5_SA_S6_PS5_21rocsparse_index_base_b,"axG",@progbits,_ZN9rocsparseL19gebsrmvn_2xn_kernelILj128ELj9ELj32E21rocsparse_complex_numIdEEEvi20rocsparse_direction_NS_24const_host_device_scalarIT2_EEPKiS8_PKS5_SA_S6_PS5_21rocsparse_index_base_b,comdat
.Lfunc_end266:
	.size	_ZN9rocsparseL19gebsrmvn_2xn_kernelILj128ELj9ELj32E21rocsparse_complex_numIdEEEvi20rocsparse_direction_NS_24const_host_device_scalarIT2_EEPKiS8_PKS5_SA_S6_PS5_21rocsparse_index_base_b, .Lfunc_end266-_ZN9rocsparseL19gebsrmvn_2xn_kernelILj128ELj9ELj32E21rocsparse_complex_numIdEEEvi20rocsparse_direction_NS_24const_host_device_scalarIT2_EEPKiS8_PKS5_SA_S6_PS5_21rocsparse_index_base_b
                                        ; -- End function
	.set _ZN9rocsparseL19gebsrmvn_2xn_kernelILj128ELj9ELj32E21rocsparse_complex_numIdEEEvi20rocsparse_direction_NS_24const_host_device_scalarIT2_EEPKiS8_PKS5_SA_S6_PS5_21rocsparse_index_base_b.num_vgpr, 109
	.set _ZN9rocsparseL19gebsrmvn_2xn_kernelILj128ELj9ELj32E21rocsparse_complex_numIdEEEvi20rocsparse_direction_NS_24const_host_device_scalarIT2_EEPKiS8_PKS5_SA_S6_PS5_21rocsparse_index_base_b.num_agpr, 0
	.set _ZN9rocsparseL19gebsrmvn_2xn_kernelILj128ELj9ELj32E21rocsparse_complex_numIdEEEvi20rocsparse_direction_NS_24const_host_device_scalarIT2_EEPKiS8_PKS5_SA_S6_PS5_21rocsparse_index_base_b.numbered_sgpr, 16
	.set _ZN9rocsparseL19gebsrmvn_2xn_kernelILj128ELj9ELj32E21rocsparse_complex_numIdEEEvi20rocsparse_direction_NS_24const_host_device_scalarIT2_EEPKiS8_PKS5_SA_S6_PS5_21rocsparse_index_base_b.num_named_barrier, 0
	.set _ZN9rocsparseL19gebsrmvn_2xn_kernelILj128ELj9ELj32E21rocsparse_complex_numIdEEEvi20rocsparse_direction_NS_24const_host_device_scalarIT2_EEPKiS8_PKS5_SA_S6_PS5_21rocsparse_index_base_b.private_seg_size, 0
	.set _ZN9rocsparseL19gebsrmvn_2xn_kernelILj128ELj9ELj32E21rocsparse_complex_numIdEEEvi20rocsparse_direction_NS_24const_host_device_scalarIT2_EEPKiS8_PKS5_SA_S6_PS5_21rocsparse_index_base_b.uses_vcc, 1
	.set _ZN9rocsparseL19gebsrmvn_2xn_kernelILj128ELj9ELj32E21rocsparse_complex_numIdEEEvi20rocsparse_direction_NS_24const_host_device_scalarIT2_EEPKiS8_PKS5_SA_S6_PS5_21rocsparse_index_base_b.uses_flat_scratch, 0
	.set _ZN9rocsparseL19gebsrmvn_2xn_kernelILj128ELj9ELj32E21rocsparse_complex_numIdEEEvi20rocsparse_direction_NS_24const_host_device_scalarIT2_EEPKiS8_PKS5_SA_S6_PS5_21rocsparse_index_base_b.has_dyn_sized_stack, 0
	.set _ZN9rocsparseL19gebsrmvn_2xn_kernelILj128ELj9ELj32E21rocsparse_complex_numIdEEEvi20rocsparse_direction_NS_24const_host_device_scalarIT2_EEPKiS8_PKS5_SA_S6_PS5_21rocsparse_index_base_b.has_recursion, 0
	.set _ZN9rocsparseL19gebsrmvn_2xn_kernelILj128ELj9ELj32E21rocsparse_complex_numIdEEEvi20rocsparse_direction_NS_24const_host_device_scalarIT2_EEPKiS8_PKS5_SA_S6_PS5_21rocsparse_index_base_b.has_indirect_call, 0
	.section	.AMDGPU.csdata,"",@progbits
; Kernel info:
; codeLenInByte = 4628
; TotalNumSgprs: 18
; NumVgprs: 109
; ScratchSize: 0
; MemoryBound: 0
; FloatMode: 240
; IeeeMode: 1
; LDSByteSize: 0 bytes/workgroup (compile time only)
; SGPRBlocks: 0
; VGPRBlocks: 13
; NumSGPRsForWavesPerEU: 18
; NumVGPRsForWavesPerEU: 109
; Occupancy: 9
; WaveLimiterHint : 1
; COMPUTE_PGM_RSRC2:SCRATCH_EN: 0
; COMPUTE_PGM_RSRC2:USER_SGPR: 6
; COMPUTE_PGM_RSRC2:TRAP_HANDLER: 0
; COMPUTE_PGM_RSRC2:TGID_X_EN: 1
; COMPUTE_PGM_RSRC2:TGID_Y_EN: 0
; COMPUTE_PGM_RSRC2:TGID_Z_EN: 0
; COMPUTE_PGM_RSRC2:TIDIG_COMP_CNT: 0
	.section	.text._ZN9rocsparseL19gebsrmvn_2xn_kernelILj128ELj9ELj64E21rocsparse_complex_numIdEEEvi20rocsparse_direction_NS_24const_host_device_scalarIT2_EEPKiS8_PKS5_SA_S6_PS5_21rocsparse_index_base_b,"axG",@progbits,_ZN9rocsparseL19gebsrmvn_2xn_kernelILj128ELj9ELj64E21rocsparse_complex_numIdEEEvi20rocsparse_direction_NS_24const_host_device_scalarIT2_EEPKiS8_PKS5_SA_S6_PS5_21rocsparse_index_base_b,comdat
	.globl	_ZN9rocsparseL19gebsrmvn_2xn_kernelILj128ELj9ELj64E21rocsparse_complex_numIdEEEvi20rocsparse_direction_NS_24const_host_device_scalarIT2_EEPKiS8_PKS5_SA_S6_PS5_21rocsparse_index_base_b ; -- Begin function _ZN9rocsparseL19gebsrmvn_2xn_kernelILj128ELj9ELj64E21rocsparse_complex_numIdEEEvi20rocsparse_direction_NS_24const_host_device_scalarIT2_EEPKiS8_PKS5_SA_S6_PS5_21rocsparse_index_base_b
	.p2align	8
	.type	_ZN9rocsparseL19gebsrmvn_2xn_kernelILj128ELj9ELj64E21rocsparse_complex_numIdEEEvi20rocsparse_direction_NS_24const_host_device_scalarIT2_EEPKiS8_PKS5_SA_S6_PS5_21rocsparse_index_base_b,@function
_ZN9rocsparseL19gebsrmvn_2xn_kernelILj128ELj9ELj64E21rocsparse_complex_numIdEEEvi20rocsparse_direction_NS_24const_host_device_scalarIT2_EEPKiS8_PKS5_SA_S6_PS5_21rocsparse_index_base_b: ; @_ZN9rocsparseL19gebsrmvn_2xn_kernelILj128ELj9ELj64E21rocsparse_complex_numIdEEEvi20rocsparse_direction_NS_24const_host_device_scalarIT2_EEPKiS8_PKS5_SA_S6_PS5_21rocsparse_index_base_b
; %bb.0:
	s_clause 0x1
	s_load_dwordx2 s[2:3], s[4:5], 0x50
	s_load_dwordx2 s[0:1], s[4:5], 0x8
	s_add_u32 s7, s4, 8
	s_addc_u32 s10, s5, 0
	s_add_u32 s11, s4, 56
	s_addc_u32 s12, s5, 0
	s_load_dwordx2 s[8:9], s[4:5], 0x38
	s_waitcnt lgkmcnt(0)
	s_bitcmp1_b32 s3, 0
	s_cselect_b32 s0, s7, s0
	s_cselect_b32 s1, s10, s1
	v_mov_b32_e32 v1, s0
	v_mov_b32_e32 v2, s1
	s_cselect_b32 s0, s11, s8
	s_cselect_b32 s1, s12, s9
	v_mov_b32_e32 v5, s0
	v_mov_b32_e32 v6, s1
	flat_load_dwordx4 v[1:4], v[1:2]
	flat_load_dwordx4 v[5:8], v[5:6]
	s_waitcnt vmcnt(1) lgkmcnt(1)
	v_cmp_eq_f64_e32 vcc_lo, 0, v[1:2]
	v_cmp_eq_f64_e64 s0, 0, v[3:4]
	s_and_b32 s3, vcc_lo, s0
	s_mov_b32 s0, -1
	s_and_saveexec_b32 s1, s3
	s_cbranch_execz .LBB267_2
; %bb.1:
	s_waitcnt vmcnt(0) lgkmcnt(0)
	v_cmp_neq_f64_e32 vcc_lo, 1.0, v[5:6]
	v_cmp_neq_f64_e64 s0, 0, v[7:8]
	s_or_b32 s0, vcc_lo, s0
	s_orn2_b32 s0, s0, exec_lo
.LBB267_2:
	s_or_b32 exec_lo, exec_lo, s1
	s_and_saveexec_b32 s1, s0
	s_cbranch_execz .LBB267_21
; %bb.3:
	s_load_dwordx2 s[0:1], s[4:5], 0x0
	v_lshrrev_b32_e32 v9, 6, v0
	v_lshl_or_b32 v9, s6, 1, v9
	s_waitcnt lgkmcnt(0)
	v_cmp_gt_i32_e32 vcc_lo, s0, v9
	s_and_b32 exec_lo, exec_lo, vcc_lo
	s_cbranch_execz .LBB267_21
; %bb.4:
	s_load_dwordx8 s[8:15], s[4:5], 0x18
	v_ashrrev_i32_e32 v10, 31, v9
	v_and_b32_e32 v0, 63, v0
	s_cmp_lg_u32 s1, 0
	v_lshlrev_b64 v[10:11], 2, v[9:10]
	s_waitcnt lgkmcnt(0)
	v_add_co_u32 v10, vcc_lo, s8, v10
	v_add_co_ci_u32_e64 v11, null, s9, v11, vcc_lo
	global_load_dwordx2 v[10:11], v[10:11], off
	s_waitcnt vmcnt(0)
	v_subrev_nc_u32_e32 v10, s2, v10
	v_subrev_nc_u32_e32 v25, s2, v11
	v_add_nc_u32_e32 v10, v10, v0
	v_cmp_lt_i32_e64 s0, v10, v25
	s_cbranch_scc0 .LBB267_10
; %bb.5:
	v_mov_b32_e32 v14, 0
	v_mov_b32_e32 v18, 0
	;; [unrolled: 1-line block ×8, first 2 shown]
	s_and_saveexec_b32 s1, s0
	s_cbranch_execz .LBB267_9
; %bb.6:
	v_mad_u64_u32 v[20:21], null, v10, 18, 16
	v_mov_b32_e32 v14, 0
	v_mov_b32_e32 v18, 0
	v_mov_b32_e32 v12, 0
	v_mov_b32_e32 v16, 0
	v_mov_b32_e32 v15, 0
	v_mov_b32_e32 v22, 0
	v_mov_b32_e32 v19, 0
	v_mov_b32_e32 v13, 0
	v_mov_b32_e32 v17, 0
	v_mov_b32_e32 v23, v10
	s_mov_b32 s3, 0
.LBB267_7:                              ; =>This Inner Loop Header: Depth=1
	v_ashrrev_i32_e32 v24, 31, v23
	v_add_nc_u32_e32 v21, -16, v20
	v_mov_b32_e32 v95, v22
	v_lshlrev_b64 v[26:27], 2, v[23:24]
	v_add_nc_u32_e32 v23, 64, v23
	v_add_co_u32 v26, vcc_lo, s10, v26
	v_add_co_ci_u32_e64 v27, null, s11, v27, vcc_lo
	global_load_dword v11, v[26:27], off
	v_lshlrev_b64 v[26:27], 4, v[21:22]
	v_add_nc_u32_e32 v21, -14, v20
	v_lshlrev_b64 v[28:29], 4, v[21:22]
	v_add_co_u32 v30, vcc_lo, s12, v26
	v_add_co_ci_u32_e64 v31, null, s13, v27, vcc_lo
	v_add_co_u32 v38, vcc_lo, s12, v28
	v_add_co_ci_u32_e64 v39, null, s13, v29, vcc_lo
	s_clause 0x3
	global_load_dwordx4 v[26:29], v[30:31], off offset:16
	global_load_dwordx4 v[30:33], v[30:31], off
	global_load_dwordx4 v[34:37], v[38:39], off offset:16
	global_load_dwordx4 v[38:41], v[38:39], off
	s_waitcnt vmcnt(4)
	v_subrev_nc_u32_e32 v11, s2, v11
	v_lshl_add_u32 v94, v11, 3, v11
	v_lshlrev_b64 v[42:43], 4, v[94:95]
	v_add_nc_u32_e32 v21, 1, v94
	v_lshlrev_b64 v[46:47], 4, v[21:22]
	v_add_co_u32 v42, vcc_lo, s14, v42
	v_add_co_ci_u32_e64 v43, null, s15, v43, vcc_lo
	v_add_nc_u32_e32 v21, -12, v20
	v_add_co_u32 v46, vcc_lo, s14, v46
	global_load_dwordx4 v[42:45], v[42:43], off
	v_add_co_ci_u32_e64 v47, null, s15, v47, vcc_lo
	v_lshlrev_b64 v[50:51], 4, v[21:22]
	v_add_nc_u32_e32 v21, 2, v94
	global_load_dwordx4 v[46:49], v[46:47], off
	v_lshlrev_b64 v[52:53], 4, v[21:22]
	v_add_co_u32 v54, vcc_lo, s12, v50
	v_add_co_ci_u32_e64 v55, null, s13, v51, vcc_lo
	v_mov_b32_e32 v21, v22
	v_add_co_u32 v58, vcc_lo, s14, v52
	v_add_co_ci_u32_e64 v59, null, s15, v53, vcc_lo
	s_clause 0x1
	global_load_dwordx4 v[50:53], v[54:55], off offset:16
	global_load_dwordx4 v[54:57], v[54:55], off
	global_load_dwordx4 v[58:61], v[58:59], off
	v_lshlrev_b64 v[62:63], 4, v[20:21]
	v_add_nc_u32_e32 v21, -10, v20
	v_add_co_u32 v95, vcc_lo, s12, v62
	v_add_co_ci_u32_e64 v96, null, s13, v63, vcc_lo
	v_lshlrev_b64 v[62:63], 4, v[21:22]
	v_add_nc_u32_e32 v21, 3, v94
	v_lshlrev_b64 v[64:65], 4, v[21:22]
	v_add_co_u32 v66, vcc_lo, s12, v62
	v_add_co_ci_u32_e64 v67, null, s13, v63, vcc_lo
	v_add_nc_u32_e32 v21, -8, v20
	v_add_co_u32 v70, vcc_lo, s14, v64
	v_add_co_ci_u32_e64 v71, null, s15, v65, vcc_lo
	s_clause 0x1
	global_load_dwordx4 v[62:65], v[66:67], off offset:16
	global_load_dwordx4 v[66:69], v[66:67], off
	global_load_dwordx4 v[70:73], v[70:71], off
	v_lshlrev_b64 v[74:75], 4, v[21:22]
	v_add_nc_u32_e32 v21, 4, v94
	v_lshlrev_b64 v[76:77], 4, v[21:22]
	v_add_co_u32 v78, vcc_lo, s12, v74
	v_add_co_ci_u32_e64 v79, null, s13, v75, vcc_lo
	v_add_nc_u32_e32 v21, -6, v20
	v_add_co_u32 v82, vcc_lo, s14, v76
	v_add_co_ci_u32_e64 v83, null, s15, v77, vcc_lo
	s_clause 0x1
	global_load_dwordx4 v[74:77], v[78:79], off offset:16
	global_load_dwordx4 v[78:81], v[78:79], off
	v_lshlrev_b64 v[86:87], 4, v[21:22]
	v_add_nc_u32_e32 v21, 5, v94
	global_load_dwordx4 v[82:85], v[82:83], off
	v_lshlrev_b64 v[88:89], 4, v[21:22]
	v_add_co_u32 v90, vcc_lo, s12, v86
	v_add_co_ci_u32_e64 v91, null, s13, v87, vcc_lo
	v_add_nc_u32_e32 v21, -4, v20
	v_add_co_u32 v99, vcc_lo, s14, v88
	v_add_co_ci_u32_e64 v100, null, s15, v89, vcc_lo
	s_clause 0x1
	global_load_dwordx4 v[86:89], v[90:91], off offset:16
	global_load_dwordx4 v[90:93], v[90:91], off
	v_lshlrev_b64 v[97:98], 4, v[21:22]
	v_add_nc_u32_e32 v21, 6, v94
	s_waitcnt vmcnt(12)
	v_fma_f64 v[18:19], v[30:31], v[42:43], v[18:19]
	v_fma_f64 v[14:15], v[32:33], v[42:43], v[14:15]
	;; [unrolled: 1-line block ×4, first 2 shown]
	v_fma_f64 v[101:102], -v[32:33], v[44:45], v[18:19]
	v_fma_f64 v[103:104], v[30:31], v[44:45], v[14:15]
	global_load_dwordx4 v[30:33], v[99:100], off
	v_fma_f64 v[42:43], -v[28:29], v[44:45], v[11:12]
	v_lshlrev_b64 v[14:15], 4, v[21:22]
	v_add_co_u32 v18, vcc_lo, s12, v97
	v_add_co_ci_u32_e64 v19, null, s13, v98, vcc_lo
	v_fma_f64 v[44:45], v[26:27], v[44:45], v[16:17]
	v_add_co_u32 v26, vcc_lo, s14, v14
	v_add_co_ci_u32_e64 v27, null, s15, v15, vcc_lo
	s_clause 0x1
	global_load_dwordx4 v[11:14], v[18:19], off offset:16
	global_load_dwordx4 v[15:18], v[18:19], off
	v_add_nc_u32_e32 v21, -2, v20
	v_add_nc_u32_e32 v20, 0x480, v20
	v_lshlrev_b64 v[97:98], 4, v[21:22]
	s_waitcnt vmcnt(14)
	v_fma_f64 v[28:29], v[38:39], v[46:47], v[101:102]
	v_fma_f64 v[101:102], v[40:41], v[46:47], v[103:104]
	v_add_nc_u32_e32 v21, 7, v94
	v_fma_f64 v[103:104], -v[40:41], v[48:49], v[28:29]
	global_load_dwordx4 v[26:29], v[26:27], off
	v_fma_f64 v[101:102], v[38:39], v[48:49], v[101:102]
	v_fma_f64 v[40:41], v[34:35], v[46:47], v[42:43]
	;; [unrolled: 1-line block ×3, first 2 shown]
	v_lshlrev_b64 v[99:100], 4, v[21:22]
	v_add_co_u32 v38, vcc_lo, s12, v97
	v_add_co_ci_u32_e64 v39, null, s13, v98, vcc_lo
	v_add_nc_u32_e32 v21, 8, v94
	v_add_co_u32 v97, vcc_lo, s14, v99
	v_add_co_ci_u32_e64 v98, null, s15, v100, vcc_lo
	v_lshlrev_b64 v[99:100], 4, v[21:22]
	v_add_co_u32 v99, vcc_lo, s14, v99
	s_waitcnt vmcnt(12)
	v_fma_f64 v[46:47], v[54:55], v[58:59], v[103:104]
	v_add_co_ci_u32_e64 v100, null, s15, v100, vcc_lo
	v_fma_f64 v[105:106], -v[36:37], v[48:49], v[40:41]
	v_fma_f64 v[107:108], v[34:35], v[48:49], v[42:43]
	s_clause 0x1
	global_load_dwordx4 v[34:37], v[38:39], off offset:16
	global_load_dwordx4 v[38:41], v[38:39], off
	global_load_dwordx4 v[42:45], v[97:98], off
	v_fma_f64 v[48:49], v[56:57], v[58:59], v[101:102]
	v_cmp_ge_i32_e32 vcc_lo, v23, v25
	s_or_b32 s3, vcc_lo, s3
	v_fma_f64 v[97:98], -v[56:57], v[60:61], v[46:47]
	v_fma_f64 v[56:57], v[52:53], v[58:59], v[107:108]
	v_fma_f64 v[101:102], v[54:55], v[60:61], v[48:49]
	;; [unrolled: 1-line block ×3, first 2 shown]
	global_load_dwordx4 v[46:49], v[95:96], off offset:16
	v_fma_f64 v[58:59], -v[52:53], v[60:61], v[54:55]
	v_fma_f64 v[60:61], v[50:51], v[60:61], v[56:57]
	global_load_dwordx4 v[50:53], v[95:96], off
	global_load_dwordx4 v[54:57], v[99:100], off
	s_waitcnt vmcnt(15)
	v_fma_f64 v[94:95], v[66:67], v[70:71], v[97:98]
	v_fma_f64 v[96:97], v[68:69], v[70:71], v[101:102]
	v_fma_f64 v[58:59], v[62:63], v[70:71], v[58:59]
	v_fma_f64 v[60:61], v[64:65], v[70:71], v[60:61]
	v_fma_f64 v[68:69], -v[68:69], v[72:73], v[94:95]
	v_fma_f64 v[66:67], v[66:67], v[72:73], v[96:97]
	v_fma_f64 v[58:59], -v[64:65], v[72:73], v[58:59]
	v_fma_f64 v[60:61], v[62:63], v[72:73], v[60:61]
	s_waitcnt vmcnt(12)
	v_fma_f64 v[62:63], v[78:79], v[82:83], v[68:69]
	v_fma_f64 v[64:65], v[80:81], v[82:83], v[66:67]
	v_fma_f64 v[58:59], v[74:75], v[82:83], v[58:59]
	v_fma_f64 v[60:61], v[76:77], v[82:83], v[60:61]
	v_fma_f64 v[62:63], -v[80:81], v[84:85], v[62:63]
	v_fma_f64 v[64:65], v[78:79], v[84:85], v[64:65]
	v_fma_f64 v[58:59], -v[76:77], v[84:85], v[58:59]
	v_fma_f64 v[60:61], v[74:75], v[84:85], v[60:61]
	;; [unrolled: 9-line block ×6, first 2 shown]
	s_andn2_b32 exec_lo, exec_lo, s3
	s_cbranch_execnz .LBB267_7
; %bb.8:
	s_or_b32 exec_lo, exec_lo, s3
.LBB267_9:
	s_or_b32 exec_lo, exec_lo, s1
	s_cbranch_execz .LBB267_11
	s_branch .LBB267_16
.LBB267_10:
                                        ; implicit-def: $vgpr14_vgpr15
                                        ; implicit-def: $vgpr18_vgpr19
                                        ; implicit-def: $vgpr12_vgpr13
                                        ; implicit-def: $vgpr16_vgpr17
.LBB267_11:
	v_mov_b32_e32 v14, 0
	v_mov_b32_e32 v18, 0
	;; [unrolled: 1-line block ×8, first 2 shown]
	s_and_saveexec_b32 s1, s0
	s_cbranch_execz .LBB267_15
; %bb.12:
	v_mad_u64_u32 v[20:21], null, v10, 18, 17
	v_mov_b32_e32 v14, 0
	v_mov_b32_e32 v18, 0
	;; [unrolled: 1-line block ×9, first 2 shown]
	s_mov_b32 s0, 0
.LBB267_13:                             ; =>This Inner Loop Header: Depth=1
	v_ashrrev_i32_e32 v11, 31, v10
	v_add_nc_u32_e32 v26, -8, v20
	v_mov_b32_e32 v27, v23
	v_mov_b32_e32 v79, v23
	v_lshlrev_b64 v[21:22], 2, v[10:11]
	v_add_nc_u32_e32 v10, 64, v10
	v_lshlrev_b64 v[26:27], 4, v[26:27]
	v_add_co_u32 v21, vcc_lo, s10, v21
	v_add_co_ci_u32_e64 v22, null, s11, v22, vcc_lo
	global_load_dword v11, v[21:22], off
	v_subrev_nc_u32_e32 v22, 17, v20
	v_mov_b32_e32 v21, v23
	v_lshlrev_b64 v[28:29], 4, v[22:23]
	v_lshlrev_b64 v[21:22], 4, v[20:21]
	v_add_co_u32 v30, vcc_lo, s12, v28
	v_add_co_ci_u32_e64 v31, null, s13, v29, vcc_lo
	v_add_co_u32 v34, vcc_lo, s12, v26
	v_add_co_ci_u32_e64 v35, null, s13, v27, vcc_lo
	;; [unrolled: 2-line block ×3, first 2 shown]
	s_clause 0x2
	global_load_dwordx4 v[26:29], v[30:31], off offset:16
	global_load_dwordx4 v[30:33], v[30:31], off
	global_load_dwordx4 v[34:37], v[34:35], off
	s_waitcnt vmcnt(3)
	v_subrev_nc_u32_e32 v11, s2, v11
	v_lshl_add_u32 v78, v11, 3, v11
	v_lshlrev_b64 v[38:39], 4, v[78:79]
	v_add_nc_u32_e32 v22, 1, v78
	v_lshlrev_b64 v[42:43], 4, v[22:23]
	v_add_co_u32 v38, vcc_lo, s14, v38
	v_add_co_ci_u32_e64 v39, null, s15, v39, vcc_lo
	v_add_nc_u32_e32 v22, -7, v20
	v_add_co_u32 v42, vcc_lo, s14, v42
	global_load_dwordx4 v[38:41], v[38:39], off
	v_add_co_ci_u32_e64 v43, null, s15, v43, vcc_lo
	v_lshlrev_b64 v[46:47], 4, v[22:23]
	v_add_nc_u32_e32 v22, -15, v20
	global_load_dwordx4 v[42:45], v[42:43], off
	v_add_co_u32 v46, vcc_lo, s12, v46
	v_add_co_ci_u32_e64 v47, null, s13, v47, vcc_lo
	v_lshlrev_b64 v[50:51], 4, v[22:23]
	v_add_nc_u32_e32 v22, 2, v78
	global_load_dwordx4 v[46:49], v[46:47], off
	v_lshlrev_b64 v[52:53], 4, v[22:23]
	v_add_nc_u32_e32 v22, -6, v20
	v_add_co_u32 v50, vcc_lo, s12, v50
	v_add_co_ci_u32_e64 v51, null, s13, v51, vcc_lo
	v_add_co_u32 v54, vcc_lo, s14, v52
	v_lshlrev_b64 v[58:59], 4, v[22:23]
	v_add_co_ci_u32_e64 v55, null, s15, v53, vcc_lo
	global_load_dwordx4 v[50:53], v[50:51], off
	v_add_nc_u32_e32 v22, -14, v20
	global_load_dwordx4 v[54:57], v[54:55], off
	v_add_co_u32 v58, vcc_lo, s12, v58
	v_add_co_ci_u32_e64 v59, null, s13, v59, vcc_lo
	v_lshlrev_b64 v[62:63], 4, v[22:23]
	v_add_nc_u32_e32 v22, 3, v78
	global_load_dwordx4 v[58:61], v[58:59], off
	v_lshlrev_b64 v[64:65], 4, v[22:23]
	v_add_co_u32 v62, vcc_lo, s12, v62
	v_add_co_ci_u32_e64 v63, null, s13, v63, vcc_lo
	v_add_nc_u32_e32 v22, -5, v20
	v_add_co_u32 v66, vcc_lo, s14, v64
	v_add_co_ci_u32_e64 v67, null, s15, v65, vcc_lo
	global_load_dwordx4 v[62:65], v[62:63], off
	v_lshlrev_b64 v[70:71], 4, v[22:23]
	v_add_nc_u32_e32 v22, -13, v20
	global_load_dwordx4 v[66:69], v[66:67], off
	v_add_co_u32 v70, vcc_lo, s12, v70
	v_add_co_ci_u32_e64 v71, null, s13, v71, vcc_lo
	v_lshlrev_b64 v[74:75], 4, v[22:23]
	v_add_nc_u32_e32 v22, 4, v78
	global_load_dwordx4 v[70:73], v[70:71], off
	v_lshlrev_b64 v[76:77], 4, v[22:23]
	v_add_nc_u32_e32 v22, -4, v20
	v_add_co_u32 v74, vcc_lo, s12, v74
	v_add_co_ci_u32_e64 v75, null, s13, v75, vcc_lo
	v_lshlrev_b64 v[82:83], 4, v[22:23]
	v_add_nc_u32_e32 v22, -12, v20
	v_add_co_u32 v84, vcc_lo, s14, v76
	v_add_co_ci_u32_e64 v85, null, s15, v77, vcc_lo
	global_load_dwordx4 v[74:77], v[74:75], off
	s_waitcnt vmcnt(9)
	v_fma_f64 v[11:12], v[34:35], v[38:39], v[12:13]
	v_fma_f64 v[16:17], v[36:37], v[38:39], v[16:17]
	;; [unrolled: 1-line block ×4, first 2 shown]
	v_fma_f64 v[36:37], -v[36:37], v[40:41], v[11:12]
	v_fma_f64 v[34:35], v[34:35], v[40:41], v[16:17]
	v_fma_f64 v[88:89], v[30:31], v[40:41], v[14:15]
	v_lshlrev_b64 v[14:15], 4, v[22:23]
	v_add_nc_u32_e32 v22, 5, v78
	v_fma_f64 v[86:87], -v[32:33], v[40:41], v[18:19]
	v_add_co_u32 v18, vcc_lo, s12, v82
	v_add_co_ci_u32_e64 v19, null, s13, v83, vcc_lo
	v_lshlrev_b64 v[16:17], 4, v[22:23]
	v_add_nc_u32_e32 v22, -3, v20
	global_load_dwordx4 v[30:33], v[84:85], off
	v_add_co_u32 v38, vcc_lo, s12, v14
	global_load_dwordx4 v[11:14], v[18:19], off
	v_lshlrev_b64 v[40:41], 4, v[22:23]
	v_add_co_ci_u32_e64 v39, null, s13, v15, vcc_lo
	v_add_co_u32 v82, vcc_lo, s14, v16
	v_add_co_ci_u32_e64 v83, null, s15, v17, vcc_lo
	s_waitcnt vmcnt(9)
	v_fma_f64 v[36:37], v[46:47], v[42:43], v[36:37]
	v_fma_f64 v[34:35], v[48:49], v[42:43], v[34:35]
	v_add_co_u32 v40, vcc_lo, s12, v40
	v_add_co_ci_u32_e64 v41, null, s13, v41, vcc_lo
	v_fma_f64 v[84:85], v[28:29], v[42:43], v[88:89]
	v_add_nc_u32_e32 v22, -11, v20
	v_fma_f64 v[48:49], -v[48:49], v[44:45], v[36:37]
	v_fma_f64 v[46:47], v[46:47], v[44:45], v[34:35]
	s_clause 0x1
	global_load_dwordx4 v[34:37], v[40:41], off
	global_load_dwordx4 v[15:18], v[38:39], off
	v_fma_f64 v[38:39], v[26:27], v[42:43], v[86:87]
	v_fma_f64 v[84:85], v[26:27], v[44:45], v[84:85]
	s_waitcnt vmcnt(8)
	v_fma_f64 v[48:49], v[58:59], v[54:55], v[48:49]
	v_fma_f64 v[46:47], v[60:61], v[54:55], v[46:47]
	v_fma_f64 v[86:87], -v[28:29], v[44:45], v[38:39]
	global_load_dwordx4 v[26:29], v[82:83], off
	v_lshlrev_b64 v[38:39], 4, v[22:23]
	v_add_nc_u32_e32 v22, 6, v78
	v_fma_f64 v[84:85], v[52:53], v[54:55], v[84:85]
	v_lshlrev_b64 v[42:43], 4, v[22:23]
	v_add_nc_u32_e32 v22, -2, v20
	v_add_co_u32 v38, vcc_lo, s12, v38
	v_add_co_ci_u32_e64 v39, null, s13, v39, vcc_lo
	v_lshlrev_b64 v[44:45], 4, v[22:23]
	v_add_co_u32 v42, vcc_lo, s14, v42
	v_add_co_ci_u32_e64 v43, null, s15, v43, vcc_lo
	global_load_dwordx4 v[38:41], v[38:39], off
	v_fma_f64 v[88:89], v[58:59], v[56:57], v[46:47]
	v_add_nc_u32_e32 v22, -10, v20
	v_fma_f64 v[82:83], v[50:51], v[54:55], v[86:87]
	v_fma_f64 v[86:87], -v[60:61], v[56:57], v[48:49]
	v_fma_f64 v[84:85], v[50:51], v[56:57], v[84:85]
	v_lshlrev_b64 v[50:51], 4, v[22:23]
	v_add_nc_u32_e32 v22, 7, v78
	v_lshlrev_b64 v[54:55], 4, v[22:23]
	v_add_nc_u32_e32 v22, -1, v20
	v_lshlrev_b64 v[21:22], 4, v[22:23]
	v_fma_f64 v[82:83], -v[52:53], v[56:57], v[82:83]
	v_add_co_u32 v52, vcc_lo, s12, v44
	v_add_co_ci_u32_e64 v53, null, s13, v45, vcc_lo
	global_load_dwordx4 v[42:45], v[42:43], off
	v_add_co_u32 v50, vcc_lo, s12, v50
	global_load_dwordx4 v[46:49], v[52:53], off
	v_add_co_ci_u32_e64 v51, null, s13, v51, vcc_lo
	v_add_co_u32 v54, vcc_lo, s14, v54
	v_add_co_ci_u32_e64 v55, null, s15, v55, vcc_lo
	global_load_dwordx4 v[50:53], v[50:51], off
	s_waitcnt vmcnt(11)
	v_fma_f64 v[58:59], v[64:65], v[66:67], v[84:85]
	v_add_co_u32 v21, vcc_lo, s12, v21
	v_add_co_ci_u32_e64 v22, null, s13, v22, vcc_lo
	v_fma_f64 v[56:57], v[62:63], v[66:67], v[82:83]
	v_fma_f64 v[84:85], v[62:63], v[68:69], v[58:59]
	s_waitcnt vmcnt(10)
	v_fma_f64 v[62:63], v[72:73], v[66:67], v[88:89]
	v_fma_f64 v[82:83], -v[64:65], v[68:69], v[56:57]
	global_load_dwordx4 v[54:57], v[54:55], off
	global_load_dwordx4 v[58:61], v[21:22], off
	v_fma_f64 v[21:22], v[70:71], v[66:67], v[86:87]
	v_fma_f64 v[88:89], v[70:71], v[68:69], v[62:63]
	global_load_dwordx4 v[62:65], v[80:81], off
	v_fma_f64 v[86:87], -v[72:73], v[68:69], v[21:22]
	v_add_nc_u32_e32 v22, -9, v20
	v_add_nc_u32_e32 v20, 0x480, v20
	v_lshlrev_b64 v[66:67], 4, v[22:23]
	v_add_nc_u32_e32 v22, 8, v78
	v_lshlrev_b64 v[21:22], 4, v[22:23]
	v_add_co_u32 v66, vcc_lo, s12, v66
	v_add_co_ci_u32_e64 v67, null, s13, v67, vcc_lo
	v_add_co_u32 v21, vcc_lo, s14, v21
	v_add_co_ci_u32_e64 v22, null, s15, v22, vcc_lo
	global_load_dwordx4 v[66:69], v[66:67], off
	global_load_dwordx4 v[70:73], v[21:22], off
	v_cmp_ge_i32_e32 vcc_lo, v10, v25
	s_or_b32 s0, vcc_lo, s0
	s_waitcnt vmcnt(13)
	v_fma_f64 v[21:22], v[74:75], v[30:31], v[82:83]
	v_fma_f64 v[78:79], v[76:77], v[30:31], v[84:85]
	s_waitcnt vmcnt(12)
	v_fma_f64 v[80:81], v[11:12], v[30:31], v[86:87]
	v_fma_f64 v[30:31], v[13:14], v[30:31], v[88:89]
	v_fma_f64 v[21:22], -v[76:77], v[32:33], v[21:22]
	v_fma_f64 v[74:75], v[74:75], v[32:33], v[78:79]
	v_fma_f64 v[13:14], -v[13:14], v[32:33], v[80:81]
	v_fma_f64 v[11:12], v[11:12], v[32:33], v[30:31]
	s_waitcnt vmcnt(9)
	v_fma_f64 v[21:22], v[15:16], v[26:27], v[21:22]
	v_fma_f64 v[30:31], v[17:18], v[26:27], v[74:75]
	;; [unrolled: 1-line block ×4, first 2 shown]
	v_fma_f64 v[17:18], -v[17:18], v[28:29], v[21:22]
	v_fma_f64 v[15:16], v[15:16], v[28:29], v[30:31]
	v_fma_f64 v[13:14], -v[36:37], v[28:29], v[13:14]
	v_fma_f64 v[11:12], v[34:35], v[28:29], v[11:12]
	s_waitcnt vmcnt(7)
	v_fma_f64 v[17:18], v[38:39], v[42:43], v[17:18]
	v_fma_f64 v[15:16], v[40:41], v[42:43], v[15:16]
	s_waitcnt vmcnt(6)
	v_fma_f64 v[13:14], v[46:47], v[42:43], v[13:14]
	v_fma_f64 v[11:12], v[48:49], v[42:43], v[11:12]
	v_fma_f64 v[17:18], -v[40:41], v[44:45], v[17:18]
	v_fma_f64 v[15:16], v[38:39], v[44:45], v[15:16]
	v_fma_f64 v[13:14], -v[48:49], v[44:45], v[13:14]
	v_fma_f64 v[11:12], v[46:47], v[44:45], v[11:12]
	s_waitcnt vmcnt(4)
	v_fma_f64 v[17:18], v[50:51], v[54:55], v[17:18]
	v_fma_f64 v[15:16], v[52:53], v[54:55], v[15:16]
	s_waitcnt vmcnt(3)
	v_fma_f64 v[13:14], v[58:59], v[54:55], v[13:14]
	v_fma_f64 v[11:12], v[60:61], v[54:55], v[11:12]
	v_fma_f64 v[17:18], -v[52:53], v[56:57], v[17:18]
	v_fma_f64 v[15:16], v[50:51], v[56:57], v[15:16]
	v_fma_f64 v[13:14], -v[60:61], v[56:57], v[13:14]
	v_fma_f64 v[11:12], v[58:59], v[56:57], v[11:12]
	s_waitcnt vmcnt(0)
	v_fma_f64 v[17:18], v[66:67], v[70:71], v[17:18]
	v_fma_f64 v[15:16], v[68:69], v[70:71], v[15:16]
	;; [unrolled: 1-line block ×4, first 2 shown]
	v_fma_f64 v[18:19], -v[68:69], v[72:73], v[17:18]
	v_fma_f64 v[14:15], v[66:67], v[72:73], v[15:16]
	v_fma_f64 v[12:13], -v[64:65], v[72:73], v[21:22]
	v_fma_f64 v[16:17], v[62:63], v[72:73], v[26:27]
	s_andn2_b32 exec_lo, exec_lo, s0
	s_cbranch_execnz .LBB267_13
; %bb.14:
	s_or_b32 exec_lo, exec_lo, s0
.LBB267_15:
	s_or_b32 exec_lo, exec_lo, s1
.LBB267_16:
	v_mbcnt_lo_u32_b32 v26, -1, 0
	v_or_b32_e32 v10, 32, v26
	v_cmp_gt_i32_e32 vcc_lo, 32, v10
	v_cndmask_b32_e32 v10, v26, v10, vcc_lo
	v_lshlrev_b32_e32 v25, 2, v10
	ds_bpermute_b32 v10, v25, v18
	ds_bpermute_b32 v11, v25, v19
	ds_bpermute_b32 v20, v25, v14
	ds_bpermute_b32 v21, v25, v15
	ds_bpermute_b32 v22, v25, v12
	ds_bpermute_b32 v23, v25, v13
	ds_bpermute_b32 v24, v25, v16
	ds_bpermute_b32 v25, v25, v17
	s_waitcnt lgkmcnt(6)
	v_add_f64 v[10:11], v[18:19], v[10:11]
	v_xor_b32_e32 v18, 16, v26
	s_waitcnt lgkmcnt(4)
	v_add_f64 v[14:15], v[14:15], v[20:21]
	s_waitcnt lgkmcnt(2)
	v_add_f64 v[12:13], v[12:13], v[22:23]
	s_waitcnt lgkmcnt(0)
	v_add_f64 v[16:17], v[16:17], v[24:25]
	v_cmp_gt_i32_e32 vcc_lo, 32, v18
	v_cndmask_b32_e32 v18, v26, v18, vcc_lo
	v_lshlrev_b32_e32 v25, 2, v18
	ds_bpermute_b32 v18, v25, v10
	ds_bpermute_b32 v19, v25, v11
	ds_bpermute_b32 v20, v25, v14
	ds_bpermute_b32 v21, v25, v15
	ds_bpermute_b32 v22, v25, v12
	ds_bpermute_b32 v23, v25, v13
	ds_bpermute_b32 v24, v25, v16
	ds_bpermute_b32 v25, v25, v17
	s_waitcnt lgkmcnt(6)
	v_add_f64 v[10:11], v[10:11], v[18:19]
	v_xor_b32_e32 v18, 8, v26
	s_waitcnt lgkmcnt(4)
	v_add_f64 v[14:15], v[14:15], v[20:21]
	s_waitcnt lgkmcnt(2)
	v_add_f64 v[12:13], v[12:13], v[22:23]
	s_waitcnt lgkmcnt(0)
	v_add_f64 v[16:17], v[16:17], v[24:25]
	;; [unrolled: 20-line block ×3, first 2 shown]
	v_cmp_gt_i32_e32 vcc_lo, 32, v18
	v_cndmask_b32_e32 v18, v26, v18, vcc_lo
	v_lshlrev_b32_e32 v25, 2, v18
	ds_bpermute_b32 v18, v25, v10
	ds_bpermute_b32 v19, v25, v11
	;; [unrolled: 1-line block ×8, first 2 shown]
	s_waitcnt lgkmcnt(6)
	v_add_f64 v[10:11], v[10:11], v[18:19]
	s_waitcnt lgkmcnt(4)
	v_add_f64 v[14:15], v[14:15], v[20:21]
	;; [unrolled: 2-line block ×4, first 2 shown]
	v_xor_b32_e32 v16, 2, v26
	v_cmp_gt_i32_e32 vcc_lo, 32, v16
	v_cndmask_b32_e32 v16, v26, v16, vcc_lo
	v_lshlrev_b32_e32 v25, 2, v16
	ds_bpermute_b32 v16, v25, v10
	ds_bpermute_b32 v17, v25, v11
	;; [unrolled: 1-line block ×8, first 2 shown]
	s_waitcnt lgkmcnt(6)
	v_add_f64 v[10:11], v[10:11], v[16:17]
	s_waitcnt lgkmcnt(4)
	v_add_f64 v[16:17], v[14:15], v[20:21]
	;; [unrolled: 2-line block ×4, first 2 shown]
	v_xor_b32_e32 v18, 1, v26
	v_cmp_gt_i32_e32 vcc_lo, 32, v18
	v_cndmask_b32_e32 v18, v26, v18, vcc_lo
	v_cmp_eq_u32_e32 vcc_lo, 63, v0
	v_lshlrev_b32_e32 v21, 2, v18
	ds_bpermute_b32 v24, v21, v10
	ds_bpermute_b32 v25, v21, v11
	;; [unrolled: 1-line block ×8, first 2 shown]
	s_and_b32 exec_lo, exec_lo, vcc_lo
	s_cbranch_execz .LBB267_21
; %bb.17:
	v_cmp_eq_f64_e32 vcc_lo, 0, v[5:6]
	v_cmp_eq_f64_e64 s0, 0, v[7:8]
	s_waitcnt lgkmcnt(6)
	v_add_f64 v[10:11], v[10:11], v[24:25]
	s_waitcnt lgkmcnt(4)
	v_add_f64 v[16:17], v[16:17], v[22:23]
	;; [unrolled: 2-line block ×4, first 2 shown]
	s_load_dwordx2 s[2:3], s[4:5], 0x48
	s_and_b32 s0, vcc_lo, s0
	s_and_saveexec_b32 s1, s0
	s_xor_b32 s0, exec_lo, s1
	s_cbranch_execz .LBB267_19
; %bb.18:
	v_mul_f64 v[5:6], v[16:17], -v[3:4]
	v_mul_f64 v[7:8], v[1:2], v[16:17]
	v_mul_f64 v[16:17], v[14:15], -v[3:4]
	v_mul_f64 v[14:15], v[1:2], v[14:15]
	v_lshlrev_b32_e32 v9, 1, v9
	v_fma_f64 v[5:6], v[1:2], v[10:11], v[5:6]
	v_fma_f64 v[7:8], v[3:4], v[10:11], v[7:8]
	;; [unrolled: 1-line block ×4, first 2 shown]
	v_ashrrev_i32_e32 v10, 31, v9
                                        ; implicit-def: $vgpr16_vgpr17
                                        ; implicit-def: $vgpr12_vgpr13
                                        ; implicit-def: $vgpr14_vgpr15
	v_lshlrev_b64 v[9:10], 4, v[9:10]
	s_waitcnt lgkmcnt(0)
	v_add_co_u32 v9, vcc_lo, s2, v9
	v_add_co_ci_u32_e64 v10, null, s3, v10, vcc_lo
	global_store_dwordx4 v[9:10], v[5:8], off
	global_store_dwordx4 v[9:10], v[0:3], off offset:16
                                        ; implicit-def: $vgpr9
                                        ; implicit-def: $vgpr10_vgpr11
                                        ; implicit-def: $vgpr7_vgpr8
                                        ; implicit-def: $vgpr3_vgpr4
.LBB267_19:
	s_andn2_saveexec_b32 s0, s0
	s_cbranch_execz .LBB267_21
; %bb.20:
	v_lshlrev_b32_e32 v18, 1, v9
	v_mul_f64 v[28:29], v[16:17], -v[3:4]
	v_mul_f64 v[16:17], v[1:2], v[16:17]
	v_mul_f64 v[30:31], v[14:15], -v[3:4]
	v_mul_f64 v[14:15], v[1:2], v[14:15]
	v_ashrrev_i32_e32 v19, 31, v18
	v_lshlrev_b64 v[18:19], 4, v[18:19]
	s_waitcnt lgkmcnt(0)
	v_add_co_u32 v26, vcc_lo, s2, v18
	v_add_co_ci_u32_e64 v27, null, s3, v19, vcc_lo
	s_clause 0x1
	global_load_dwordx4 v[18:21], v[26:27], off
	global_load_dwordx4 v[22:25], v[26:27], off offset:16
	v_fma_f64 v[28:29], v[1:2], v[10:11], v[28:29]
	v_fma_f64 v[9:10], v[3:4], v[10:11], v[16:17]
	v_fma_f64 v[0:1], v[1:2], v[12:13], v[30:31]
	v_fma_f64 v[2:3], v[3:4], v[12:13], v[14:15]
	s_waitcnt vmcnt(1)
	v_fma_f64 v[11:12], v[5:6], v[18:19], v[28:29]
	v_fma_f64 v[9:10], v[7:8], v[18:19], v[9:10]
	s_waitcnt vmcnt(0)
	v_fma_f64 v[13:14], v[5:6], v[22:23], v[0:1]
	v_fma_f64 v[15:16], v[7:8], v[22:23], v[2:3]
	v_fma_f64 v[0:1], -v[7:8], v[20:21], v[11:12]
	v_fma_f64 v[2:3], v[5:6], v[20:21], v[9:10]
	v_fma_f64 v[7:8], -v[7:8], v[24:25], v[13:14]
	v_fma_f64 v[9:10], v[5:6], v[24:25], v[15:16]
	global_store_dwordx4 v[26:27], v[0:3], off
	global_store_dwordx4 v[26:27], v[7:10], off offset:16
.LBB267_21:
	s_endpgm
	.section	.rodata,"a",@progbits
	.p2align	6, 0x0
	.amdhsa_kernel _ZN9rocsparseL19gebsrmvn_2xn_kernelILj128ELj9ELj64E21rocsparse_complex_numIdEEEvi20rocsparse_direction_NS_24const_host_device_scalarIT2_EEPKiS8_PKS5_SA_S6_PS5_21rocsparse_index_base_b
		.amdhsa_group_segment_fixed_size 0
		.amdhsa_private_segment_fixed_size 0
		.amdhsa_kernarg_size 88
		.amdhsa_user_sgpr_count 6
		.amdhsa_user_sgpr_private_segment_buffer 1
		.amdhsa_user_sgpr_dispatch_ptr 0
		.amdhsa_user_sgpr_queue_ptr 0
		.amdhsa_user_sgpr_kernarg_segment_ptr 1
		.amdhsa_user_sgpr_dispatch_id 0
		.amdhsa_user_sgpr_flat_scratch_init 0
		.amdhsa_user_sgpr_private_segment_size 0
		.amdhsa_wavefront_size32 1
		.amdhsa_uses_dynamic_stack 0
		.amdhsa_system_sgpr_private_segment_wavefront_offset 0
		.amdhsa_system_sgpr_workgroup_id_x 1
		.amdhsa_system_sgpr_workgroup_id_y 0
		.amdhsa_system_sgpr_workgroup_id_z 0
		.amdhsa_system_sgpr_workgroup_info 0
		.amdhsa_system_vgpr_workitem_id 0
		.amdhsa_next_free_vgpr 109
		.amdhsa_next_free_sgpr 16
		.amdhsa_reserve_vcc 1
		.amdhsa_reserve_flat_scratch 0
		.amdhsa_float_round_mode_32 0
		.amdhsa_float_round_mode_16_64 0
		.amdhsa_float_denorm_mode_32 3
		.amdhsa_float_denorm_mode_16_64 3
		.amdhsa_dx10_clamp 1
		.amdhsa_ieee_mode 1
		.amdhsa_fp16_overflow 0
		.amdhsa_workgroup_processor_mode 1
		.amdhsa_memory_ordered 1
		.amdhsa_forward_progress 1
		.amdhsa_shared_vgpr_count 0
		.amdhsa_exception_fp_ieee_invalid_op 0
		.amdhsa_exception_fp_denorm_src 0
		.amdhsa_exception_fp_ieee_div_zero 0
		.amdhsa_exception_fp_ieee_overflow 0
		.amdhsa_exception_fp_ieee_underflow 0
		.amdhsa_exception_fp_ieee_inexact 0
		.amdhsa_exception_int_div_zero 0
	.end_amdhsa_kernel
	.section	.text._ZN9rocsparseL19gebsrmvn_2xn_kernelILj128ELj9ELj64E21rocsparse_complex_numIdEEEvi20rocsparse_direction_NS_24const_host_device_scalarIT2_EEPKiS8_PKS5_SA_S6_PS5_21rocsparse_index_base_b,"axG",@progbits,_ZN9rocsparseL19gebsrmvn_2xn_kernelILj128ELj9ELj64E21rocsparse_complex_numIdEEEvi20rocsparse_direction_NS_24const_host_device_scalarIT2_EEPKiS8_PKS5_SA_S6_PS5_21rocsparse_index_base_b,comdat
.Lfunc_end267:
	.size	_ZN9rocsparseL19gebsrmvn_2xn_kernelILj128ELj9ELj64E21rocsparse_complex_numIdEEEvi20rocsparse_direction_NS_24const_host_device_scalarIT2_EEPKiS8_PKS5_SA_S6_PS5_21rocsparse_index_base_b, .Lfunc_end267-_ZN9rocsparseL19gebsrmvn_2xn_kernelILj128ELj9ELj64E21rocsparse_complex_numIdEEEvi20rocsparse_direction_NS_24const_host_device_scalarIT2_EEPKiS8_PKS5_SA_S6_PS5_21rocsparse_index_base_b
                                        ; -- End function
	.set _ZN9rocsparseL19gebsrmvn_2xn_kernelILj128ELj9ELj64E21rocsparse_complex_numIdEEEvi20rocsparse_direction_NS_24const_host_device_scalarIT2_EEPKiS8_PKS5_SA_S6_PS5_21rocsparse_index_base_b.num_vgpr, 109
	.set _ZN9rocsparseL19gebsrmvn_2xn_kernelILj128ELj9ELj64E21rocsparse_complex_numIdEEEvi20rocsparse_direction_NS_24const_host_device_scalarIT2_EEPKiS8_PKS5_SA_S6_PS5_21rocsparse_index_base_b.num_agpr, 0
	.set _ZN9rocsparseL19gebsrmvn_2xn_kernelILj128ELj9ELj64E21rocsparse_complex_numIdEEEvi20rocsparse_direction_NS_24const_host_device_scalarIT2_EEPKiS8_PKS5_SA_S6_PS5_21rocsparse_index_base_b.numbered_sgpr, 16
	.set _ZN9rocsparseL19gebsrmvn_2xn_kernelILj128ELj9ELj64E21rocsparse_complex_numIdEEEvi20rocsparse_direction_NS_24const_host_device_scalarIT2_EEPKiS8_PKS5_SA_S6_PS5_21rocsparse_index_base_b.num_named_barrier, 0
	.set _ZN9rocsparseL19gebsrmvn_2xn_kernelILj128ELj9ELj64E21rocsparse_complex_numIdEEEvi20rocsparse_direction_NS_24const_host_device_scalarIT2_EEPKiS8_PKS5_SA_S6_PS5_21rocsparse_index_base_b.private_seg_size, 0
	.set _ZN9rocsparseL19gebsrmvn_2xn_kernelILj128ELj9ELj64E21rocsparse_complex_numIdEEEvi20rocsparse_direction_NS_24const_host_device_scalarIT2_EEPKiS8_PKS5_SA_S6_PS5_21rocsparse_index_base_b.uses_vcc, 1
	.set _ZN9rocsparseL19gebsrmvn_2xn_kernelILj128ELj9ELj64E21rocsparse_complex_numIdEEEvi20rocsparse_direction_NS_24const_host_device_scalarIT2_EEPKiS8_PKS5_SA_S6_PS5_21rocsparse_index_base_b.uses_flat_scratch, 0
	.set _ZN9rocsparseL19gebsrmvn_2xn_kernelILj128ELj9ELj64E21rocsparse_complex_numIdEEEvi20rocsparse_direction_NS_24const_host_device_scalarIT2_EEPKiS8_PKS5_SA_S6_PS5_21rocsparse_index_base_b.has_dyn_sized_stack, 0
	.set _ZN9rocsparseL19gebsrmvn_2xn_kernelILj128ELj9ELj64E21rocsparse_complex_numIdEEEvi20rocsparse_direction_NS_24const_host_device_scalarIT2_EEPKiS8_PKS5_SA_S6_PS5_21rocsparse_index_base_b.has_recursion, 0
	.set _ZN9rocsparseL19gebsrmvn_2xn_kernelILj128ELj9ELj64E21rocsparse_complex_numIdEEEvi20rocsparse_direction_NS_24const_host_device_scalarIT2_EEPKiS8_PKS5_SA_S6_PS5_21rocsparse_index_base_b.has_indirect_call, 0
	.section	.AMDGPU.csdata,"",@progbits
; Kernel info:
; codeLenInByte = 4756
; TotalNumSgprs: 18
; NumVgprs: 109
; ScratchSize: 0
; MemoryBound: 0
; FloatMode: 240
; IeeeMode: 1
; LDSByteSize: 0 bytes/workgroup (compile time only)
; SGPRBlocks: 0
; VGPRBlocks: 13
; NumSGPRsForWavesPerEU: 18
; NumVGPRsForWavesPerEU: 109
; Occupancy: 9
; WaveLimiterHint : 1
; COMPUTE_PGM_RSRC2:SCRATCH_EN: 0
; COMPUTE_PGM_RSRC2:USER_SGPR: 6
; COMPUTE_PGM_RSRC2:TRAP_HANDLER: 0
; COMPUTE_PGM_RSRC2:TGID_X_EN: 1
; COMPUTE_PGM_RSRC2:TGID_Y_EN: 0
; COMPUTE_PGM_RSRC2:TGID_Z_EN: 0
; COMPUTE_PGM_RSRC2:TIDIG_COMP_CNT: 0
	.section	.text._ZN9rocsparseL19gebsrmvn_2xn_kernelILj128ELj10ELj4E21rocsparse_complex_numIdEEEvi20rocsparse_direction_NS_24const_host_device_scalarIT2_EEPKiS8_PKS5_SA_S6_PS5_21rocsparse_index_base_b,"axG",@progbits,_ZN9rocsparseL19gebsrmvn_2xn_kernelILj128ELj10ELj4E21rocsparse_complex_numIdEEEvi20rocsparse_direction_NS_24const_host_device_scalarIT2_EEPKiS8_PKS5_SA_S6_PS5_21rocsparse_index_base_b,comdat
	.globl	_ZN9rocsparseL19gebsrmvn_2xn_kernelILj128ELj10ELj4E21rocsparse_complex_numIdEEEvi20rocsparse_direction_NS_24const_host_device_scalarIT2_EEPKiS8_PKS5_SA_S6_PS5_21rocsparse_index_base_b ; -- Begin function _ZN9rocsparseL19gebsrmvn_2xn_kernelILj128ELj10ELj4E21rocsparse_complex_numIdEEEvi20rocsparse_direction_NS_24const_host_device_scalarIT2_EEPKiS8_PKS5_SA_S6_PS5_21rocsparse_index_base_b
	.p2align	8
	.type	_ZN9rocsparseL19gebsrmvn_2xn_kernelILj128ELj10ELj4E21rocsparse_complex_numIdEEEvi20rocsparse_direction_NS_24const_host_device_scalarIT2_EEPKiS8_PKS5_SA_S6_PS5_21rocsparse_index_base_b,@function
_ZN9rocsparseL19gebsrmvn_2xn_kernelILj128ELj10ELj4E21rocsparse_complex_numIdEEEvi20rocsparse_direction_NS_24const_host_device_scalarIT2_EEPKiS8_PKS5_SA_S6_PS5_21rocsparse_index_base_b: ; @_ZN9rocsparseL19gebsrmvn_2xn_kernelILj128ELj10ELj4E21rocsparse_complex_numIdEEEvi20rocsparse_direction_NS_24const_host_device_scalarIT2_EEPKiS8_PKS5_SA_S6_PS5_21rocsparse_index_base_b
; %bb.0:
	s_clause 0x1
	s_load_dwordx2 s[2:3], s[4:5], 0x50
	s_load_dwordx2 s[0:1], s[4:5], 0x8
	s_add_u32 s7, s4, 8
	s_addc_u32 s10, s5, 0
	s_add_u32 s11, s4, 56
	s_addc_u32 s12, s5, 0
	s_load_dwordx2 s[8:9], s[4:5], 0x38
	s_waitcnt lgkmcnt(0)
	s_bitcmp1_b32 s3, 0
	s_cselect_b32 s0, s7, s0
	s_cselect_b32 s1, s10, s1
	v_mov_b32_e32 v1, s0
	v_mov_b32_e32 v2, s1
	s_cselect_b32 s0, s11, s8
	s_cselect_b32 s1, s12, s9
	v_mov_b32_e32 v5, s0
	v_mov_b32_e32 v6, s1
	flat_load_dwordx4 v[1:4], v[1:2]
	flat_load_dwordx4 v[5:8], v[5:6]
	s_waitcnt vmcnt(1) lgkmcnt(1)
	v_cmp_eq_f64_e32 vcc_lo, 0, v[1:2]
	v_cmp_eq_f64_e64 s0, 0, v[3:4]
	s_and_b32 s3, vcc_lo, s0
	s_mov_b32 s0, -1
	s_and_saveexec_b32 s1, s3
	s_cbranch_execz .LBB268_2
; %bb.1:
	s_waitcnt vmcnt(0) lgkmcnt(0)
	v_cmp_neq_f64_e32 vcc_lo, 1.0, v[5:6]
	v_cmp_neq_f64_e64 s0, 0, v[7:8]
	s_or_b32 s0, vcc_lo, s0
	s_orn2_b32 s0, s0, exec_lo
.LBB268_2:
	s_or_b32 exec_lo, exec_lo, s1
	s_and_saveexec_b32 s1, s0
	s_cbranch_execz .LBB268_25
; %bb.3:
	s_load_dwordx2 s[0:1], s[4:5], 0x0
	v_lshrrev_b32_e32 v9, 2, v0
	v_lshl_or_b32 v9, s6, 5, v9
	s_waitcnt lgkmcnt(0)
	v_cmp_gt_i32_e32 vcc_lo, s0, v9
	s_and_b32 exec_lo, exec_lo, vcc_lo
	s_cbranch_execz .LBB268_25
; %bb.4:
	s_load_dwordx8 s[8:15], s[4:5], 0x18
	v_ashrrev_i32_e32 v10, 31, v9
	v_and_b32_e32 v0, 3, v0
	s_cmp_lg_u32 s1, 0
	v_lshlrev_b64 v[10:11], 2, v[9:10]
	s_waitcnt lgkmcnt(0)
	v_add_co_u32 v10, vcc_lo, s8, v10
	v_add_co_ci_u32_e64 v11, null, s9, v11, vcc_lo
	global_load_dwordx2 v[11:12], v[10:11], off
	s_waitcnt vmcnt(0)
	v_subrev_nc_u32_e32 v10, s2, v11
	v_subrev_nc_u32_e32 v24, s2, v12
	v_add_nc_u32_e32 v10, v10, v0
	v_cmp_lt_i32_e64 s0, v10, v24
	s_cbranch_scc0 .LBB268_12
; %bb.5:
	v_mov_b32_e32 v12, 0
	v_mov_b32_e32 v18, 0
	;; [unrolled: 1-line block ×8, first 2 shown]
	s_and_saveexec_b32 s1, s0
	s_cbranch_execz .LBB268_11
; %bb.6:
	v_mul_lo_u32 v25, v10, 20
	v_mov_b32_e32 v12, 0
	v_mov_b32_e32 v18, 0
	;; [unrolled: 1-line block ×10, first 2 shown]
	s_mov_b32 s3, 0
.LBB268_7:                              ; =>This Loop Header: Depth=1
                                        ;     Child Loop BB268_8 Depth 2
	v_ashrrev_i32_e32 v23, 31, v22
	s_mov_b32 s6, 0
	v_lshlrev_b64 v[26:27], 2, v[22:23]
	v_add_co_u32 v26, vcc_lo, s10, v26
	v_add_co_ci_u32_e64 v27, null, s11, v27, vcc_lo
	global_load_dword v20, v[26:27], off
	s_waitcnt vmcnt(0)
	v_subrev_nc_u32_e32 v20, s2, v20
	v_mul_lo_u32 v23, v20, 10
	v_mov_b32_e32 v20, v25
.LBB268_8:                              ;   Parent Loop BB268_7 Depth=1
                                        ; =>  This Inner Loop Header: Depth=2
	v_add_nc_u32_e32 v26, s6, v23
	v_mov_b32_e32 v27, v21
	v_lshlrev_b64 v[28:29], 4, v[20:21]
	v_add_nc_u32_e32 v20, 4, v20
	s_add_i32 s6, s6, 2
	v_lshlrev_b64 v[26:27], 4, v[26:27]
	s_cmp_eq_u32 s6, 10
	v_add_co_u32 v46, vcc_lo, s12, v28
	v_add_co_ci_u32_e64 v47, null, s13, v29, vcc_lo
	v_add_co_u32 v38, vcc_lo, s14, v26
	v_add_co_ci_u32_e64 v39, null, s15, v27, vcc_lo
	s_clause 0x1
	global_load_dwordx4 v[26:29], v[46:47], off offset:16
	global_load_dwordx4 v[30:33], v[46:47], off
	s_clause 0x1
	global_load_dwordx4 v[34:37], v[38:39], off
	global_load_dwordx4 v[38:41], v[38:39], off offset:16
	s_clause 0x1
	global_load_dwordx4 v[42:45], v[46:47], off offset:32
	global_load_dwordx4 v[46:49], v[46:47], off offset:48
	s_waitcnt vmcnt(3)
	v_fma_f64 v[18:19], v[30:31], v[34:35], v[18:19]
	v_fma_f64 v[12:13], v[32:33], v[34:35], v[12:13]
	;; [unrolled: 1-line block ×4, first 2 shown]
	v_fma_f64 v[18:19], -v[32:33], v[36:37], v[18:19]
	v_fma_f64 v[12:13], v[30:31], v[36:37], v[12:13]
	v_fma_f64 v[16:17], -v[28:29], v[36:37], v[16:17]
	v_fma_f64 v[14:15], v[26:27], v[36:37], v[14:15]
	s_waitcnt vmcnt(1)
	v_fma_f64 v[18:19], v[42:43], v[38:39], v[18:19]
	v_fma_f64 v[12:13], v[44:45], v[38:39], v[12:13]
	s_waitcnt vmcnt(0)
	v_fma_f64 v[16:17], v[46:47], v[38:39], v[16:17]
	v_fma_f64 v[14:15], v[48:49], v[38:39], v[14:15]
	v_fma_f64 v[18:19], -v[44:45], v[40:41], v[18:19]
	v_fma_f64 v[12:13], v[42:43], v[40:41], v[12:13]
	v_fma_f64 v[16:17], -v[48:49], v[40:41], v[16:17]
	v_fma_f64 v[14:15], v[46:47], v[40:41], v[14:15]
	s_cbranch_scc0 .LBB268_8
; %bb.9:                                ;   in Loop: Header=BB268_7 Depth=1
	v_add_nc_u32_e32 v22, 4, v22
	v_add_nc_u32_e32 v25, 0x50, v25
	v_cmp_ge_i32_e32 vcc_lo, v22, v24
	s_or_b32 s3, vcc_lo, s3
	s_andn2_b32 exec_lo, exec_lo, s3
	s_cbranch_execnz .LBB268_7
; %bb.10:
	s_or_b32 exec_lo, exec_lo, s3
.LBB268_11:
	s_or_b32 exec_lo, exec_lo, s1
	s_cbranch_execz .LBB268_13
	s_branch .LBB268_20
.LBB268_12:
                                        ; implicit-def: $vgpr12_vgpr13
                                        ; implicit-def: $vgpr18_vgpr19
                                        ; implicit-def: $vgpr16_vgpr17
                                        ; implicit-def: $vgpr14_vgpr15
.LBB268_13:
	v_mov_b32_e32 v12, 0
	v_mov_b32_e32 v18, 0
	;; [unrolled: 1-line block ×8, first 2 shown]
	s_and_saveexec_b32 s1, s0
	s_cbranch_execz .LBB268_19
; %bb.14:
	v_mul_lo_u32 v11, v11, 20
	v_mul_lo_u32 v22, v10, 20
	s_mul_i32 s0, s2, 20
	v_mov_b32_e32 v12, 0
	v_mov_b32_e32 v18, 0
	;; [unrolled: 1-line block ×5, first 2 shown]
	v_mad_u32_u24 v11, v0, 20, v11
	v_mov_b32_e32 v19, 0
	v_mov_b32_e32 v17, 0
	;; [unrolled: 1-line block ×4, first 2 shown]
	v_subrev_nc_u32_e32 v23, s0, v11
	s_mov_b32 s0, 0
.LBB268_15:                             ; =>This Loop Header: Depth=1
                                        ;     Child Loop BB268_16 Depth 2
	v_ashrrev_i32_e32 v11, 31, v10
	s_mov_b32 s3, 0
	v_lshlrev_b64 v[25:26], 2, v[10:11]
	v_add_co_u32 v25, vcc_lo, s10, v25
	v_add_co_ci_u32_e64 v26, null, s11, v26, vcc_lo
	global_load_dword v11, v[25:26], off
	s_waitcnt vmcnt(0)
	v_subrev_nc_u32_e32 v11, s2, v11
	v_mul_lo_u32 v11, v11, 10
.LBB268_16:                             ;   Parent Loop BB268_15 Depth=1
                                        ; =>  This Inner Loop Header: Depth=2
	v_add_nc_u32_e32 v20, s3, v23
	v_lshlrev_b64 v[25:26], 4, v[20:21]
	v_add_nc_u32_e32 v20, s3, v11
	v_lshlrev_b64 v[29:30], 4, v[20:21]
	v_add3_u32 v20, v22, s3, 10
	v_add_co_u32 v31, vcc_lo, s12, v25
	v_add_co_ci_u32_e64 v32, null, s13, v26, vcc_lo
	v_lshlrev_b64 v[33:34], 4, v[20:21]
	v_add_co_u32 v37, vcc_lo, s14, v29
	v_add_co_ci_u32_e64 v38, null, s15, v30, vcc_lo
	global_load_dwordx4 v[25:28], v[31:32], off offset:16
	v_add_co_u32 v45, vcc_lo, s12, v33
	v_add_co_ci_u32_e64 v46, null, s13, v34, vcc_lo
	global_load_dwordx4 v[29:32], v[31:32], off
	s_clause 0x1
	global_load_dwordx4 v[33:36], v[37:38], off
	global_load_dwordx4 v[37:40], v[37:38], off offset:16
	s_clause 0x1
	global_load_dwordx4 v[41:44], v[45:46], off
	global_load_dwordx4 v[45:48], v[45:46], off offset:16
	s_add_i32 s3, s3, 2
	s_cmp_eq_u32 s3, 10
	s_waitcnt vmcnt(3)
	v_fma_f64 v[18:19], v[29:30], v[33:34], v[18:19]
	v_fma_f64 v[12:13], v[31:32], v[33:34], v[12:13]
	s_waitcnt vmcnt(1)
	v_fma_f64 v[16:17], v[41:42], v[33:34], v[16:17]
	v_fma_f64 v[14:15], v[43:44], v[33:34], v[14:15]
	v_fma_f64 v[18:19], -v[31:32], v[35:36], v[18:19]
	v_fma_f64 v[12:13], v[29:30], v[35:36], v[12:13]
	v_fma_f64 v[16:17], -v[43:44], v[35:36], v[16:17]
	v_fma_f64 v[14:15], v[41:42], v[35:36], v[14:15]
	v_fma_f64 v[18:19], v[25:26], v[37:38], v[18:19]
	;; [unrolled: 1-line block ×3, first 2 shown]
	s_waitcnt vmcnt(0)
	v_fma_f64 v[16:17], v[45:46], v[37:38], v[16:17]
	v_fma_f64 v[14:15], v[47:48], v[37:38], v[14:15]
	v_fma_f64 v[18:19], -v[27:28], v[39:40], v[18:19]
	v_fma_f64 v[12:13], v[25:26], v[39:40], v[12:13]
	v_fma_f64 v[16:17], -v[47:48], v[39:40], v[16:17]
	v_fma_f64 v[14:15], v[45:46], v[39:40], v[14:15]
	s_cbranch_scc0 .LBB268_16
; %bb.17:                               ;   in Loop: Header=BB268_15 Depth=1
	v_add_nc_u32_e32 v10, 4, v10
	v_add_nc_u32_e32 v22, 0x50, v22
	;; [unrolled: 1-line block ×3, first 2 shown]
	v_cmp_ge_i32_e32 vcc_lo, v10, v24
	s_or_b32 s0, vcc_lo, s0
	s_andn2_b32 exec_lo, exec_lo, s0
	s_cbranch_execnz .LBB268_15
; %bb.18:
	s_or_b32 exec_lo, exec_lo, s0
.LBB268_19:
	s_or_b32 exec_lo, exec_lo, s1
.LBB268_20:
	v_mbcnt_lo_u32_b32 v26, -1, 0
	v_xor_b32_e32 v10, 2, v26
	v_cmp_gt_i32_e32 vcc_lo, 32, v10
	v_cndmask_b32_e32 v10, v26, v10, vcc_lo
	v_lshlrev_b32_e32 v25, 2, v10
	ds_bpermute_b32 v10, v25, v18
	ds_bpermute_b32 v11, v25, v19
	;; [unrolled: 1-line block ×8, first 2 shown]
	s_waitcnt lgkmcnt(6)
	v_add_f64 v[10:11], v[18:19], v[10:11]
	s_waitcnt lgkmcnt(4)
	v_add_f64 v[18:19], v[12:13], v[20:21]
	;; [unrolled: 2-line block ×3, first 2 shown]
	v_xor_b32_e32 v16, 1, v26
	s_waitcnt lgkmcnt(0)
	v_add_f64 v[14:15], v[14:15], v[24:25]
	v_cmp_gt_i32_e32 vcc_lo, 32, v16
	v_cndmask_b32_e32 v16, v26, v16, vcc_lo
	v_cmp_eq_u32_e32 vcc_lo, 3, v0
	v_lshlrev_b32_e32 v23, 2, v16
	ds_bpermute_b32 v24, v23, v10
	ds_bpermute_b32 v25, v23, v11
	;; [unrolled: 1-line block ×8, first 2 shown]
	s_and_b32 exec_lo, exec_lo, vcc_lo
	s_cbranch_execz .LBB268_25
; %bb.21:
	v_cmp_eq_f64_e32 vcc_lo, 0, v[5:6]
	v_cmp_eq_f64_e64 s0, 0, v[7:8]
	s_waitcnt lgkmcnt(6)
	v_add_f64 v[10:11], v[10:11], v[24:25]
	s_waitcnt lgkmcnt(4)
	v_add_f64 v[16:17], v[18:19], v[16:17]
	;; [unrolled: 2-line block ×4, first 2 shown]
	s_load_dwordx2 s[2:3], s[4:5], 0x48
	s_and_b32 s0, vcc_lo, s0
	s_and_saveexec_b32 s1, s0
	s_xor_b32 s0, exec_lo, s1
	s_cbranch_execz .LBB268_23
; %bb.22:
	v_mul_f64 v[5:6], v[16:17], -v[3:4]
	v_mul_f64 v[7:8], v[1:2], v[16:17]
	v_mul_f64 v[16:17], v[14:15], -v[3:4]
	v_mul_f64 v[14:15], v[1:2], v[14:15]
	v_lshlrev_b32_e32 v9, 1, v9
	v_fma_f64 v[5:6], v[1:2], v[10:11], v[5:6]
	v_fma_f64 v[7:8], v[3:4], v[10:11], v[7:8]
	;; [unrolled: 1-line block ×4, first 2 shown]
	v_ashrrev_i32_e32 v10, 31, v9
                                        ; implicit-def: $vgpr16_vgpr17
                                        ; implicit-def: $vgpr12_vgpr13
                                        ; implicit-def: $vgpr14_vgpr15
	v_lshlrev_b64 v[9:10], 4, v[9:10]
	s_waitcnt lgkmcnt(0)
	v_add_co_u32 v9, vcc_lo, s2, v9
	v_add_co_ci_u32_e64 v10, null, s3, v10, vcc_lo
	global_store_dwordx4 v[9:10], v[5:8], off
	global_store_dwordx4 v[9:10], v[0:3], off offset:16
                                        ; implicit-def: $vgpr9
                                        ; implicit-def: $vgpr10_vgpr11
                                        ; implicit-def: $vgpr7_vgpr8
                                        ; implicit-def: $vgpr3_vgpr4
.LBB268_23:
	s_andn2_saveexec_b32 s0, s0
	s_cbranch_execz .LBB268_25
; %bb.24:
	v_lshlrev_b32_e32 v18, 1, v9
	v_mul_f64 v[28:29], v[16:17], -v[3:4]
	v_mul_f64 v[16:17], v[1:2], v[16:17]
	v_mul_f64 v[30:31], v[14:15], -v[3:4]
	v_mul_f64 v[14:15], v[1:2], v[14:15]
	v_ashrrev_i32_e32 v19, 31, v18
	v_lshlrev_b64 v[18:19], 4, v[18:19]
	s_waitcnt lgkmcnt(0)
	v_add_co_u32 v26, vcc_lo, s2, v18
	v_add_co_ci_u32_e64 v27, null, s3, v19, vcc_lo
	s_clause 0x1
	global_load_dwordx4 v[18:21], v[26:27], off
	global_load_dwordx4 v[22:25], v[26:27], off offset:16
	v_fma_f64 v[28:29], v[1:2], v[10:11], v[28:29]
	v_fma_f64 v[9:10], v[3:4], v[10:11], v[16:17]
	;; [unrolled: 1-line block ×4, first 2 shown]
	s_waitcnt vmcnt(1)
	v_fma_f64 v[11:12], v[5:6], v[18:19], v[28:29]
	v_fma_f64 v[9:10], v[7:8], v[18:19], v[9:10]
	s_waitcnt vmcnt(0)
	v_fma_f64 v[13:14], v[5:6], v[22:23], v[0:1]
	v_fma_f64 v[15:16], v[7:8], v[22:23], v[2:3]
	v_fma_f64 v[0:1], -v[7:8], v[20:21], v[11:12]
	v_fma_f64 v[2:3], v[5:6], v[20:21], v[9:10]
	v_fma_f64 v[7:8], -v[7:8], v[24:25], v[13:14]
	v_fma_f64 v[9:10], v[5:6], v[24:25], v[15:16]
	global_store_dwordx4 v[26:27], v[0:3], off
	global_store_dwordx4 v[26:27], v[7:10], off offset:16
.LBB268_25:
	s_endpgm
	.section	.rodata,"a",@progbits
	.p2align	6, 0x0
	.amdhsa_kernel _ZN9rocsparseL19gebsrmvn_2xn_kernelILj128ELj10ELj4E21rocsparse_complex_numIdEEEvi20rocsparse_direction_NS_24const_host_device_scalarIT2_EEPKiS8_PKS5_SA_S6_PS5_21rocsparse_index_base_b
		.amdhsa_group_segment_fixed_size 0
		.amdhsa_private_segment_fixed_size 0
		.amdhsa_kernarg_size 88
		.amdhsa_user_sgpr_count 6
		.amdhsa_user_sgpr_private_segment_buffer 1
		.amdhsa_user_sgpr_dispatch_ptr 0
		.amdhsa_user_sgpr_queue_ptr 0
		.amdhsa_user_sgpr_kernarg_segment_ptr 1
		.amdhsa_user_sgpr_dispatch_id 0
		.amdhsa_user_sgpr_flat_scratch_init 0
		.amdhsa_user_sgpr_private_segment_size 0
		.amdhsa_wavefront_size32 1
		.amdhsa_uses_dynamic_stack 0
		.amdhsa_system_sgpr_private_segment_wavefront_offset 0
		.amdhsa_system_sgpr_workgroup_id_x 1
		.amdhsa_system_sgpr_workgroup_id_y 0
		.amdhsa_system_sgpr_workgroup_id_z 0
		.amdhsa_system_sgpr_workgroup_info 0
		.amdhsa_system_vgpr_workitem_id 0
		.amdhsa_next_free_vgpr 50
		.amdhsa_next_free_sgpr 16
		.amdhsa_reserve_vcc 1
		.amdhsa_reserve_flat_scratch 0
		.amdhsa_float_round_mode_32 0
		.amdhsa_float_round_mode_16_64 0
		.amdhsa_float_denorm_mode_32 3
		.amdhsa_float_denorm_mode_16_64 3
		.amdhsa_dx10_clamp 1
		.amdhsa_ieee_mode 1
		.amdhsa_fp16_overflow 0
		.amdhsa_workgroup_processor_mode 1
		.amdhsa_memory_ordered 1
		.amdhsa_forward_progress 1
		.amdhsa_shared_vgpr_count 0
		.amdhsa_exception_fp_ieee_invalid_op 0
		.amdhsa_exception_fp_denorm_src 0
		.amdhsa_exception_fp_ieee_div_zero 0
		.amdhsa_exception_fp_ieee_overflow 0
		.amdhsa_exception_fp_ieee_underflow 0
		.amdhsa_exception_fp_ieee_inexact 0
		.amdhsa_exception_int_div_zero 0
	.end_amdhsa_kernel
	.section	.text._ZN9rocsparseL19gebsrmvn_2xn_kernelILj128ELj10ELj4E21rocsparse_complex_numIdEEEvi20rocsparse_direction_NS_24const_host_device_scalarIT2_EEPKiS8_PKS5_SA_S6_PS5_21rocsparse_index_base_b,"axG",@progbits,_ZN9rocsparseL19gebsrmvn_2xn_kernelILj128ELj10ELj4E21rocsparse_complex_numIdEEEvi20rocsparse_direction_NS_24const_host_device_scalarIT2_EEPKiS8_PKS5_SA_S6_PS5_21rocsparse_index_base_b,comdat
.Lfunc_end268:
	.size	_ZN9rocsparseL19gebsrmvn_2xn_kernelILj128ELj10ELj4E21rocsparse_complex_numIdEEEvi20rocsparse_direction_NS_24const_host_device_scalarIT2_EEPKiS8_PKS5_SA_S6_PS5_21rocsparse_index_base_b, .Lfunc_end268-_ZN9rocsparseL19gebsrmvn_2xn_kernelILj128ELj10ELj4E21rocsparse_complex_numIdEEEvi20rocsparse_direction_NS_24const_host_device_scalarIT2_EEPKiS8_PKS5_SA_S6_PS5_21rocsparse_index_base_b
                                        ; -- End function
	.set _ZN9rocsparseL19gebsrmvn_2xn_kernelILj128ELj10ELj4E21rocsparse_complex_numIdEEEvi20rocsparse_direction_NS_24const_host_device_scalarIT2_EEPKiS8_PKS5_SA_S6_PS5_21rocsparse_index_base_b.num_vgpr, 50
	.set _ZN9rocsparseL19gebsrmvn_2xn_kernelILj128ELj10ELj4E21rocsparse_complex_numIdEEEvi20rocsparse_direction_NS_24const_host_device_scalarIT2_EEPKiS8_PKS5_SA_S6_PS5_21rocsparse_index_base_b.num_agpr, 0
	.set _ZN9rocsparseL19gebsrmvn_2xn_kernelILj128ELj10ELj4E21rocsparse_complex_numIdEEEvi20rocsparse_direction_NS_24const_host_device_scalarIT2_EEPKiS8_PKS5_SA_S6_PS5_21rocsparse_index_base_b.numbered_sgpr, 16
	.set _ZN9rocsparseL19gebsrmvn_2xn_kernelILj128ELj10ELj4E21rocsparse_complex_numIdEEEvi20rocsparse_direction_NS_24const_host_device_scalarIT2_EEPKiS8_PKS5_SA_S6_PS5_21rocsparse_index_base_b.num_named_barrier, 0
	.set _ZN9rocsparseL19gebsrmvn_2xn_kernelILj128ELj10ELj4E21rocsparse_complex_numIdEEEvi20rocsparse_direction_NS_24const_host_device_scalarIT2_EEPKiS8_PKS5_SA_S6_PS5_21rocsparse_index_base_b.private_seg_size, 0
	.set _ZN9rocsparseL19gebsrmvn_2xn_kernelILj128ELj10ELj4E21rocsparse_complex_numIdEEEvi20rocsparse_direction_NS_24const_host_device_scalarIT2_EEPKiS8_PKS5_SA_S6_PS5_21rocsparse_index_base_b.uses_vcc, 1
	.set _ZN9rocsparseL19gebsrmvn_2xn_kernelILj128ELj10ELj4E21rocsparse_complex_numIdEEEvi20rocsparse_direction_NS_24const_host_device_scalarIT2_EEPKiS8_PKS5_SA_S6_PS5_21rocsparse_index_base_b.uses_flat_scratch, 0
	.set _ZN9rocsparseL19gebsrmvn_2xn_kernelILj128ELj10ELj4E21rocsparse_complex_numIdEEEvi20rocsparse_direction_NS_24const_host_device_scalarIT2_EEPKiS8_PKS5_SA_S6_PS5_21rocsparse_index_base_b.has_dyn_sized_stack, 0
	.set _ZN9rocsparseL19gebsrmvn_2xn_kernelILj128ELj10ELj4E21rocsparse_complex_numIdEEEvi20rocsparse_direction_NS_24const_host_device_scalarIT2_EEPKiS8_PKS5_SA_S6_PS5_21rocsparse_index_base_b.has_recursion, 0
	.set _ZN9rocsparseL19gebsrmvn_2xn_kernelILj128ELj10ELj4E21rocsparse_complex_numIdEEEvi20rocsparse_direction_NS_24const_host_device_scalarIT2_EEPKiS8_PKS5_SA_S6_PS5_21rocsparse_index_base_b.has_indirect_call, 0
	.section	.AMDGPU.csdata,"",@progbits
; Kernel info:
; codeLenInByte = 1912
; TotalNumSgprs: 18
; NumVgprs: 50
; ScratchSize: 0
; MemoryBound: 0
; FloatMode: 240
; IeeeMode: 1
; LDSByteSize: 0 bytes/workgroup (compile time only)
; SGPRBlocks: 0
; VGPRBlocks: 6
; NumSGPRsForWavesPerEU: 18
; NumVGPRsForWavesPerEU: 50
; Occupancy: 16
; WaveLimiterHint : 1
; COMPUTE_PGM_RSRC2:SCRATCH_EN: 0
; COMPUTE_PGM_RSRC2:USER_SGPR: 6
; COMPUTE_PGM_RSRC2:TRAP_HANDLER: 0
; COMPUTE_PGM_RSRC2:TGID_X_EN: 1
; COMPUTE_PGM_RSRC2:TGID_Y_EN: 0
; COMPUTE_PGM_RSRC2:TGID_Z_EN: 0
; COMPUTE_PGM_RSRC2:TIDIG_COMP_CNT: 0
	.section	.text._ZN9rocsparseL19gebsrmvn_2xn_kernelILj128ELj10ELj8E21rocsparse_complex_numIdEEEvi20rocsparse_direction_NS_24const_host_device_scalarIT2_EEPKiS8_PKS5_SA_S6_PS5_21rocsparse_index_base_b,"axG",@progbits,_ZN9rocsparseL19gebsrmvn_2xn_kernelILj128ELj10ELj8E21rocsparse_complex_numIdEEEvi20rocsparse_direction_NS_24const_host_device_scalarIT2_EEPKiS8_PKS5_SA_S6_PS5_21rocsparse_index_base_b,comdat
	.globl	_ZN9rocsparseL19gebsrmvn_2xn_kernelILj128ELj10ELj8E21rocsparse_complex_numIdEEEvi20rocsparse_direction_NS_24const_host_device_scalarIT2_EEPKiS8_PKS5_SA_S6_PS5_21rocsparse_index_base_b ; -- Begin function _ZN9rocsparseL19gebsrmvn_2xn_kernelILj128ELj10ELj8E21rocsparse_complex_numIdEEEvi20rocsparse_direction_NS_24const_host_device_scalarIT2_EEPKiS8_PKS5_SA_S6_PS5_21rocsparse_index_base_b
	.p2align	8
	.type	_ZN9rocsparseL19gebsrmvn_2xn_kernelILj128ELj10ELj8E21rocsparse_complex_numIdEEEvi20rocsparse_direction_NS_24const_host_device_scalarIT2_EEPKiS8_PKS5_SA_S6_PS5_21rocsparse_index_base_b,@function
_ZN9rocsparseL19gebsrmvn_2xn_kernelILj128ELj10ELj8E21rocsparse_complex_numIdEEEvi20rocsparse_direction_NS_24const_host_device_scalarIT2_EEPKiS8_PKS5_SA_S6_PS5_21rocsparse_index_base_b: ; @_ZN9rocsparseL19gebsrmvn_2xn_kernelILj128ELj10ELj8E21rocsparse_complex_numIdEEEvi20rocsparse_direction_NS_24const_host_device_scalarIT2_EEPKiS8_PKS5_SA_S6_PS5_21rocsparse_index_base_b
; %bb.0:
	s_clause 0x1
	s_load_dwordx2 s[2:3], s[4:5], 0x50
	s_load_dwordx2 s[0:1], s[4:5], 0x8
	s_add_u32 s7, s4, 8
	s_addc_u32 s10, s5, 0
	s_add_u32 s11, s4, 56
	s_addc_u32 s12, s5, 0
	s_load_dwordx2 s[8:9], s[4:5], 0x38
	s_waitcnt lgkmcnt(0)
	s_bitcmp1_b32 s3, 0
	s_cselect_b32 s0, s7, s0
	s_cselect_b32 s1, s10, s1
	v_mov_b32_e32 v1, s0
	v_mov_b32_e32 v2, s1
	s_cselect_b32 s0, s11, s8
	s_cselect_b32 s1, s12, s9
	v_mov_b32_e32 v5, s0
	v_mov_b32_e32 v6, s1
	flat_load_dwordx4 v[1:4], v[1:2]
	flat_load_dwordx4 v[5:8], v[5:6]
	s_waitcnt vmcnt(1) lgkmcnt(1)
	v_cmp_eq_f64_e32 vcc_lo, 0, v[1:2]
	v_cmp_eq_f64_e64 s0, 0, v[3:4]
	s_and_b32 s3, vcc_lo, s0
	s_mov_b32 s0, -1
	s_and_saveexec_b32 s1, s3
	s_cbranch_execz .LBB269_2
; %bb.1:
	s_waitcnt vmcnt(0) lgkmcnt(0)
	v_cmp_neq_f64_e32 vcc_lo, 1.0, v[5:6]
	v_cmp_neq_f64_e64 s0, 0, v[7:8]
	s_or_b32 s0, vcc_lo, s0
	s_orn2_b32 s0, s0, exec_lo
.LBB269_2:
	s_or_b32 exec_lo, exec_lo, s1
	s_and_saveexec_b32 s1, s0
	s_cbranch_execz .LBB269_25
; %bb.3:
	s_load_dwordx2 s[0:1], s[4:5], 0x0
	v_lshrrev_b32_e32 v9, 3, v0
	v_lshl_or_b32 v9, s6, 4, v9
	s_waitcnt lgkmcnt(0)
	v_cmp_gt_i32_e32 vcc_lo, s0, v9
	s_and_b32 exec_lo, exec_lo, vcc_lo
	s_cbranch_execz .LBB269_25
; %bb.4:
	s_load_dwordx8 s[8:15], s[4:5], 0x18
	v_ashrrev_i32_e32 v10, 31, v9
	v_and_b32_e32 v0, 7, v0
	s_cmp_lg_u32 s1, 0
	v_lshlrev_b64 v[10:11], 2, v[9:10]
	s_waitcnt lgkmcnt(0)
	v_add_co_u32 v10, vcc_lo, s8, v10
	v_add_co_ci_u32_e64 v11, null, s9, v11, vcc_lo
	global_load_dwordx2 v[15:16], v[10:11], off
	s_waitcnt vmcnt(0)
	v_subrev_nc_u32_e32 v10, s2, v15
	v_subrev_nc_u32_e32 v24, s2, v16
	v_add_nc_u32_e32 v14, v10, v0
	v_cmp_lt_i32_e64 s0, v14, v24
	s_cbranch_scc0 .LBB269_12
; %bb.5:
	v_mov_b32_e32 v10, 0
	v_mov_b32_e32 v18, 0
	;; [unrolled: 1-line block ×8, first 2 shown]
	s_and_saveexec_b32 s1, s0
	s_cbranch_execz .LBB269_11
; %bb.6:
	v_mul_lo_u32 v25, v14, 20
	v_mov_b32_e32 v10, 0
	v_mov_b32_e32 v18, 0
	;; [unrolled: 1-line block ×10, first 2 shown]
	s_mov_b32 s3, 0
.LBB269_7:                              ; =>This Loop Header: Depth=1
                                        ;     Child Loop BB269_8 Depth 2
	v_ashrrev_i32_e32 v23, 31, v22
	s_mov_b32 s6, 0
	v_lshlrev_b64 v[26:27], 2, v[22:23]
	v_add_co_u32 v26, vcc_lo, s10, v26
	v_add_co_ci_u32_e64 v27, null, s11, v27, vcc_lo
	global_load_dword v20, v[26:27], off
	s_waitcnt vmcnt(0)
	v_subrev_nc_u32_e32 v20, s2, v20
	v_mul_lo_u32 v23, v20, 10
	v_mov_b32_e32 v20, v25
.LBB269_8:                              ;   Parent Loop BB269_7 Depth=1
                                        ; =>  This Inner Loop Header: Depth=2
	v_add_nc_u32_e32 v26, s6, v23
	v_mov_b32_e32 v27, v21
	v_lshlrev_b64 v[28:29], 4, v[20:21]
	v_add_nc_u32_e32 v20, 4, v20
	s_add_i32 s6, s6, 2
	v_lshlrev_b64 v[26:27], 4, v[26:27]
	s_cmp_eq_u32 s6, 10
	v_add_co_u32 v46, vcc_lo, s12, v28
	v_add_co_ci_u32_e64 v47, null, s13, v29, vcc_lo
	v_add_co_u32 v38, vcc_lo, s14, v26
	v_add_co_ci_u32_e64 v39, null, s15, v27, vcc_lo
	s_clause 0x1
	global_load_dwordx4 v[26:29], v[46:47], off offset:16
	global_load_dwordx4 v[30:33], v[46:47], off
	s_clause 0x1
	global_load_dwordx4 v[34:37], v[38:39], off
	global_load_dwordx4 v[38:41], v[38:39], off offset:16
	s_clause 0x1
	global_load_dwordx4 v[42:45], v[46:47], off offset:32
	global_load_dwordx4 v[46:49], v[46:47], off offset:48
	s_waitcnt vmcnt(3)
	v_fma_f64 v[18:19], v[30:31], v[34:35], v[18:19]
	v_fma_f64 v[10:11], v[32:33], v[34:35], v[10:11]
	;; [unrolled: 1-line block ×4, first 2 shown]
	v_fma_f64 v[18:19], -v[32:33], v[36:37], v[18:19]
	v_fma_f64 v[10:11], v[30:31], v[36:37], v[10:11]
	v_fma_f64 v[16:17], -v[28:29], v[36:37], v[16:17]
	v_fma_f64 v[12:13], v[26:27], v[36:37], v[12:13]
	s_waitcnt vmcnt(1)
	v_fma_f64 v[18:19], v[42:43], v[38:39], v[18:19]
	v_fma_f64 v[10:11], v[44:45], v[38:39], v[10:11]
	s_waitcnt vmcnt(0)
	v_fma_f64 v[16:17], v[46:47], v[38:39], v[16:17]
	v_fma_f64 v[12:13], v[48:49], v[38:39], v[12:13]
	v_fma_f64 v[18:19], -v[44:45], v[40:41], v[18:19]
	v_fma_f64 v[10:11], v[42:43], v[40:41], v[10:11]
	v_fma_f64 v[16:17], -v[48:49], v[40:41], v[16:17]
	v_fma_f64 v[12:13], v[46:47], v[40:41], v[12:13]
	s_cbranch_scc0 .LBB269_8
; %bb.9:                                ;   in Loop: Header=BB269_7 Depth=1
	v_add_nc_u32_e32 v22, 8, v22
	v_add_nc_u32_e32 v25, 0xa0, v25
	v_cmp_ge_i32_e32 vcc_lo, v22, v24
	s_or_b32 s3, vcc_lo, s3
	s_andn2_b32 exec_lo, exec_lo, s3
	s_cbranch_execnz .LBB269_7
; %bb.10:
	s_or_b32 exec_lo, exec_lo, s3
.LBB269_11:
	s_or_b32 exec_lo, exec_lo, s1
	s_cbranch_execz .LBB269_13
	s_branch .LBB269_20
.LBB269_12:
                                        ; implicit-def: $vgpr10_vgpr11
                                        ; implicit-def: $vgpr18_vgpr19
                                        ; implicit-def: $vgpr16_vgpr17
                                        ; implicit-def: $vgpr12_vgpr13
.LBB269_13:
	v_mov_b32_e32 v10, 0
	v_mov_b32_e32 v18, 0
	v_mov_b32_e32 v16, 0
	v_mov_b32_e32 v12, 0
	v_mov_b32_e32 v11, 0
	v_mov_b32_e32 v19, 0
	v_mov_b32_e32 v17, 0
	v_mov_b32_e32 v13, 0
	s_and_saveexec_b32 s1, s0
	s_cbranch_execz .LBB269_19
; %bb.14:
	v_mul_lo_u32 v10, v15, 20
	v_mul_lo_u32 v22, v14, 20
	s_mul_i32 s0, s2, 20
	v_mov_b32_e32 v18, 0
	v_mov_b32_e32 v16, 0
	;; [unrolled: 1-line block ×5, first 2 shown]
	v_mad_u32_u24 v15, v0, 20, v10
	v_mov_b32_e32 v10, 0
	v_mov_b32_e32 v11, 0
	;; [unrolled: 1-line block ×4, first 2 shown]
	v_subrev_nc_u32_e32 v23, s0, v15
	s_mov_b32 s0, 0
.LBB269_15:                             ; =>This Loop Header: Depth=1
                                        ;     Child Loop BB269_16 Depth 2
	v_ashrrev_i32_e32 v15, 31, v14
	s_mov_b32 s3, 0
	v_lshlrev_b64 v[25:26], 2, v[14:15]
	v_add_co_u32 v25, vcc_lo, s10, v25
	v_add_co_ci_u32_e64 v26, null, s11, v26, vcc_lo
	global_load_dword v15, v[25:26], off
	s_waitcnt vmcnt(0)
	v_subrev_nc_u32_e32 v15, s2, v15
	v_mul_lo_u32 v15, v15, 10
.LBB269_16:                             ;   Parent Loop BB269_15 Depth=1
                                        ; =>  This Inner Loop Header: Depth=2
	v_add_nc_u32_e32 v20, s3, v23
	v_lshlrev_b64 v[25:26], 4, v[20:21]
	v_add_nc_u32_e32 v20, s3, v15
	v_lshlrev_b64 v[29:30], 4, v[20:21]
	v_add3_u32 v20, v22, s3, 10
	v_add_co_u32 v31, vcc_lo, s12, v25
	v_add_co_ci_u32_e64 v32, null, s13, v26, vcc_lo
	v_lshlrev_b64 v[33:34], 4, v[20:21]
	v_add_co_u32 v37, vcc_lo, s14, v29
	v_add_co_ci_u32_e64 v38, null, s15, v30, vcc_lo
	global_load_dwordx4 v[25:28], v[31:32], off offset:16
	v_add_co_u32 v45, vcc_lo, s12, v33
	v_add_co_ci_u32_e64 v46, null, s13, v34, vcc_lo
	global_load_dwordx4 v[29:32], v[31:32], off
	s_clause 0x1
	global_load_dwordx4 v[33:36], v[37:38], off
	global_load_dwordx4 v[37:40], v[37:38], off offset:16
	s_clause 0x1
	global_load_dwordx4 v[41:44], v[45:46], off
	global_load_dwordx4 v[45:48], v[45:46], off offset:16
	s_add_i32 s3, s3, 2
	s_cmp_eq_u32 s3, 10
	s_waitcnt vmcnt(3)
	v_fma_f64 v[18:19], v[29:30], v[33:34], v[18:19]
	v_fma_f64 v[10:11], v[31:32], v[33:34], v[10:11]
	s_waitcnt vmcnt(1)
	v_fma_f64 v[16:17], v[41:42], v[33:34], v[16:17]
	v_fma_f64 v[12:13], v[43:44], v[33:34], v[12:13]
	v_fma_f64 v[18:19], -v[31:32], v[35:36], v[18:19]
	v_fma_f64 v[10:11], v[29:30], v[35:36], v[10:11]
	v_fma_f64 v[16:17], -v[43:44], v[35:36], v[16:17]
	v_fma_f64 v[12:13], v[41:42], v[35:36], v[12:13]
	v_fma_f64 v[18:19], v[25:26], v[37:38], v[18:19]
	;; [unrolled: 1-line block ×3, first 2 shown]
	s_waitcnt vmcnt(0)
	v_fma_f64 v[16:17], v[45:46], v[37:38], v[16:17]
	v_fma_f64 v[12:13], v[47:48], v[37:38], v[12:13]
	v_fma_f64 v[18:19], -v[27:28], v[39:40], v[18:19]
	v_fma_f64 v[10:11], v[25:26], v[39:40], v[10:11]
	v_fma_f64 v[16:17], -v[47:48], v[39:40], v[16:17]
	v_fma_f64 v[12:13], v[45:46], v[39:40], v[12:13]
	s_cbranch_scc0 .LBB269_16
; %bb.17:                               ;   in Loop: Header=BB269_15 Depth=1
	v_add_nc_u32_e32 v14, 8, v14
	v_add_nc_u32_e32 v22, 0xa0, v22
	;; [unrolled: 1-line block ×3, first 2 shown]
	v_cmp_ge_i32_e32 vcc_lo, v14, v24
	s_or_b32 s0, vcc_lo, s0
	s_andn2_b32 exec_lo, exec_lo, s0
	s_cbranch_execnz .LBB269_15
; %bb.18:
	s_or_b32 exec_lo, exec_lo, s0
.LBB269_19:
	s_or_b32 exec_lo, exec_lo, s1
.LBB269_20:
	v_mbcnt_lo_u32_b32 v28, -1, 0
	v_xor_b32_e32 v14, 4, v28
	v_cmp_gt_i32_e32 vcc_lo, 32, v14
	v_cndmask_b32_e32 v14, v28, v14, vcc_lo
	v_lshlrev_b32_e32 v25, 2, v14
	ds_bpermute_b32 v14, v25, v18
	ds_bpermute_b32 v15, v25, v19
	;; [unrolled: 1-line block ×8, first 2 shown]
	s_waitcnt lgkmcnt(6)
	v_add_f64 v[14:15], v[18:19], v[14:15]
	s_waitcnt lgkmcnt(4)
	v_add_f64 v[18:19], v[10:11], v[20:21]
	v_xor_b32_e32 v10, 2, v28
	s_waitcnt lgkmcnt(2)
	v_add_f64 v[20:21], v[16:17], v[22:23]
	s_waitcnt lgkmcnt(0)
	v_add_f64 v[22:23], v[12:13], v[24:25]
	v_cmp_gt_i32_e32 vcc_lo, 32, v10
	v_cndmask_b32_e32 v10, v28, v10, vcc_lo
	v_lshlrev_b32_e32 v16, 2, v10
	ds_bpermute_b32 v10, v16, v14
	ds_bpermute_b32 v11, v16, v15
	ds_bpermute_b32 v12, v16, v18
	ds_bpermute_b32 v13, v16, v19
	ds_bpermute_b32 v24, v16, v20
	ds_bpermute_b32 v25, v16, v21
	ds_bpermute_b32 v26, v16, v22
	ds_bpermute_b32 v27, v16, v23
	s_waitcnt lgkmcnt(6)
	v_add_f64 v[10:11], v[14:15], v[10:11]
	s_waitcnt lgkmcnt(4)
	v_add_f64 v[16:17], v[18:19], v[12:13]
	v_xor_b32_e32 v18, 1, v28
	s_waitcnt lgkmcnt(2)
	v_add_f64 v[12:13], v[20:21], v[24:25]
	s_waitcnt lgkmcnt(0)
	v_add_f64 v[14:15], v[22:23], v[26:27]
	v_cmp_gt_i32_e32 vcc_lo, 32, v18
	v_cndmask_b32_e32 v18, v28, v18, vcc_lo
	v_cmp_eq_u32_e32 vcc_lo, 7, v0
	v_lshlrev_b32_e32 v21, 2, v18
	ds_bpermute_b32 v24, v21, v10
	ds_bpermute_b32 v25, v21, v11
	;; [unrolled: 1-line block ×8, first 2 shown]
	s_and_b32 exec_lo, exec_lo, vcc_lo
	s_cbranch_execz .LBB269_25
; %bb.21:
	v_cmp_eq_f64_e32 vcc_lo, 0, v[5:6]
	v_cmp_eq_f64_e64 s0, 0, v[7:8]
	s_waitcnt lgkmcnt(6)
	v_add_f64 v[10:11], v[10:11], v[24:25]
	s_waitcnt lgkmcnt(4)
	v_add_f64 v[16:17], v[16:17], v[22:23]
	;; [unrolled: 2-line block ×4, first 2 shown]
	s_load_dwordx2 s[2:3], s[4:5], 0x48
	s_and_b32 s0, vcc_lo, s0
	s_and_saveexec_b32 s1, s0
	s_xor_b32 s0, exec_lo, s1
	s_cbranch_execz .LBB269_23
; %bb.22:
	v_mul_f64 v[5:6], v[16:17], -v[3:4]
	v_mul_f64 v[7:8], v[1:2], v[16:17]
	v_mul_f64 v[16:17], v[14:15], -v[3:4]
	v_mul_f64 v[14:15], v[1:2], v[14:15]
	v_lshlrev_b32_e32 v9, 1, v9
	v_fma_f64 v[5:6], v[1:2], v[10:11], v[5:6]
	v_fma_f64 v[7:8], v[3:4], v[10:11], v[7:8]
	;; [unrolled: 1-line block ×4, first 2 shown]
	v_ashrrev_i32_e32 v10, 31, v9
                                        ; implicit-def: $vgpr16_vgpr17
                                        ; implicit-def: $vgpr12_vgpr13
                                        ; implicit-def: $vgpr14_vgpr15
	v_lshlrev_b64 v[9:10], 4, v[9:10]
	s_waitcnt lgkmcnt(0)
	v_add_co_u32 v9, vcc_lo, s2, v9
	v_add_co_ci_u32_e64 v10, null, s3, v10, vcc_lo
	global_store_dwordx4 v[9:10], v[5:8], off
	global_store_dwordx4 v[9:10], v[0:3], off offset:16
                                        ; implicit-def: $vgpr9
                                        ; implicit-def: $vgpr10_vgpr11
                                        ; implicit-def: $vgpr7_vgpr8
                                        ; implicit-def: $vgpr3_vgpr4
.LBB269_23:
	s_andn2_saveexec_b32 s0, s0
	s_cbranch_execz .LBB269_25
; %bb.24:
	v_lshlrev_b32_e32 v18, 1, v9
	v_mul_f64 v[28:29], v[16:17], -v[3:4]
	v_mul_f64 v[16:17], v[1:2], v[16:17]
	v_mul_f64 v[30:31], v[14:15], -v[3:4]
	v_mul_f64 v[14:15], v[1:2], v[14:15]
	v_ashrrev_i32_e32 v19, 31, v18
	v_lshlrev_b64 v[18:19], 4, v[18:19]
	s_waitcnt lgkmcnt(0)
	v_add_co_u32 v26, vcc_lo, s2, v18
	v_add_co_ci_u32_e64 v27, null, s3, v19, vcc_lo
	s_clause 0x1
	global_load_dwordx4 v[18:21], v[26:27], off
	global_load_dwordx4 v[22:25], v[26:27], off offset:16
	v_fma_f64 v[28:29], v[1:2], v[10:11], v[28:29]
	v_fma_f64 v[9:10], v[3:4], v[10:11], v[16:17]
	;; [unrolled: 1-line block ×4, first 2 shown]
	s_waitcnt vmcnt(1)
	v_fma_f64 v[11:12], v[5:6], v[18:19], v[28:29]
	v_fma_f64 v[9:10], v[7:8], v[18:19], v[9:10]
	s_waitcnt vmcnt(0)
	v_fma_f64 v[13:14], v[5:6], v[22:23], v[0:1]
	v_fma_f64 v[15:16], v[7:8], v[22:23], v[2:3]
	v_fma_f64 v[0:1], -v[7:8], v[20:21], v[11:12]
	v_fma_f64 v[2:3], v[5:6], v[20:21], v[9:10]
	v_fma_f64 v[7:8], -v[7:8], v[24:25], v[13:14]
	v_fma_f64 v[9:10], v[5:6], v[24:25], v[15:16]
	global_store_dwordx4 v[26:27], v[0:3], off
	global_store_dwordx4 v[26:27], v[7:10], off offset:16
.LBB269_25:
	s_endpgm
	.section	.rodata,"a",@progbits
	.p2align	6, 0x0
	.amdhsa_kernel _ZN9rocsparseL19gebsrmvn_2xn_kernelILj128ELj10ELj8E21rocsparse_complex_numIdEEEvi20rocsparse_direction_NS_24const_host_device_scalarIT2_EEPKiS8_PKS5_SA_S6_PS5_21rocsparse_index_base_b
		.amdhsa_group_segment_fixed_size 0
		.amdhsa_private_segment_fixed_size 0
		.amdhsa_kernarg_size 88
		.amdhsa_user_sgpr_count 6
		.amdhsa_user_sgpr_private_segment_buffer 1
		.amdhsa_user_sgpr_dispatch_ptr 0
		.amdhsa_user_sgpr_queue_ptr 0
		.amdhsa_user_sgpr_kernarg_segment_ptr 1
		.amdhsa_user_sgpr_dispatch_id 0
		.amdhsa_user_sgpr_flat_scratch_init 0
		.amdhsa_user_sgpr_private_segment_size 0
		.amdhsa_wavefront_size32 1
		.amdhsa_uses_dynamic_stack 0
		.amdhsa_system_sgpr_private_segment_wavefront_offset 0
		.amdhsa_system_sgpr_workgroup_id_x 1
		.amdhsa_system_sgpr_workgroup_id_y 0
		.amdhsa_system_sgpr_workgroup_id_z 0
		.amdhsa_system_sgpr_workgroup_info 0
		.amdhsa_system_vgpr_workitem_id 0
		.amdhsa_next_free_vgpr 50
		.amdhsa_next_free_sgpr 16
		.amdhsa_reserve_vcc 1
		.amdhsa_reserve_flat_scratch 0
		.amdhsa_float_round_mode_32 0
		.amdhsa_float_round_mode_16_64 0
		.amdhsa_float_denorm_mode_32 3
		.amdhsa_float_denorm_mode_16_64 3
		.amdhsa_dx10_clamp 1
		.amdhsa_ieee_mode 1
		.amdhsa_fp16_overflow 0
		.amdhsa_workgroup_processor_mode 1
		.amdhsa_memory_ordered 1
		.amdhsa_forward_progress 1
		.amdhsa_shared_vgpr_count 0
		.amdhsa_exception_fp_ieee_invalid_op 0
		.amdhsa_exception_fp_denorm_src 0
		.amdhsa_exception_fp_ieee_div_zero 0
		.amdhsa_exception_fp_ieee_overflow 0
		.amdhsa_exception_fp_ieee_underflow 0
		.amdhsa_exception_fp_ieee_inexact 0
		.amdhsa_exception_int_div_zero 0
	.end_amdhsa_kernel
	.section	.text._ZN9rocsparseL19gebsrmvn_2xn_kernelILj128ELj10ELj8E21rocsparse_complex_numIdEEEvi20rocsparse_direction_NS_24const_host_device_scalarIT2_EEPKiS8_PKS5_SA_S6_PS5_21rocsparse_index_base_b,"axG",@progbits,_ZN9rocsparseL19gebsrmvn_2xn_kernelILj128ELj10ELj8E21rocsparse_complex_numIdEEEvi20rocsparse_direction_NS_24const_host_device_scalarIT2_EEPKiS8_PKS5_SA_S6_PS5_21rocsparse_index_base_b,comdat
.Lfunc_end269:
	.size	_ZN9rocsparseL19gebsrmvn_2xn_kernelILj128ELj10ELj8E21rocsparse_complex_numIdEEEvi20rocsparse_direction_NS_24const_host_device_scalarIT2_EEPKiS8_PKS5_SA_S6_PS5_21rocsparse_index_base_b, .Lfunc_end269-_ZN9rocsparseL19gebsrmvn_2xn_kernelILj128ELj10ELj8E21rocsparse_complex_numIdEEEvi20rocsparse_direction_NS_24const_host_device_scalarIT2_EEPKiS8_PKS5_SA_S6_PS5_21rocsparse_index_base_b
                                        ; -- End function
	.set _ZN9rocsparseL19gebsrmvn_2xn_kernelILj128ELj10ELj8E21rocsparse_complex_numIdEEEvi20rocsparse_direction_NS_24const_host_device_scalarIT2_EEPKiS8_PKS5_SA_S6_PS5_21rocsparse_index_base_b.num_vgpr, 50
	.set _ZN9rocsparseL19gebsrmvn_2xn_kernelILj128ELj10ELj8E21rocsparse_complex_numIdEEEvi20rocsparse_direction_NS_24const_host_device_scalarIT2_EEPKiS8_PKS5_SA_S6_PS5_21rocsparse_index_base_b.num_agpr, 0
	.set _ZN9rocsparseL19gebsrmvn_2xn_kernelILj128ELj10ELj8E21rocsparse_complex_numIdEEEvi20rocsparse_direction_NS_24const_host_device_scalarIT2_EEPKiS8_PKS5_SA_S6_PS5_21rocsparse_index_base_b.numbered_sgpr, 16
	.set _ZN9rocsparseL19gebsrmvn_2xn_kernelILj128ELj10ELj8E21rocsparse_complex_numIdEEEvi20rocsparse_direction_NS_24const_host_device_scalarIT2_EEPKiS8_PKS5_SA_S6_PS5_21rocsparse_index_base_b.num_named_barrier, 0
	.set _ZN9rocsparseL19gebsrmvn_2xn_kernelILj128ELj10ELj8E21rocsparse_complex_numIdEEEvi20rocsparse_direction_NS_24const_host_device_scalarIT2_EEPKiS8_PKS5_SA_S6_PS5_21rocsparse_index_base_b.private_seg_size, 0
	.set _ZN9rocsparseL19gebsrmvn_2xn_kernelILj128ELj10ELj8E21rocsparse_complex_numIdEEEvi20rocsparse_direction_NS_24const_host_device_scalarIT2_EEPKiS8_PKS5_SA_S6_PS5_21rocsparse_index_base_b.uses_vcc, 1
	.set _ZN9rocsparseL19gebsrmvn_2xn_kernelILj128ELj10ELj8E21rocsparse_complex_numIdEEEvi20rocsparse_direction_NS_24const_host_device_scalarIT2_EEPKiS8_PKS5_SA_S6_PS5_21rocsparse_index_base_b.uses_flat_scratch, 0
	.set _ZN9rocsparseL19gebsrmvn_2xn_kernelILj128ELj10ELj8E21rocsparse_complex_numIdEEEvi20rocsparse_direction_NS_24const_host_device_scalarIT2_EEPKiS8_PKS5_SA_S6_PS5_21rocsparse_index_base_b.has_dyn_sized_stack, 0
	.set _ZN9rocsparseL19gebsrmvn_2xn_kernelILj128ELj10ELj8E21rocsparse_complex_numIdEEEvi20rocsparse_direction_NS_24const_host_device_scalarIT2_EEPKiS8_PKS5_SA_S6_PS5_21rocsparse_index_base_b.has_recursion, 0
	.set _ZN9rocsparseL19gebsrmvn_2xn_kernelILj128ELj10ELj8E21rocsparse_complex_numIdEEEvi20rocsparse_direction_NS_24const_host_device_scalarIT2_EEPKiS8_PKS5_SA_S6_PS5_21rocsparse_index_base_b.has_indirect_call, 0
	.section	.AMDGPU.csdata,"",@progbits
; Kernel info:
; codeLenInByte = 2040
; TotalNumSgprs: 18
; NumVgprs: 50
; ScratchSize: 0
; MemoryBound: 0
; FloatMode: 240
; IeeeMode: 1
; LDSByteSize: 0 bytes/workgroup (compile time only)
; SGPRBlocks: 0
; VGPRBlocks: 6
; NumSGPRsForWavesPerEU: 18
; NumVGPRsForWavesPerEU: 50
; Occupancy: 16
; WaveLimiterHint : 1
; COMPUTE_PGM_RSRC2:SCRATCH_EN: 0
; COMPUTE_PGM_RSRC2:USER_SGPR: 6
; COMPUTE_PGM_RSRC2:TRAP_HANDLER: 0
; COMPUTE_PGM_RSRC2:TGID_X_EN: 1
; COMPUTE_PGM_RSRC2:TGID_Y_EN: 0
; COMPUTE_PGM_RSRC2:TGID_Z_EN: 0
; COMPUTE_PGM_RSRC2:TIDIG_COMP_CNT: 0
	.section	.text._ZN9rocsparseL19gebsrmvn_2xn_kernelILj128ELj10ELj16E21rocsparse_complex_numIdEEEvi20rocsparse_direction_NS_24const_host_device_scalarIT2_EEPKiS8_PKS5_SA_S6_PS5_21rocsparse_index_base_b,"axG",@progbits,_ZN9rocsparseL19gebsrmvn_2xn_kernelILj128ELj10ELj16E21rocsparse_complex_numIdEEEvi20rocsparse_direction_NS_24const_host_device_scalarIT2_EEPKiS8_PKS5_SA_S6_PS5_21rocsparse_index_base_b,comdat
	.globl	_ZN9rocsparseL19gebsrmvn_2xn_kernelILj128ELj10ELj16E21rocsparse_complex_numIdEEEvi20rocsparse_direction_NS_24const_host_device_scalarIT2_EEPKiS8_PKS5_SA_S6_PS5_21rocsparse_index_base_b ; -- Begin function _ZN9rocsparseL19gebsrmvn_2xn_kernelILj128ELj10ELj16E21rocsparse_complex_numIdEEEvi20rocsparse_direction_NS_24const_host_device_scalarIT2_EEPKiS8_PKS5_SA_S6_PS5_21rocsparse_index_base_b
	.p2align	8
	.type	_ZN9rocsparseL19gebsrmvn_2xn_kernelILj128ELj10ELj16E21rocsparse_complex_numIdEEEvi20rocsparse_direction_NS_24const_host_device_scalarIT2_EEPKiS8_PKS5_SA_S6_PS5_21rocsparse_index_base_b,@function
_ZN9rocsparseL19gebsrmvn_2xn_kernelILj128ELj10ELj16E21rocsparse_complex_numIdEEEvi20rocsparse_direction_NS_24const_host_device_scalarIT2_EEPKiS8_PKS5_SA_S6_PS5_21rocsparse_index_base_b: ; @_ZN9rocsparseL19gebsrmvn_2xn_kernelILj128ELj10ELj16E21rocsparse_complex_numIdEEEvi20rocsparse_direction_NS_24const_host_device_scalarIT2_EEPKiS8_PKS5_SA_S6_PS5_21rocsparse_index_base_b
; %bb.0:
	s_clause 0x1
	s_load_dwordx2 s[2:3], s[4:5], 0x50
	s_load_dwordx2 s[0:1], s[4:5], 0x8
	s_add_u32 s7, s4, 8
	s_addc_u32 s10, s5, 0
	s_add_u32 s11, s4, 56
	s_addc_u32 s12, s5, 0
	s_load_dwordx2 s[8:9], s[4:5], 0x38
	s_waitcnt lgkmcnt(0)
	s_bitcmp1_b32 s3, 0
	s_cselect_b32 s0, s7, s0
	s_cselect_b32 s1, s10, s1
	v_mov_b32_e32 v1, s0
	v_mov_b32_e32 v2, s1
	s_cselect_b32 s0, s11, s8
	s_cselect_b32 s1, s12, s9
	v_mov_b32_e32 v5, s0
	v_mov_b32_e32 v6, s1
	flat_load_dwordx4 v[1:4], v[1:2]
	flat_load_dwordx4 v[5:8], v[5:6]
	s_waitcnt vmcnt(1) lgkmcnt(1)
	v_cmp_eq_f64_e32 vcc_lo, 0, v[1:2]
	v_cmp_eq_f64_e64 s0, 0, v[3:4]
	s_and_b32 s3, vcc_lo, s0
	s_mov_b32 s0, -1
	s_and_saveexec_b32 s1, s3
	s_cbranch_execz .LBB270_2
; %bb.1:
	s_waitcnt vmcnt(0) lgkmcnt(0)
	v_cmp_neq_f64_e32 vcc_lo, 1.0, v[5:6]
	v_cmp_neq_f64_e64 s0, 0, v[7:8]
	s_or_b32 s0, vcc_lo, s0
	s_orn2_b32 s0, s0, exec_lo
.LBB270_2:
	s_or_b32 exec_lo, exec_lo, s1
	s_and_saveexec_b32 s1, s0
	s_cbranch_execz .LBB270_25
; %bb.3:
	s_load_dwordx2 s[0:1], s[4:5], 0x0
	v_lshrrev_b32_e32 v9, 4, v0
	v_lshl_or_b32 v9, s6, 3, v9
	s_waitcnt lgkmcnt(0)
	v_cmp_gt_i32_e32 vcc_lo, s0, v9
	s_and_b32 exec_lo, exec_lo, vcc_lo
	s_cbranch_execz .LBB270_25
; %bb.4:
	s_load_dwordx8 s[8:15], s[4:5], 0x18
	v_ashrrev_i32_e32 v10, 31, v9
	v_and_b32_e32 v0, 15, v0
	s_cmp_lg_u32 s1, 0
	v_lshlrev_b64 v[10:11], 2, v[9:10]
	s_waitcnt lgkmcnt(0)
	v_add_co_u32 v10, vcc_lo, s8, v10
	v_add_co_ci_u32_e64 v11, null, s9, v11, vcc_lo
	global_load_dwordx2 v[19:20], v[10:11], off
	s_waitcnt vmcnt(0)
	v_subrev_nc_u32_e32 v10, s2, v19
	v_subrev_nc_u32_e32 v24, s2, v20
	v_add_nc_u32_e32 v18, v10, v0
	v_cmp_lt_i32_e64 s0, v18, v24
	s_cbranch_scc0 .LBB270_12
; %bb.5:
	v_mov_b32_e32 v10, 0
	v_mov_b32_e32 v16, 0
	;; [unrolled: 1-line block ×8, first 2 shown]
	s_and_saveexec_b32 s1, s0
	s_cbranch_execz .LBB270_11
; %bb.6:
	v_mul_lo_u32 v25, v18, 20
	v_mov_b32_e32 v10, 0
	v_mov_b32_e32 v16, 0
	;; [unrolled: 1-line block ×10, first 2 shown]
	s_mov_b32 s3, 0
.LBB270_7:                              ; =>This Loop Header: Depth=1
                                        ;     Child Loop BB270_8 Depth 2
	v_ashrrev_i32_e32 v23, 31, v22
	s_mov_b32 s6, 0
	v_lshlrev_b64 v[26:27], 2, v[22:23]
	v_add_co_u32 v26, vcc_lo, s10, v26
	v_add_co_ci_u32_e64 v27, null, s11, v27, vcc_lo
	global_load_dword v20, v[26:27], off
	s_waitcnt vmcnt(0)
	v_subrev_nc_u32_e32 v20, s2, v20
	v_mul_lo_u32 v23, v20, 10
	v_mov_b32_e32 v20, v25
.LBB270_8:                              ;   Parent Loop BB270_7 Depth=1
                                        ; =>  This Inner Loop Header: Depth=2
	v_add_nc_u32_e32 v26, s6, v23
	v_mov_b32_e32 v27, v21
	v_lshlrev_b64 v[28:29], 4, v[20:21]
	v_add_nc_u32_e32 v20, 4, v20
	s_add_i32 s6, s6, 2
	v_lshlrev_b64 v[26:27], 4, v[26:27]
	s_cmp_eq_u32 s6, 10
	v_add_co_u32 v46, vcc_lo, s12, v28
	v_add_co_ci_u32_e64 v47, null, s13, v29, vcc_lo
	v_add_co_u32 v38, vcc_lo, s14, v26
	v_add_co_ci_u32_e64 v39, null, s15, v27, vcc_lo
	s_clause 0x1
	global_load_dwordx4 v[26:29], v[46:47], off offset:16
	global_load_dwordx4 v[30:33], v[46:47], off
	s_clause 0x1
	global_load_dwordx4 v[34:37], v[38:39], off
	global_load_dwordx4 v[38:41], v[38:39], off offset:16
	s_clause 0x1
	global_load_dwordx4 v[42:45], v[46:47], off offset:32
	global_load_dwordx4 v[46:49], v[46:47], off offset:48
	s_waitcnt vmcnt(3)
	v_fma_f64 v[16:17], v[30:31], v[34:35], v[16:17]
	v_fma_f64 v[10:11], v[32:33], v[34:35], v[10:11]
	;; [unrolled: 1-line block ×4, first 2 shown]
	v_fma_f64 v[16:17], -v[32:33], v[36:37], v[16:17]
	v_fma_f64 v[10:11], v[30:31], v[36:37], v[10:11]
	v_fma_f64 v[14:15], -v[28:29], v[36:37], v[14:15]
	v_fma_f64 v[12:13], v[26:27], v[36:37], v[12:13]
	s_waitcnt vmcnt(1)
	v_fma_f64 v[16:17], v[42:43], v[38:39], v[16:17]
	v_fma_f64 v[10:11], v[44:45], v[38:39], v[10:11]
	s_waitcnt vmcnt(0)
	v_fma_f64 v[14:15], v[46:47], v[38:39], v[14:15]
	v_fma_f64 v[12:13], v[48:49], v[38:39], v[12:13]
	v_fma_f64 v[16:17], -v[44:45], v[40:41], v[16:17]
	v_fma_f64 v[10:11], v[42:43], v[40:41], v[10:11]
	v_fma_f64 v[14:15], -v[48:49], v[40:41], v[14:15]
	v_fma_f64 v[12:13], v[46:47], v[40:41], v[12:13]
	s_cbranch_scc0 .LBB270_8
; %bb.9:                                ;   in Loop: Header=BB270_7 Depth=1
	v_add_nc_u32_e32 v22, 16, v22
	v_add_nc_u32_e32 v25, 0x140, v25
	v_cmp_ge_i32_e32 vcc_lo, v22, v24
	s_or_b32 s3, vcc_lo, s3
	s_andn2_b32 exec_lo, exec_lo, s3
	s_cbranch_execnz .LBB270_7
; %bb.10:
	s_or_b32 exec_lo, exec_lo, s3
.LBB270_11:
	s_or_b32 exec_lo, exec_lo, s1
	s_cbranch_execz .LBB270_13
	s_branch .LBB270_20
.LBB270_12:
                                        ; implicit-def: $vgpr10_vgpr11
                                        ; implicit-def: $vgpr16_vgpr17
                                        ; implicit-def: $vgpr14_vgpr15
                                        ; implicit-def: $vgpr12_vgpr13
.LBB270_13:
	v_mov_b32_e32 v10, 0
	v_mov_b32_e32 v16, 0
	v_mov_b32_e32 v14, 0
	v_mov_b32_e32 v12, 0
	v_mov_b32_e32 v11, 0
	v_mov_b32_e32 v17, 0
	v_mov_b32_e32 v15, 0
	v_mov_b32_e32 v13, 0
	s_and_saveexec_b32 s1, s0
	s_cbranch_execz .LBB270_19
; %bb.14:
	v_mul_lo_u32 v10, v19, 20
	v_mul_lo_u32 v21, v18, 20
	s_mul_i32 s0, s2, 20
	v_mov_b32_e32 v16, 0
	v_mov_b32_e32 v14, 0
	;; [unrolled: 1-line block ×5, first 2 shown]
	v_mad_u32_u24 v19, v0, 20, v10
	v_mov_b32_e32 v10, 0
	v_mov_b32_e32 v11, 0
	v_mov_b32_e32 v13, 0
	v_mov_b32_e32 v20, 0
	v_subrev_nc_u32_e32 v22, s0, v19
	s_mov_b32 s0, 0
.LBB270_15:                             ; =>This Loop Header: Depth=1
                                        ;     Child Loop BB270_16 Depth 2
	v_ashrrev_i32_e32 v19, 31, v18
	s_mov_b32 s3, 0
	v_lshlrev_b64 v[25:26], 2, v[18:19]
	v_add_co_u32 v25, vcc_lo, s10, v25
	v_add_co_ci_u32_e64 v26, null, s11, v26, vcc_lo
	global_load_dword v19, v[25:26], off
	s_waitcnt vmcnt(0)
	v_subrev_nc_u32_e32 v19, s2, v19
	v_mul_lo_u32 v23, v19, 10
.LBB270_16:                             ;   Parent Loop BB270_15 Depth=1
                                        ; =>  This Inner Loop Header: Depth=2
	v_add_nc_u32_e32 v19, s3, v22
	v_lshlrev_b64 v[25:26], 4, v[19:20]
	v_add_nc_u32_e32 v19, s3, v23
	v_lshlrev_b64 v[29:30], 4, v[19:20]
	v_add3_u32 v19, v21, s3, 10
	v_add_co_u32 v31, vcc_lo, s12, v25
	v_add_co_ci_u32_e64 v32, null, s13, v26, vcc_lo
	v_lshlrev_b64 v[33:34], 4, v[19:20]
	v_add_co_u32 v37, vcc_lo, s14, v29
	v_add_co_ci_u32_e64 v38, null, s15, v30, vcc_lo
	global_load_dwordx4 v[25:28], v[31:32], off offset:16
	v_add_co_u32 v45, vcc_lo, s12, v33
	v_add_co_ci_u32_e64 v46, null, s13, v34, vcc_lo
	global_load_dwordx4 v[29:32], v[31:32], off
	s_clause 0x1
	global_load_dwordx4 v[33:36], v[37:38], off
	global_load_dwordx4 v[37:40], v[37:38], off offset:16
	s_clause 0x1
	global_load_dwordx4 v[41:44], v[45:46], off
	global_load_dwordx4 v[45:48], v[45:46], off offset:16
	s_add_i32 s3, s3, 2
	s_cmp_eq_u32 s3, 10
	s_waitcnt vmcnt(3)
	v_fma_f64 v[16:17], v[29:30], v[33:34], v[16:17]
	v_fma_f64 v[10:11], v[31:32], v[33:34], v[10:11]
	s_waitcnt vmcnt(1)
	v_fma_f64 v[14:15], v[41:42], v[33:34], v[14:15]
	v_fma_f64 v[12:13], v[43:44], v[33:34], v[12:13]
	v_fma_f64 v[16:17], -v[31:32], v[35:36], v[16:17]
	v_fma_f64 v[10:11], v[29:30], v[35:36], v[10:11]
	v_fma_f64 v[14:15], -v[43:44], v[35:36], v[14:15]
	v_fma_f64 v[12:13], v[41:42], v[35:36], v[12:13]
	v_fma_f64 v[16:17], v[25:26], v[37:38], v[16:17]
	v_fma_f64 v[10:11], v[27:28], v[37:38], v[10:11]
	s_waitcnt vmcnt(0)
	v_fma_f64 v[14:15], v[45:46], v[37:38], v[14:15]
	v_fma_f64 v[12:13], v[47:48], v[37:38], v[12:13]
	v_fma_f64 v[16:17], -v[27:28], v[39:40], v[16:17]
	v_fma_f64 v[10:11], v[25:26], v[39:40], v[10:11]
	v_fma_f64 v[14:15], -v[47:48], v[39:40], v[14:15]
	v_fma_f64 v[12:13], v[45:46], v[39:40], v[12:13]
	s_cbranch_scc0 .LBB270_16
; %bb.17:                               ;   in Loop: Header=BB270_15 Depth=1
	v_add_nc_u32_e32 v18, 16, v18
	v_add_nc_u32_e32 v21, 0x140, v21
	;; [unrolled: 1-line block ×3, first 2 shown]
	v_cmp_ge_i32_e32 vcc_lo, v18, v24
	s_or_b32 s0, vcc_lo, s0
	s_andn2_b32 exec_lo, exec_lo, s0
	s_cbranch_execnz .LBB270_15
; %bb.18:
	s_or_b32 exec_lo, exec_lo, s0
.LBB270_19:
	s_or_b32 exec_lo, exec_lo, s1
.LBB270_20:
	v_mbcnt_lo_u32_b32 v26, -1, 0
	v_xor_b32_e32 v18, 8, v26
	v_cmp_gt_i32_e32 vcc_lo, 32, v18
	v_cndmask_b32_e32 v18, v26, v18, vcc_lo
	v_lshlrev_b32_e32 v25, 2, v18
	ds_bpermute_b32 v18, v25, v16
	ds_bpermute_b32 v19, v25, v17
	;; [unrolled: 1-line block ×8, first 2 shown]
	s_waitcnt lgkmcnt(6)
	v_add_f64 v[16:17], v[16:17], v[18:19]
	v_xor_b32_e32 v18, 4, v26
	s_waitcnt lgkmcnt(4)
	v_add_f64 v[10:11], v[10:11], v[20:21]
	s_waitcnt lgkmcnt(2)
	v_add_f64 v[14:15], v[14:15], v[22:23]
	;; [unrolled: 2-line block ×3, first 2 shown]
	v_cmp_gt_i32_e32 vcc_lo, 32, v18
	v_cndmask_b32_e32 v18, v26, v18, vcc_lo
	v_lshlrev_b32_e32 v25, 2, v18
	ds_bpermute_b32 v18, v25, v16
	ds_bpermute_b32 v19, v25, v17
	;; [unrolled: 1-line block ×8, first 2 shown]
	s_waitcnt lgkmcnt(6)
	v_add_f64 v[16:17], v[16:17], v[18:19]
	s_waitcnt lgkmcnt(4)
	v_add_f64 v[18:19], v[10:11], v[20:21]
	v_xor_b32_e32 v10, 2, v26
	s_waitcnt lgkmcnt(2)
	v_add_f64 v[14:15], v[14:15], v[22:23]
	s_waitcnt lgkmcnt(0)
	v_add_f64 v[20:21], v[12:13], v[24:25]
	v_cmp_gt_i32_e32 vcc_lo, 32, v10
	v_cndmask_b32_e32 v10, v26, v10, vcc_lo
	v_lshlrev_b32_e32 v25, 2, v10
	ds_bpermute_b32 v10, v25, v16
	ds_bpermute_b32 v11, v25, v17
	;; [unrolled: 1-line block ×8, first 2 shown]
	s_waitcnt lgkmcnt(6)
	v_add_f64 v[10:11], v[16:17], v[10:11]
	s_waitcnt lgkmcnt(4)
	v_add_f64 v[16:17], v[18:19], v[12:13]
	v_xor_b32_e32 v18, 1, v26
	s_waitcnt lgkmcnt(2)
	v_add_f64 v[12:13], v[14:15], v[22:23]
	s_waitcnt lgkmcnt(0)
	v_add_f64 v[14:15], v[20:21], v[24:25]
	v_cmp_gt_i32_e32 vcc_lo, 32, v18
	v_cndmask_b32_e32 v18, v26, v18, vcc_lo
	v_cmp_eq_u32_e32 vcc_lo, 15, v0
	v_lshlrev_b32_e32 v21, 2, v18
	ds_bpermute_b32 v24, v21, v10
	ds_bpermute_b32 v25, v21, v11
	;; [unrolled: 1-line block ×8, first 2 shown]
	s_and_b32 exec_lo, exec_lo, vcc_lo
	s_cbranch_execz .LBB270_25
; %bb.21:
	v_cmp_eq_f64_e32 vcc_lo, 0, v[5:6]
	v_cmp_eq_f64_e64 s0, 0, v[7:8]
	s_waitcnt lgkmcnt(6)
	v_add_f64 v[10:11], v[10:11], v[24:25]
	s_waitcnt lgkmcnt(4)
	v_add_f64 v[16:17], v[16:17], v[22:23]
	;; [unrolled: 2-line block ×4, first 2 shown]
	s_load_dwordx2 s[2:3], s[4:5], 0x48
	s_and_b32 s0, vcc_lo, s0
	s_and_saveexec_b32 s1, s0
	s_xor_b32 s0, exec_lo, s1
	s_cbranch_execz .LBB270_23
; %bb.22:
	v_mul_f64 v[5:6], v[16:17], -v[3:4]
	v_mul_f64 v[7:8], v[1:2], v[16:17]
	v_mul_f64 v[16:17], v[14:15], -v[3:4]
	v_mul_f64 v[14:15], v[1:2], v[14:15]
	v_lshlrev_b32_e32 v9, 1, v9
	v_fma_f64 v[5:6], v[1:2], v[10:11], v[5:6]
	v_fma_f64 v[7:8], v[3:4], v[10:11], v[7:8]
	;; [unrolled: 1-line block ×4, first 2 shown]
	v_ashrrev_i32_e32 v10, 31, v9
                                        ; implicit-def: $vgpr16_vgpr17
                                        ; implicit-def: $vgpr12_vgpr13
                                        ; implicit-def: $vgpr14_vgpr15
	v_lshlrev_b64 v[9:10], 4, v[9:10]
	s_waitcnt lgkmcnt(0)
	v_add_co_u32 v9, vcc_lo, s2, v9
	v_add_co_ci_u32_e64 v10, null, s3, v10, vcc_lo
	global_store_dwordx4 v[9:10], v[5:8], off
	global_store_dwordx4 v[9:10], v[0:3], off offset:16
                                        ; implicit-def: $vgpr9
                                        ; implicit-def: $vgpr10_vgpr11
                                        ; implicit-def: $vgpr7_vgpr8
                                        ; implicit-def: $vgpr3_vgpr4
.LBB270_23:
	s_andn2_saveexec_b32 s0, s0
	s_cbranch_execz .LBB270_25
; %bb.24:
	v_lshlrev_b32_e32 v18, 1, v9
	v_mul_f64 v[28:29], v[16:17], -v[3:4]
	v_mul_f64 v[16:17], v[1:2], v[16:17]
	v_mul_f64 v[30:31], v[14:15], -v[3:4]
	v_mul_f64 v[14:15], v[1:2], v[14:15]
	v_ashrrev_i32_e32 v19, 31, v18
	v_lshlrev_b64 v[18:19], 4, v[18:19]
	s_waitcnt lgkmcnt(0)
	v_add_co_u32 v26, vcc_lo, s2, v18
	v_add_co_ci_u32_e64 v27, null, s3, v19, vcc_lo
	s_clause 0x1
	global_load_dwordx4 v[18:21], v[26:27], off
	global_load_dwordx4 v[22:25], v[26:27], off offset:16
	v_fma_f64 v[28:29], v[1:2], v[10:11], v[28:29]
	v_fma_f64 v[9:10], v[3:4], v[10:11], v[16:17]
	;; [unrolled: 1-line block ×4, first 2 shown]
	s_waitcnt vmcnt(1)
	v_fma_f64 v[11:12], v[5:6], v[18:19], v[28:29]
	v_fma_f64 v[9:10], v[7:8], v[18:19], v[9:10]
	s_waitcnt vmcnt(0)
	v_fma_f64 v[13:14], v[5:6], v[22:23], v[0:1]
	v_fma_f64 v[15:16], v[7:8], v[22:23], v[2:3]
	v_fma_f64 v[0:1], -v[7:8], v[20:21], v[11:12]
	v_fma_f64 v[2:3], v[5:6], v[20:21], v[9:10]
	v_fma_f64 v[7:8], -v[7:8], v[24:25], v[13:14]
	v_fma_f64 v[9:10], v[5:6], v[24:25], v[15:16]
	global_store_dwordx4 v[26:27], v[0:3], off
	global_store_dwordx4 v[26:27], v[7:10], off offset:16
.LBB270_25:
	s_endpgm
	.section	.rodata,"a",@progbits
	.p2align	6, 0x0
	.amdhsa_kernel _ZN9rocsparseL19gebsrmvn_2xn_kernelILj128ELj10ELj16E21rocsparse_complex_numIdEEEvi20rocsparse_direction_NS_24const_host_device_scalarIT2_EEPKiS8_PKS5_SA_S6_PS5_21rocsparse_index_base_b
		.amdhsa_group_segment_fixed_size 0
		.amdhsa_private_segment_fixed_size 0
		.amdhsa_kernarg_size 88
		.amdhsa_user_sgpr_count 6
		.amdhsa_user_sgpr_private_segment_buffer 1
		.amdhsa_user_sgpr_dispatch_ptr 0
		.amdhsa_user_sgpr_queue_ptr 0
		.amdhsa_user_sgpr_kernarg_segment_ptr 1
		.amdhsa_user_sgpr_dispatch_id 0
		.amdhsa_user_sgpr_flat_scratch_init 0
		.amdhsa_user_sgpr_private_segment_size 0
		.amdhsa_wavefront_size32 1
		.amdhsa_uses_dynamic_stack 0
		.amdhsa_system_sgpr_private_segment_wavefront_offset 0
		.amdhsa_system_sgpr_workgroup_id_x 1
		.amdhsa_system_sgpr_workgroup_id_y 0
		.amdhsa_system_sgpr_workgroup_id_z 0
		.amdhsa_system_sgpr_workgroup_info 0
		.amdhsa_system_vgpr_workitem_id 0
		.amdhsa_next_free_vgpr 50
		.amdhsa_next_free_sgpr 16
		.amdhsa_reserve_vcc 1
		.amdhsa_reserve_flat_scratch 0
		.amdhsa_float_round_mode_32 0
		.amdhsa_float_round_mode_16_64 0
		.amdhsa_float_denorm_mode_32 3
		.amdhsa_float_denorm_mode_16_64 3
		.amdhsa_dx10_clamp 1
		.amdhsa_ieee_mode 1
		.amdhsa_fp16_overflow 0
		.amdhsa_workgroup_processor_mode 1
		.amdhsa_memory_ordered 1
		.amdhsa_forward_progress 1
		.amdhsa_shared_vgpr_count 0
		.amdhsa_exception_fp_ieee_invalid_op 0
		.amdhsa_exception_fp_denorm_src 0
		.amdhsa_exception_fp_ieee_div_zero 0
		.amdhsa_exception_fp_ieee_overflow 0
		.amdhsa_exception_fp_ieee_underflow 0
		.amdhsa_exception_fp_ieee_inexact 0
		.amdhsa_exception_int_div_zero 0
	.end_amdhsa_kernel
	.section	.text._ZN9rocsparseL19gebsrmvn_2xn_kernelILj128ELj10ELj16E21rocsparse_complex_numIdEEEvi20rocsparse_direction_NS_24const_host_device_scalarIT2_EEPKiS8_PKS5_SA_S6_PS5_21rocsparse_index_base_b,"axG",@progbits,_ZN9rocsparseL19gebsrmvn_2xn_kernelILj128ELj10ELj16E21rocsparse_complex_numIdEEEvi20rocsparse_direction_NS_24const_host_device_scalarIT2_EEPKiS8_PKS5_SA_S6_PS5_21rocsparse_index_base_b,comdat
.Lfunc_end270:
	.size	_ZN9rocsparseL19gebsrmvn_2xn_kernelILj128ELj10ELj16E21rocsparse_complex_numIdEEEvi20rocsparse_direction_NS_24const_host_device_scalarIT2_EEPKiS8_PKS5_SA_S6_PS5_21rocsparse_index_base_b, .Lfunc_end270-_ZN9rocsparseL19gebsrmvn_2xn_kernelILj128ELj10ELj16E21rocsparse_complex_numIdEEEvi20rocsparse_direction_NS_24const_host_device_scalarIT2_EEPKiS8_PKS5_SA_S6_PS5_21rocsparse_index_base_b
                                        ; -- End function
	.set _ZN9rocsparseL19gebsrmvn_2xn_kernelILj128ELj10ELj16E21rocsparse_complex_numIdEEEvi20rocsparse_direction_NS_24const_host_device_scalarIT2_EEPKiS8_PKS5_SA_S6_PS5_21rocsparse_index_base_b.num_vgpr, 50
	.set _ZN9rocsparseL19gebsrmvn_2xn_kernelILj128ELj10ELj16E21rocsparse_complex_numIdEEEvi20rocsparse_direction_NS_24const_host_device_scalarIT2_EEPKiS8_PKS5_SA_S6_PS5_21rocsparse_index_base_b.num_agpr, 0
	.set _ZN9rocsparseL19gebsrmvn_2xn_kernelILj128ELj10ELj16E21rocsparse_complex_numIdEEEvi20rocsparse_direction_NS_24const_host_device_scalarIT2_EEPKiS8_PKS5_SA_S6_PS5_21rocsparse_index_base_b.numbered_sgpr, 16
	.set _ZN9rocsparseL19gebsrmvn_2xn_kernelILj128ELj10ELj16E21rocsparse_complex_numIdEEEvi20rocsparse_direction_NS_24const_host_device_scalarIT2_EEPKiS8_PKS5_SA_S6_PS5_21rocsparse_index_base_b.num_named_barrier, 0
	.set _ZN9rocsparseL19gebsrmvn_2xn_kernelILj128ELj10ELj16E21rocsparse_complex_numIdEEEvi20rocsparse_direction_NS_24const_host_device_scalarIT2_EEPKiS8_PKS5_SA_S6_PS5_21rocsparse_index_base_b.private_seg_size, 0
	.set _ZN9rocsparseL19gebsrmvn_2xn_kernelILj128ELj10ELj16E21rocsparse_complex_numIdEEEvi20rocsparse_direction_NS_24const_host_device_scalarIT2_EEPKiS8_PKS5_SA_S6_PS5_21rocsparse_index_base_b.uses_vcc, 1
	.set _ZN9rocsparseL19gebsrmvn_2xn_kernelILj128ELj10ELj16E21rocsparse_complex_numIdEEEvi20rocsparse_direction_NS_24const_host_device_scalarIT2_EEPKiS8_PKS5_SA_S6_PS5_21rocsparse_index_base_b.uses_flat_scratch, 0
	.set _ZN9rocsparseL19gebsrmvn_2xn_kernelILj128ELj10ELj16E21rocsparse_complex_numIdEEEvi20rocsparse_direction_NS_24const_host_device_scalarIT2_EEPKiS8_PKS5_SA_S6_PS5_21rocsparse_index_base_b.has_dyn_sized_stack, 0
	.set _ZN9rocsparseL19gebsrmvn_2xn_kernelILj128ELj10ELj16E21rocsparse_complex_numIdEEEvi20rocsparse_direction_NS_24const_host_device_scalarIT2_EEPKiS8_PKS5_SA_S6_PS5_21rocsparse_index_base_b.has_recursion, 0
	.set _ZN9rocsparseL19gebsrmvn_2xn_kernelILj128ELj10ELj16E21rocsparse_complex_numIdEEEvi20rocsparse_direction_NS_24const_host_device_scalarIT2_EEPKiS8_PKS5_SA_S6_PS5_21rocsparse_index_base_b.has_indirect_call, 0
	.section	.AMDGPU.csdata,"",@progbits
; Kernel info:
; codeLenInByte = 2168
; TotalNumSgprs: 18
; NumVgprs: 50
; ScratchSize: 0
; MemoryBound: 0
; FloatMode: 240
; IeeeMode: 1
; LDSByteSize: 0 bytes/workgroup (compile time only)
; SGPRBlocks: 0
; VGPRBlocks: 6
; NumSGPRsForWavesPerEU: 18
; NumVGPRsForWavesPerEU: 50
; Occupancy: 16
; WaveLimiterHint : 1
; COMPUTE_PGM_RSRC2:SCRATCH_EN: 0
; COMPUTE_PGM_RSRC2:USER_SGPR: 6
; COMPUTE_PGM_RSRC2:TRAP_HANDLER: 0
; COMPUTE_PGM_RSRC2:TGID_X_EN: 1
; COMPUTE_PGM_RSRC2:TGID_Y_EN: 0
; COMPUTE_PGM_RSRC2:TGID_Z_EN: 0
; COMPUTE_PGM_RSRC2:TIDIG_COMP_CNT: 0
	.section	.text._ZN9rocsparseL19gebsrmvn_2xn_kernelILj128ELj10ELj32E21rocsparse_complex_numIdEEEvi20rocsparse_direction_NS_24const_host_device_scalarIT2_EEPKiS8_PKS5_SA_S6_PS5_21rocsparse_index_base_b,"axG",@progbits,_ZN9rocsparseL19gebsrmvn_2xn_kernelILj128ELj10ELj32E21rocsparse_complex_numIdEEEvi20rocsparse_direction_NS_24const_host_device_scalarIT2_EEPKiS8_PKS5_SA_S6_PS5_21rocsparse_index_base_b,comdat
	.globl	_ZN9rocsparseL19gebsrmvn_2xn_kernelILj128ELj10ELj32E21rocsparse_complex_numIdEEEvi20rocsparse_direction_NS_24const_host_device_scalarIT2_EEPKiS8_PKS5_SA_S6_PS5_21rocsparse_index_base_b ; -- Begin function _ZN9rocsparseL19gebsrmvn_2xn_kernelILj128ELj10ELj32E21rocsparse_complex_numIdEEEvi20rocsparse_direction_NS_24const_host_device_scalarIT2_EEPKiS8_PKS5_SA_S6_PS5_21rocsparse_index_base_b
	.p2align	8
	.type	_ZN9rocsparseL19gebsrmvn_2xn_kernelILj128ELj10ELj32E21rocsparse_complex_numIdEEEvi20rocsparse_direction_NS_24const_host_device_scalarIT2_EEPKiS8_PKS5_SA_S6_PS5_21rocsparse_index_base_b,@function
_ZN9rocsparseL19gebsrmvn_2xn_kernelILj128ELj10ELj32E21rocsparse_complex_numIdEEEvi20rocsparse_direction_NS_24const_host_device_scalarIT2_EEPKiS8_PKS5_SA_S6_PS5_21rocsparse_index_base_b: ; @_ZN9rocsparseL19gebsrmvn_2xn_kernelILj128ELj10ELj32E21rocsparse_complex_numIdEEEvi20rocsparse_direction_NS_24const_host_device_scalarIT2_EEPKiS8_PKS5_SA_S6_PS5_21rocsparse_index_base_b
; %bb.0:
	s_clause 0x1
	s_load_dwordx2 s[2:3], s[4:5], 0x50
	s_load_dwordx2 s[0:1], s[4:5], 0x8
	s_add_u32 s7, s4, 8
	s_addc_u32 s10, s5, 0
	s_add_u32 s11, s4, 56
	s_addc_u32 s12, s5, 0
	s_load_dwordx2 s[8:9], s[4:5], 0x38
	s_waitcnt lgkmcnt(0)
	s_bitcmp1_b32 s3, 0
	s_cselect_b32 s0, s7, s0
	s_cselect_b32 s1, s10, s1
	v_mov_b32_e32 v1, s0
	v_mov_b32_e32 v2, s1
	s_cselect_b32 s0, s11, s8
	s_cselect_b32 s1, s12, s9
	v_mov_b32_e32 v5, s0
	v_mov_b32_e32 v6, s1
	flat_load_dwordx4 v[1:4], v[1:2]
	flat_load_dwordx4 v[5:8], v[5:6]
	s_waitcnt vmcnt(1) lgkmcnt(1)
	v_cmp_eq_f64_e32 vcc_lo, 0, v[1:2]
	v_cmp_eq_f64_e64 s0, 0, v[3:4]
	s_and_b32 s3, vcc_lo, s0
	s_mov_b32 s0, -1
	s_and_saveexec_b32 s1, s3
	s_cbranch_execz .LBB271_2
; %bb.1:
	s_waitcnt vmcnt(0) lgkmcnt(0)
	v_cmp_neq_f64_e32 vcc_lo, 1.0, v[5:6]
	v_cmp_neq_f64_e64 s0, 0, v[7:8]
	s_or_b32 s0, vcc_lo, s0
	s_orn2_b32 s0, s0, exec_lo
.LBB271_2:
	s_or_b32 exec_lo, exec_lo, s1
	s_and_saveexec_b32 s1, s0
	s_cbranch_execz .LBB271_25
; %bb.3:
	s_load_dwordx2 s[0:1], s[4:5], 0x0
	v_lshrrev_b32_e32 v9, 5, v0
	v_lshl_or_b32 v9, s6, 2, v9
	s_waitcnt lgkmcnt(0)
	v_cmp_gt_i32_e32 vcc_lo, s0, v9
	s_and_b32 exec_lo, exec_lo, vcc_lo
	s_cbranch_execz .LBB271_25
; %bb.4:
	s_load_dwordx8 s[8:15], s[4:5], 0x18
	v_ashrrev_i32_e32 v10, 31, v9
	v_and_b32_e32 v0, 31, v0
	s_cmp_lg_u32 s1, 0
	v_lshlrev_b64 v[10:11], 2, v[9:10]
	s_waitcnt lgkmcnt(0)
	v_add_co_u32 v10, vcc_lo, s8, v10
	v_add_co_ci_u32_e64 v11, null, s9, v11, vcc_lo
	global_load_dwordx2 v[19:20], v[10:11], off
	s_waitcnt vmcnt(0)
	v_subrev_nc_u32_e32 v10, s2, v19
	v_subrev_nc_u32_e32 v24, s2, v20
	v_add_nc_u32_e32 v18, v10, v0
	v_cmp_lt_i32_e64 s0, v18, v24
	s_cbranch_scc0 .LBB271_12
; %bb.5:
	v_mov_b32_e32 v10, 0
	v_mov_b32_e32 v16, 0
	v_mov_b32_e32 v14, 0
	v_mov_b32_e32 v12, 0
	v_mov_b32_e32 v11, 0
	v_mov_b32_e32 v17, 0
	v_mov_b32_e32 v15, 0
	v_mov_b32_e32 v13, 0
	s_and_saveexec_b32 s1, s0
	s_cbranch_execz .LBB271_11
; %bb.6:
	v_mul_lo_u32 v25, v18, 20
	v_mov_b32_e32 v10, 0
	v_mov_b32_e32 v16, 0
	;; [unrolled: 1-line block ×10, first 2 shown]
	s_mov_b32 s3, 0
.LBB271_7:                              ; =>This Loop Header: Depth=1
                                        ;     Child Loop BB271_8 Depth 2
	v_ashrrev_i32_e32 v23, 31, v22
	s_mov_b32 s6, 0
	v_lshlrev_b64 v[26:27], 2, v[22:23]
	v_add_co_u32 v26, vcc_lo, s10, v26
	v_add_co_ci_u32_e64 v27, null, s11, v27, vcc_lo
	global_load_dword v20, v[26:27], off
	s_waitcnt vmcnt(0)
	v_subrev_nc_u32_e32 v20, s2, v20
	v_mul_lo_u32 v23, v20, 10
	v_mov_b32_e32 v20, v25
.LBB271_8:                              ;   Parent Loop BB271_7 Depth=1
                                        ; =>  This Inner Loop Header: Depth=2
	v_add_nc_u32_e32 v26, s6, v23
	v_mov_b32_e32 v27, v21
	v_lshlrev_b64 v[28:29], 4, v[20:21]
	v_add_nc_u32_e32 v20, 4, v20
	s_add_i32 s6, s6, 2
	v_lshlrev_b64 v[26:27], 4, v[26:27]
	s_cmp_eq_u32 s6, 10
	v_add_co_u32 v46, vcc_lo, s12, v28
	v_add_co_ci_u32_e64 v47, null, s13, v29, vcc_lo
	v_add_co_u32 v38, vcc_lo, s14, v26
	v_add_co_ci_u32_e64 v39, null, s15, v27, vcc_lo
	s_clause 0x1
	global_load_dwordx4 v[26:29], v[46:47], off offset:16
	global_load_dwordx4 v[30:33], v[46:47], off
	s_clause 0x1
	global_load_dwordx4 v[34:37], v[38:39], off
	global_load_dwordx4 v[38:41], v[38:39], off offset:16
	s_clause 0x1
	global_load_dwordx4 v[42:45], v[46:47], off offset:32
	global_load_dwordx4 v[46:49], v[46:47], off offset:48
	s_waitcnt vmcnt(3)
	v_fma_f64 v[16:17], v[30:31], v[34:35], v[16:17]
	v_fma_f64 v[10:11], v[32:33], v[34:35], v[10:11]
	;; [unrolled: 1-line block ×4, first 2 shown]
	v_fma_f64 v[16:17], -v[32:33], v[36:37], v[16:17]
	v_fma_f64 v[10:11], v[30:31], v[36:37], v[10:11]
	v_fma_f64 v[14:15], -v[28:29], v[36:37], v[14:15]
	v_fma_f64 v[12:13], v[26:27], v[36:37], v[12:13]
	s_waitcnt vmcnt(1)
	v_fma_f64 v[16:17], v[42:43], v[38:39], v[16:17]
	v_fma_f64 v[10:11], v[44:45], v[38:39], v[10:11]
	s_waitcnt vmcnt(0)
	v_fma_f64 v[14:15], v[46:47], v[38:39], v[14:15]
	v_fma_f64 v[12:13], v[48:49], v[38:39], v[12:13]
	v_fma_f64 v[16:17], -v[44:45], v[40:41], v[16:17]
	v_fma_f64 v[10:11], v[42:43], v[40:41], v[10:11]
	v_fma_f64 v[14:15], -v[48:49], v[40:41], v[14:15]
	v_fma_f64 v[12:13], v[46:47], v[40:41], v[12:13]
	s_cbranch_scc0 .LBB271_8
; %bb.9:                                ;   in Loop: Header=BB271_7 Depth=1
	v_add_nc_u32_e32 v22, 32, v22
	v_add_nc_u32_e32 v25, 0x280, v25
	v_cmp_ge_i32_e32 vcc_lo, v22, v24
	s_or_b32 s3, vcc_lo, s3
	s_andn2_b32 exec_lo, exec_lo, s3
	s_cbranch_execnz .LBB271_7
; %bb.10:
	s_or_b32 exec_lo, exec_lo, s3
.LBB271_11:
	s_or_b32 exec_lo, exec_lo, s1
	s_cbranch_execz .LBB271_13
	s_branch .LBB271_20
.LBB271_12:
                                        ; implicit-def: $vgpr10_vgpr11
                                        ; implicit-def: $vgpr16_vgpr17
                                        ; implicit-def: $vgpr14_vgpr15
                                        ; implicit-def: $vgpr12_vgpr13
.LBB271_13:
	v_mov_b32_e32 v10, 0
	v_mov_b32_e32 v16, 0
	;; [unrolled: 1-line block ×8, first 2 shown]
	s_and_saveexec_b32 s1, s0
	s_cbranch_execz .LBB271_19
; %bb.14:
	v_mul_lo_u32 v10, v19, 20
	v_mul_lo_u32 v21, v18, 20
	s_mul_i32 s0, s2, 20
	v_mov_b32_e32 v16, 0
	v_mov_b32_e32 v14, 0
	;; [unrolled: 1-line block ×5, first 2 shown]
	v_mad_u32_u24 v19, v0, 20, v10
	v_mov_b32_e32 v10, 0
	v_mov_b32_e32 v11, 0
	;; [unrolled: 1-line block ×4, first 2 shown]
	v_subrev_nc_u32_e32 v22, s0, v19
	s_mov_b32 s0, 0
.LBB271_15:                             ; =>This Loop Header: Depth=1
                                        ;     Child Loop BB271_16 Depth 2
	v_ashrrev_i32_e32 v19, 31, v18
	s_mov_b32 s3, 0
	v_lshlrev_b64 v[25:26], 2, v[18:19]
	v_add_co_u32 v25, vcc_lo, s10, v25
	v_add_co_ci_u32_e64 v26, null, s11, v26, vcc_lo
	global_load_dword v19, v[25:26], off
	s_waitcnt vmcnt(0)
	v_subrev_nc_u32_e32 v19, s2, v19
	v_mul_lo_u32 v23, v19, 10
.LBB271_16:                             ;   Parent Loop BB271_15 Depth=1
                                        ; =>  This Inner Loop Header: Depth=2
	v_add_nc_u32_e32 v19, s3, v22
	v_lshlrev_b64 v[25:26], 4, v[19:20]
	v_add_nc_u32_e32 v19, s3, v23
	v_lshlrev_b64 v[29:30], 4, v[19:20]
	v_add3_u32 v19, v21, s3, 10
	v_add_co_u32 v31, vcc_lo, s12, v25
	v_add_co_ci_u32_e64 v32, null, s13, v26, vcc_lo
	v_lshlrev_b64 v[33:34], 4, v[19:20]
	v_add_co_u32 v37, vcc_lo, s14, v29
	v_add_co_ci_u32_e64 v38, null, s15, v30, vcc_lo
	global_load_dwordx4 v[25:28], v[31:32], off offset:16
	v_add_co_u32 v45, vcc_lo, s12, v33
	v_add_co_ci_u32_e64 v46, null, s13, v34, vcc_lo
	global_load_dwordx4 v[29:32], v[31:32], off
	s_clause 0x1
	global_load_dwordx4 v[33:36], v[37:38], off
	global_load_dwordx4 v[37:40], v[37:38], off offset:16
	s_clause 0x1
	global_load_dwordx4 v[41:44], v[45:46], off
	global_load_dwordx4 v[45:48], v[45:46], off offset:16
	s_add_i32 s3, s3, 2
	s_cmp_eq_u32 s3, 10
	s_waitcnt vmcnt(3)
	v_fma_f64 v[16:17], v[29:30], v[33:34], v[16:17]
	v_fma_f64 v[10:11], v[31:32], v[33:34], v[10:11]
	s_waitcnt vmcnt(1)
	v_fma_f64 v[14:15], v[41:42], v[33:34], v[14:15]
	v_fma_f64 v[12:13], v[43:44], v[33:34], v[12:13]
	v_fma_f64 v[16:17], -v[31:32], v[35:36], v[16:17]
	v_fma_f64 v[10:11], v[29:30], v[35:36], v[10:11]
	v_fma_f64 v[14:15], -v[43:44], v[35:36], v[14:15]
	v_fma_f64 v[12:13], v[41:42], v[35:36], v[12:13]
	v_fma_f64 v[16:17], v[25:26], v[37:38], v[16:17]
	;; [unrolled: 1-line block ×3, first 2 shown]
	s_waitcnt vmcnt(0)
	v_fma_f64 v[14:15], v[45:46], v[37:38], v[14:15]
	v_fma_f64 v[12:13], v[47:48], v[37:38], v[12:13]
	v_fma_f64 v[16:17], -v[27:28], v[39:40], v[16:17]
	v_fma_f64 v[10:11], v[25:26], v[39:40], v[10:11]
	v_fma_f64 v[14:15], -v[47:48], v[39:40], v[14:15]
	v_fma_f64 v[12:13], v[45:46], v[39:40], v[12:13]
	s_cbranch_scc0 .LBB271_16
; %bb.17:                               ;   in Loop: Header=BB271_15 Depth=1
	v_add_nc_u32_e32 v18, 32, v18
	v_add_nc_u32_e32 v21, 0x280, v21
	;; [unrolled: 1-line block ×3, first 2 shown]
	v_cmp_ge_i32_e32 vcc_lo, v18, v24
	s_or_b32 s0, vcc_lo, s0
	s_andn2_b32 exec_lo, exec_lo, s0
	s_cbranch_execnz .LBB271_15
; %bb.18:
	s_or_b32 exec_lo, exec_lo, s0
.LBB271_19:
	s_or_b32 exec_lo, exec_lo, s1
.LBB271_20:
	v_mbcnt_lo_u32_b32 v26, -1, 0
	v_xor_b32_e32 v18, 16, v26
	v_cmp_gt_i32_e32 vcc_lo, 32, v18
	v_cndmask_b32_e32 v18, v26, v18, vcc_lo
	v_lshlrev_b32_e32 v25, 2, v18
	ds_bpermute_b32 v18, v25, v16
	ds_bpermute_b32 v19, v25, v17
	;; [unrolled: 1-line block ×8, first 2 shown]
	s_waitcnt lgkmcnt(6)
	v_add_f64 v[16:17], v[16:17], v[18:19]
	v_xor_b32_e32 v18, 8, v26
	s_waitcnt lgkmcnt(4)
	v_add_f64 v[10:11], v[10:11], v[20:21]
	s_waitcnt lgkmcnt(2)
	v_add_f64 v[14:15], v[14:15], v[22:23]
	;; [unrolled: 2-line block ×3, first 2 shown]
	v_cmp_gt_i32_e32 vcc_lo, 32, v18
	v_cndmask_b32_e32 v18, v26, v18, vcc_lo
	v_lshlrev_b32_e32 v25, 2, v18
	ds_bpermute_b32 v18, v25, v16
	ds_bpermute_b32 v19, v25, v17
	;; [unrolled: 1-line block ×8, first 2 shown]
	s_waitcnt lgkmcnt(6)
	v_add_f64 v[16:17], v[16:17], v[18:19]
	v_xor_b32_e32 v18, 4, v26
	s_waitcnt lgkmcnt(4)
	v_add_f64 v[10:11], v[10:11], v[20:21]
	s_waitcnt lgkmcnt(2)
	v_add_f64 v[14:15], v[14:15], v[22:23]
	;; [unrolled: 2-line block ×3, first 2 shown]
	v_cmp_gt_i32_e32 vcc_lo, 32, v18
	v_cndmask_b32_e32 v18, v26, v18, vcc_lo
	v_lshlrev_b32_e32 v25, 2, v18
	ds_bpermute_b32 v18, v25, v16
	ds_bpermute_b32 v19, v25, v17
	;; [unrolled: 1-line block ×8, first 2 shown]
	s_waitcnt lgkmcnt(6)
	v_add_f64 v[16:17], v[16:17], v[18:19]
	s_waitcnt lgkmcnt(4)
	v_add_f64 v[18:19], v[10:11], v[20:21]
	v_xor_b32_e32 v10, 2, v26
	s_waitcnt lgkmcnt(2)
	v_add_f64 v[14:15], v[14:15], v[22:23]
	s_waitcnt lgkmcnt(0)
	v_add_f64 v[20:21], v[12:13], v[24:25]
	v_cmp_gt_i32_e32 vcc_lo, 32, v10
	v_cndmask_b32_e32 v10, v26, v10, vcc_lo
	v_lshlrev_b32_e32 v25, 2, v10
	ds_bpermute_b32 v10, v25, v16
	ds_bpermute_b32 v11, v25, v17
	;; [unrolled: 1-line block ×8, first 2 shown]
	s_waitcnt lgkmcnt(6)
	v_add_f64 v[10:11], v[16:17], v[10:11]
	s_waitcnt lgkmcnt(4)
	v_add_f64 v[16:17], v[18:19], v[12:13]
	v_xor_b32_e32 v18, 1, v26
	s_waitcnt lgkmcnt(2)
	v_add_f64 v[12:13], v[14:15], v[22:23]
	s_waitcnt lgkmcnt(0)
	v_add_f64 v[14:15], v[20:21], v[24:25]
	v_cmp_gt_i32_e32 vcc_lo, 32, v18
	v_cndmask_b32_e32 v18, v26, v18, vcc_lo
	v_cmp_eq_u32_e32 vcc_lo, 31, v0
	v_lshlrev_b32_e32 v21, 2, v18
	ds_bpermute_b32 v24, v21, v10
	ds_bpermute_b32 v25, v21, v11
	;; [unrolled: 1-line block ×8, first 2 shown]
	s_and_b32 exec_lo, exec_lo, vcc_lo
	s_cbranch_execz .LBB271_25
; %bb.21:
	v_cmp_eq_f64_e32 vcc_lo, 0, v[5:6]
	v_cmp_eq_f64_e64 s0, 0, v[7:8]
	s_waitcnt lgkmcnt(6)
	v_add_f64 v[10:11], v[10:11], v[24:25]
	s_waitcnt lgkmcnt(4)
	v_add_f64 v[16:17], v[16:17], v[22:23]
	s_waitcnt lgkmcnt(2)
	v_add_f64 v[12:13], v[12:13], v[18:19]
	s_waitcnt lgkmcnt(0)
	v_add_f64 v[14:15], v[14:15], v[20:21]
	s_load_dwordx2 s[2:3], s[4:5], 0x48
	s_and_b32 s0, vcc_lo, s0
	s_and_saveexec_b32 s1, s0
	s_xor_b32 s0, exec_lo, s1
	s_cbranch_execz .LBB271_23
; %bb.22:
	v_mul_f64 v[5:6], v[16:17], -v[3:4]
	v_mul_f64 v[7:8], v[1:2], v[16:17]
	v_mul_f64 v[16:17], v[14:15], -v[3:4]
	v_mul_f64 v[14:15], v[1:2], v[14:15]
	v_lshlrev_b32_e32 v9, 1, v9
	v_fma_f64 v[5:6], v[1:2], v[10:11], v[5:6]
	v_fma_f64 v[7:8], v[3:4], v[10:11], v[7:8]
	;; [unrolled: 1-line block ×4, first 2 shown]
	v_ashrrev_i32_e32 v10, 31, v9
                                        ; implicit-def: $vgpr16_vgpr17
                                        ; implicit-def: $vgpr12_vgpr13
                                        ; implicit-def: $vgpr14_vgpr15
	v_lshlrev_b64 v[9:10], 4, v[9:10]
	s_waitcnt lgkmcnt(0)
	v_add_co_u32 v9, vcc_lo, s2, v9
	v_add_co_ci_u32_e64 v10, null, s3, v10, vcc_lo
	global_store_dwordx4 v[9:10], v[5:8], off
	global_store_dwordx4 v[9:10], v[0:3], off offset:16
                                        ; implicit-def: $vgpr9
                                        ; implicit-def: $vgpr10_vgpr11
                                        ; implicit-def: $vgpr7_vgpr8
                                        ; implicit-def: $vgpr3_vgpr4
.LBB271_23:
	s_andn2_saveexec_b32 s0, s0
	s_cbranch_execz .LBB271_25
; %bb.24:
	v_lshlrev_b32_e32 v18, 1, v9
	v_mul_f64 v[28:29], v[16:17], -v[3:4]
	v_mul_f64 v[16:17], v[1:2], v[16:17]
	v_mul_f64 v[30:31], v[14:15], -v[3:4]
	v_mul_f64 v[14:15], v[1:2], v[14:15]
	v_ashrrev_i32_e32 v19, 31, v18
	v_lshlrev_b64 v[18:19], 4, v[18:19]
	s_waitcnt lgkmcnt(0)
	v_add_co_u32 v26, vcc_lo, s2, v18
	v_add_co_ci_u32_e64 v27, null, s3, v19, vcc_lo
	s_clause 0x1
	global_load_dwordx4 v[18:21], v[26:27], off
	global_load_dwordx4 v[22:25], v[26:27], off offset:16
	v_fma_f64 v[28:29], v[1:2], v[10:11], v[28:29]
	v_fma_f64 v[9:10], v[3:4], v[10:11], v[16:17]
	;; [unrolled: 1-line block ×4, first 2 shown]
	s_waitcnt vmcnt(1)
	v_fma_f64 v[11:12], v[5:6], v[18:19], v[28:29]
	v_fma_f64 v[9:10], v[7:8], v[18:19], v[9:10]
	s_waitcnt vmcnt(0)
	v_fma_f64 v[13:14], v[5:6], v[22:23], v[0:1]
	v_fma_f64 v[15:16], v[7:8], v[22:23], v[2:3]
	v_fma_f64 v[0:1], -v[7:8], v[20:21], v[11:12]
	v_fma_f64 v[2:3], v[5:6], v[20:21], v[9:10]
	v_fma_f64 v[7:8], -v[7:8], v[24:25], v[13:14]
	v_fma_f64 v[9:10], v[5:6], v[24:25], v[15:16]
	global_store_dwordx4 v[26:27], v[0:3], off
	global_store_dwordx4 v[26:27], v[7:10], off offset:16
.LBB271_25:
	s_endpgm
	.section	.rodata,"a",@progbits
	.p2align	6, 0x0
	.amdhsa_kernel _ZN9rocsparseL19gebsrmvn_2xn_kernelILj128ELj10ELj32E21rocsparse_complex_numIdEEEvi20rocsparse_direction_NS_24const_host_device_scalarIT2_EEPKiS8_PKS5_SA_S6_PS5_21rocsparse_index_base_b
		.amdhsa_group_segment_fixed_size 0
		.amdhsa_private_segment_fixed_size 0
		.amdhsa_kernarg_size 88
		.amdhsa_user_sgpr_count 6
		.amdhsa_user_sgpr_private_segment_buffer 1
		.amdhsa_user_sgpr_dispatch_ptr 0
		.amdhsa_user_sgpr_queue_ptr 0
		.amdhsa_user_sgpr_kernarg_segment_ptr 1
		.amdhsa_user_sgpr_dispatch_id 0
		.amdhsa_user_sgpr_flat_scratch_init 0
		.amdhsa_user_sgpr_private_segment_size 0
		.amdhsa_wavefront_size32 1
		.amdhsa_uses_dynamic_stack 0
		.amdhsa_system_sgpr_private_segment_wavefront_offset 0
		.amdhsa_system_sgpr_workgroup_id_x 1
		.amdhsa_system_sgpr_workgroup_id_y 0
		.amdhsa_system_sgpr_workgroup_id_z 0
		.amdhsa_system_sgpr_workgroup_info 0
		.amdhsa_system_vgpr_workitem_id 0
		.amdhsa_next_free_vgpr 50
		.amdhsa_next_free_sgpr 16
		.amdhsa_reserve_vcc 1
		.amdhsa_reserve_flat_scratch 0
		.amdhsa_float_round_mode_32 0
		.amdhsa_float_round_mode_16_64 0
		.amdhsa_float_denorm_mode_32 3
		.amdhsa_float_denorm_mode_16_64 3
		.amdhsa_dx10_clamp 1
		.amdhsa_ieee_mode 1
		.amdhsa_fp16_overflow 0
		.amdhsa_workgroup_processor_mode 1
		.amdhsa_memory_ordered 1
		.amdhsa_forward_progress 1
		.amdhsa_shared_vgpr_count 0
		.amdhsa_exception_fp_ieee_invalid_op 0
		.amdhsa_exception_fp_denorm_src 0
		.amdhsa_exception_fp_ieee_div_zero 0
		.amdhsa_exception_fp_ieee_overflow 0
		.amdhsa_exception_fp_ieee_underflow 0
		.amdhsa_exception_fp_ieee_inexact 0
		.amdhsa_exception_int_div_zero 0
	.end_amdhsa_kernel
	.section	.text._ZN9rocsparseL19gebsrmvn_2xn_kernelILj128ELj10ELj32E21rocsparse_complex_numIdEEEvi20rocsparse_direction_NS_24const_host_device_scalarIT2_EEPKiS8_PKS5_SA_S6_PS5_21rocsparse_index_base_b,"axG",@progbits,_ZN9rocsparseL19gebsrmvn_2xn_kernelILj128ELj10ELj32E21rocsparse_complex_numIdEEEvi20rocsparse_direction_NS_24const_host_device_scalarIT2_EEPKiS8_PKS5_SA_S6_PS5_21rocsparse_index_base_b,comdat
.Lfunc_end271:
	.size	_ZN9rocsparseL19gebsrmvn_2xn_kernelILj128ELj10ELj32E21rocsparse_complex_numIdEEEvi20rocsparse_direction_NS_24const_host_device_scalarIT2_EEPKiS8_PKS5_SA_S6_PS5_21rocsparse_index_base_b, .Lfunc_end271-_ZN9rocsparseL19gebsrmvn_2xn_kernelILj128ELj10ELj32E21rocsparse_complex_numIdEEEvi20rocsparse_direction_NS_24const_host_device_scalarIT2_EEPKiS8_PKS5_SA_S6_PS5_21rocsparse_index_base_b
                                        ; -- End function
	.set _ZN9rocsparseL19gebsrmvn_2xn_kernelILj128ELj10ELj32E21rocsparse_complex_numIdEEEvi20rocsparse_direction_NS_24const_host_device_scalarIT2_EEPKiS8_PKS5_SA_S6_PS5_21rocsparse_index_base_b.num_vgpr, 50
	.set _ZN9rocsparseL19gebsrmvn_2xn_kernelILj128ELj10ELj32E21rocsparse_complex_numIdEEEvi20rocsparse_direction_NS_24const_host_device_scalarIT2_EEPKiS8_PKS5_SA_S6_PS5_21rocsparse_index_base_b.num_agpr, 0
	.set _ZN9rocsparseL19gebsrmvn_2xn_kernelILj128ELj10ELj32E21rocsparse_complex_numIdEEEvi20rocsparse_direction_NS_24const_host_device_scalarIT2_EEPKiS8_PKS5_SA_S6_PS5_21rocsparse_index_base_b.numbered_sgpr, 16
	.set _ZN9rocsparseL19gebsrmvn_2xn_kernelILj128ELj10ELj32E21rocsparse_complex_numIdEEEvi20rocsparse_direction_NS_24const_host_device_scalarIT2_EEPKiS8_PKS5_SA_S6_PS5_21rocsparse_index_base_b.num_named_barrier, 0
	.set _ZN9rocsparseL19gebsrmvn_2xn_kernelILj128ELj10ELj32E21rocsparse_complex_numIdEEEvi20rocsparse_direction_NS_24const_host_device_scalarIT2_EEPKiS8_PKS5_SA_S6_PS5_21rocsparse_index_base_b.private_seg_size, 0
	.set _ZN9rocsparseL19gebsrmvn_2xn_kernelILj128ELj10ELj32E21rocsparse_complex_numIdEEEvi20rocsparse_direction_NS_24const_host_device_scalarIT2_EEPKiS8_PKS5_SA_S6_PS5_21rocsparse_index_base_b.uses_vcc, 1
	.set _ZN9rocsparseL19gebsrmvn_2xn_kernelILj128ELj10ELj32E21rocsparse_complex_numIdEEEvi20rocsparse_direction_NS_24const_host_device_scalarIT2_EEPKiS8_PKS5_SA_S6_PS5_21rocsparse_index_base_b.uses_flat_scratch, 0
	.set _ZN9rocsparseL19gebsrmvn_2xn_kernelILj128ELj10ELj32E21rocsparse_complex_numIdEEEvi20rocsparse_direction_NS_24const_host_device_scalarIT2_EEPKiS8_PKS5_SA_S6_PS5_21rocsparse_index_base_b.has_dyn_sized_stack, 0
	.set _ZN9rocsparseL19gebsrmvn_2xn_kernelILj128ELj10ELj32E21rocsparse_complex_numIdEEEvi20rocsparse_direction_NS_24const_host_device_scalarIT2_EEPKiS8_PKS5_SA_S6_PS5_21rocsparse_index_base_b.has_recursion, 0
	.set _ZN9rocsparseL19gebsrmvn_2xn_kernelILj128ELj10ELj32E21rocsparse_complex_numIdEEEvi20rocsparse_direction_NS_24const_host_device_scalarIT2_EEPKiS8_PKS5_SA_S6_PS5_21rocsparse_index_base_b.has_indirect_call, 0
	.section	.AMDGPU.csdata,"",@progbits
; Kernel info:
; codeLenInByte = 2296
; TotalNumSgprs: 18
; NumVgprs: 50
; ScratchSize: 0
; MemoryBound: 0
; FloatMode: 240
; IeeeMode: 1
; LDSByteSize: 0 bytes/workgroup (compile time only)
; SGPRBlocks: 0
; VGPRBlocks: 6
; NumSGPRsForWavesPerEU: 18
; NumVGPRsForWavesPerEU: 50
; Occupancy: 16
; WaveLimiterHint : 1
; COMPUTE_PGM_RSRC2:SCRATCH_EN: 0
; COMPUTE_PGM_RSRC2:USER_SGPR: 6
; COMPUTE_PGM_RSRC2:TRAP_HANDLER: 0
; COMPUTE_PGM_RSRC2:TGID_X_EN: 1
; COMPUTE_PGM_RSRC2:TGID_Y_EN: 0
; COMPUTE_PGM_RSRC2:TGID_Z_EN: 0
; COMPUTE_PGM_RSRC2:TIDIG_COMP_CNT: 0
	.section	.text._ZN9rocsparseL19gebsrmvn_2xn_kernelILj128ELj10ELj64E21rocsparse_complex_numIdEEEvi20rocsparse_direction_NS_24const_host_device_scalarIT2_EEPKiS8_PKS5_SA_S6_PS5_21rocsparse_index_base_b,"axG",@progbits,_ZN9rocsparseL19gebsrmvn_2xn_kernelILj128ELj10ELj64E21rocsparse_complex_numIdEEEvi20rocsparse_direction_NS_24const_host_device_scalarIT2_EEPKiS8_PKS5_SA_S6_PS5_21rocsparse_index_base_b,comdat
	.globl	_ZN9rocsparseL19gebsrmvn_2xn_kernelILj128ELj10ELj64E21rocsparse_complex_numIdEEEvi20rocsparse_direction_NS_24const_host_device_scalarIT2_EEPKiS8_PKS5_SA_S6_PS5_21rocsparse_index_base_b ; -- Begin function _ZN9rocsparseL19gebsrmvn_2xn_kernelILj128ELj10ELj64E21rocsparse_complex_numIdEEEvi20rocsparse_direction_NS_24const_host_device_scalarIT2_EEPKiS8_PKS5_SA_S6_PS5_21rocsparse_index_base_b
	.p2align	8
	.type	_ZN9rocsparseL19gebsrmvn_2xn_kernelILj128ELj10ELj64E21rocsparse_complex_numIdEEEvi20rocsparse_direction_NS_24const_host_device_scalarIT2_EEPKiS8_PKS5_SA_S6_PS5_21rocsparse_index_base_b,@function
_ZN9rocsparseL19gebsrmvn_2xn_kernelILj128ELj10ELj64E21rocsparse_complex_numIdEEEvi20rocsparse_direction_NS_24const_host_device_scalarIT2_EEPKiS8_PKS5_SA_S6_PS5_21rocsparse_index_base_b: ; @_ZN9rocsparseL19gebsrmvn_2xn_kernelILj128ELj10ELj64E21rocsparse_complex_numIdEEEvi20rocsparse_direction_NS_24const_host_device_scalarIT2_EEPKiS8_PKS5_SA_S6_PS5_21rocsparse_index_base_b
; %bb.0:
	s_clause 0x1
	s_load_dwordx2 s[2:3], s[4:5], 0x50
	s_load_dwordx2 s[0:1], s[4:5], 0x8
	s_add_u32 s7, s4, 8
	s_addc_u32 s10, s5, 0
	s_add_u32 s11, s4, 56
	s_addc_u32 s12, s5, 0
	s_load_dwordx2 s[8:9], s[4:5], 0x38
	s_waitcnt lgkmcnt(0)
	s_bitcmp1_b32 s3, 0
	s_cselect_b32 s0, s7, s0
	s_cselect_b32 s1, s10, s1
	v_mov_b32_e32 v1, s0
	v_mov_b32_e32 v2, s1
	s_cselect_b32 s0, s11, s8
	s_cselect_b32 s1, s12, s9
	v_mov_b32_e32 v5, s0
	v_mov_b32_e32 v6, s1
	flat_load_dwordx4 v[1:4], v[1:2]
	flat_load_dwordx4 v[5:8], v[5:6]
	s_waitcnt vmcnt(1) lgkmcnt(1)
	v_cmp_eq_f64_e32 vcc_lo, 0, v[1:2]
	v_cmp_eq_f64_e64 s0, 0, v[3:4]
	s_and_b32 s3, vcc_lo, s0
	s_mov_b32 s0, -1
	s_and_saveexec_b32 s1, s3
	s_cbranch_execz .LBB272_2
; %bb.1:
	s_waitcnt vmcnt(0) lgkmcnt(0)
	v_cmp_neq_f64_e32 vcc_lo, 1.0, v[5:6]
	v_cmp_neq_f64_e64 s0, 0, v[7:8]
	s_or_b32 s0, vcc_lo, s0
	s_orn2_b32 s0, s0, exec_lo
.LBB272_2:
	s_or_b32 exec_lo, exec_lo, s1
	s_and_saveexec_b32 s1, s0
	s_cbranch_execz .LBB272_25
; %bb.3:
	s_load_dwordx2 s[0:1], s[4:5], 0x0
	v_lshrrev_b32_e32 v9, 6, v0
	v_lshl_or_b32 v9, s6, 1, v9
	s_waitcnt lgkmcnt(0)
	v_cmp_gt_i32_e32 vcc_lo, s0, v9
	s_and_b32 exec_lo, exec_lo, vcc_lo
	s_cbranch_execz .LBB272_25
; %bb.4:
	s_load_dwordx8 s[8:15], s[4:5], 0x18
	v_ashrrev_i32_e32 v10, 31, v9
	v_and_b32_e32 v0, 63, v0
	s_cmp_lg_u32 s1, 0
	v_lshlrev_b64 v[10:11], 2, v[9:10]
	s_waitcnt lgkmcnt(0)
	v_add_co_u32 v10, vcc_lo, s8, v10
	v_add_co_ci_u32_e64 v11, null, s9, v11, vcc_lo
	global_load_dwordx2 v[19:20], v[10:11], off
	s_waitcnt vmcnt(0)
	v_subrev_nc_u32_e32 v10, s2, v19
	v_subrev_nc_u32_e32 v24, s2, v20
	v_add_nc_u32_e32 v18, v10, v0
	v_cmp_lt_i32_e64 s0, v18, v24
	s_cbranch_scc0 .LBB272_12
; %bb.5:
	v_mov_b32_e32 v10, 0
	v_mov_b32_e32 v16, 0
	;; [unrolled: 1-line block ×8, first 2 shown]
	s_and_saveexec_b32 s1, s0
	s_cbranch_execz .LBB272_11
; %bb.6:
	v_mul_lo_u32 v25, v18, 20
	v_mov_b32_e32 v10, 0
	v_mov_b32_e32 v16, 0
	v_mov_b32_e32 v14, 0
	v_mov_b32_e32 v12, 0
	v_mov_b32_e32 v11, 0
	v_mov_b32_e32 v21, 0
	v_mov_b32_e32 v17, 0
	v_mov_b32_e32 v15, 0
	v_mov_b32_e32 v13, 0
	v_mov_b32_e32 v22, v18
	s_mov_b32 s3, 0
.LBB272_7:                              ; =>This Loop Header: Depth=1
                                        ;     Child Loop BB272_8 Depth 2
	v_ashrrev_i32_e32 v23, 31, v22
	s_mov_b32 s6, 0
	v_lshlrev_b64 v[26:27], 2, v[22:23]
	v_add_co_u32 v26, vcc_lo, s10, v26
	v_add_co_ci_u32_e64 v27, null, s11, v27, vcc_lo
	global_load_dword v20, v[26:27], off
	s_waitcnt vmcnt(0)
	v_subrev_nc_u32_e32 v20, s2, v20
	v_mul_lo_u32 v23, v20, 10
	v_mov_b32_e32 v20, v25
.LBB272_8:                              ;   Parent Loop BB272_7 Depth=1
                                        ; =>  This Inner Loop Header: Depth=2
	v_add_nc_u32_e32 v26, s6, v23
	v_mov_b32_e32 v27, v21
	v_lshlrev_b64 v[28:29], 4, v[20:21]
	v_add_nc_u32_e32 v20, 4, v20
	s_add_i32 s6, s6, 2
	v_lshlrev_b64 v[26:27], 4, v[26:27]
	s_cmp_eq_u32 s6, 10
	v_add_co_u32 v46, vcc_lo, s12, v28
	v_add_co_ci_u32_e64 v47, null, s13, v29, vcc_lo
	v_add_co_u32 v38, vcc_lo, s14, v26
	v_add_co_ci_u32_e64 v39, null, s15, v27, vcc_lo
	s_clause 0x1
	global_load_dwordx4 v[26:29], v[46:47], off offset:16
	global_load_dwordx4 v[30:33], v[46:47], off
	s_clause 0x1
	global_load_dwordx4 v[34:37], v[38:39], off
	global_load_dwordx4 v[38:41], v[38:39], off offset:16
	s_clause 0x1
	global_load_dwordx4 v[42:45], v[46:47], off offset:32
	global_load_dwordx4 v[46:49], v[46:47], off offset:48
	s_waitcnt vmcnt(3)
	v_fma_f64 v[16:17], v[30:31], v[34:35], v[16:17]
	v_fma_f64 v[10:11], v[32:33], v[34:35], v[10:11]
	;; [unrolled: 1-line block ×4, first 2 shown]
	v_fma_f64 v[16:17], -v[32:33], v[36:37], v[16:17]
	v_fma_f64 v[10:11], v[30:31], v[36:37], v[10:11]
	v_fma_f64 v[14:15], -v[28:29], v[36:37], v[14:15]
	v_fma_f64 v[12:13], v[26:27], v[36:37], v[12:13]
	s_waitcnt vmcnt(1)
	v_fma_f64 v[16:17], v[42:43], v[38:39], v[16:17]
	v_fma_f64 v[10:11], v[44:45], v[38:39], v[10:11]
	s_waitcnt vmcnt(0)
	v_fma_f64 v[14:15], v[46:47], v[38:39], v[14:15]
	v_fma_f64 v[12:13], v[48:49], v[38:39], v[12:13]
	v_fma_f64 v[16:17], -v[44:45], v[40:41], v[16:17]
	v_fma_f64 v[10:11], v[42:43], v[40:41], v[10:11]
	v_fma_f64 v[14:15], -v[48:49], v[40:41], v[14:15]
	v_fma_f64 v[12:13], v[46:47], v[40:41], v[12:13]
	s_cbranch_scc0 .LBB272_8
; %bb.9:                                ;   in Loop: Header=BB272_7 Depth=1
	v_add_nc_u32_e32 v22, 64, v22
	v_add_nc_u32_e32 v25, 0x500, v25
	v_cmp_ge_i32_e32 vcc_lo, v22, v24
	s_or_b32 s3, vcc_lo, s3
	s_andn2_b32 exec_lo, exec_lo, s3
	s_cbranch_execnz .LBB272_7
; %bb.10:
	s_or_b32 exec_lo, exec_lo, s3
.LBB272_11:
	s_or_b32 exec_lo, exec_lo, s1
	s_cbranch_execz .LBB272_13
	s_branch .LBB272_20
.LBB272_12:
                                        ; implicit-def: $vgpr10_vgpr11
                                        ; implicit-def: $vgpr16_vgpr17
                                        ; implicit-def: $vgpr14_vgpr15
                                        ; implicit-def: $vgpr12_vgpr13
.LBB272_13:
	v_mov_b32_e32 v10, 0
	v_mov_b32_e32 v16, 0
	;; [unrolled: 1-line block ×8, first 2 shown]
	s_and_saveexec_b32 s1, s0
	s_cbranch_execz .LBB272_19
; %bb.14:
	v_mul_lo_u32 v10, v19, 20
	v_mul_lo_u32 v21, v18, 20
	s_mul_i32 s0, s2, 20
	v_mov_b32_e32 v16, 0
	v_mov_b32_e32 v14, 0
	;; [unrolled: 1-line block ×5, first 2 shown]
	v_mad_u32_u24 v19, v0, 20, v10
	v_mov_b32_e32 v10, 0
	v_mov_b32_e32 v11, 0
	;; [unrolled: 1-line block ×4, first 2 shown]
	v_subrev_nc_u32_e32 v22, s0, v19
	s_mov_b32 s0, 0
.LBB272_15:                             ; =>This Loop Header: Depth=1
                                        ;     Child Loop BB272_16 Depth 2
	v_ashrrev_i32_e32 v19, 31, v18
	s_mov_b32 s3, 0
	v_lshlrev_b64 v[25:26], 2, v[18:19]
	v_add_co_u32 v25, vcc_lo, s10, v25
	v_add_co_ci_u32_e64 v26, null, s11, v26, vcc_lo
	global_load_dword v19, v[25:26], off
	s_waitcnt vmcnt(0)
	v_subrev_nc_u32_e32 v19, s2, v19
	v_mul_lo_u32 v23, v19, 10
.LBB272_16:                             ;   Parent Loop BB272_15 Depth=1
                                        ; =>  This Inner Loop Header: Depth=2
	v_add_nc_u32_e32 v19, s3, v22
	v_lshlrev_b64 v[25:26], 4, v[19:20]
	v_add_nc_u32_e32 v19, s3, v23
	v_lshlrev_b64 v[29:30], 4, v[19:20]
	v_add3_u32 v19, v21, s3, 10
	v_add_co_u32 v31, vcc_lo, s12, v25
	v_add_co_ci_u32_e64 v32, null, s13, v26, vcc_lo
	v_lshlrev_b64 v[33:34], 4, v[19:20]
	v_add_co_u32 v37, vcc_lo, s14, v29
	v_add_co_ci_u32_e64 v38, null, s15, v30, vcc_lo
	global_load_dwordx4 v[25:28], v[31:32], off offset:16
	v_add_co_u32 v45, vcc_lo, s12, v33
	v_add_co_ci_u32_e64 v46, null, s13, v34, vcc_lo
	global_load_dwordx4 v[29:32], v[31:32], off
	s_clause 0x1
	global_load_dwordx4 v[33:36], v[37:38], off
	global_load_dwordx4 v[37:40], v[37:38], off offset:16
	s_clause 0x1
	global_load_dwordx4 v[41:44], v[45:46], off
	global_load_dwordx4 v[45:48], v[45:46], off offset:16
	s_add_i32 s3, s3, 2
	s_cmp_eq_u32 s3, 10
	s_waitcnt vmcnt(3)
	v_fma_f64 v[16:17], v[29:30], v[33:34], v[16:17]
	v_fma_f64 v[10:11], v[31:32], v[33:34], v[10:11]
	s_waitcnt vmcnt(1)
	v_fma_f64 v[14:15], v[41:42], v[33:34], v[14:15]
	v_fma_f64 v[12:13], v[43:44], v[33:34], v[12:13]
	v_fma_f64 v[16:17], -v[31:32], v[35:36], v[16:17]
	v_fma_f64 v[10:11], v[29:30], v[35:36], v[10:11]
	v_fma_f64 v[14:15], -v[43:44], v[35:36], v[14:15]
	v_fma_f64 v[12:13], v[41:42], v[35:36], v[12:13]
	v_fma_f64 v[16:17], v[25:26], v[37:38], v[16:17]
	;; [unrolled: 1-line block ×3, first 2 shown]
	s_waitcnt vmcnt(0)
	v_fma_f64 v[14:15], v[45:46], v[37:38], v[14:15]
	v_fma_f64 v[12:13], v[47:48], v[37:38], v[12:13]
	v_fma_f64 v[16:17], -v[27:28], v[39:40], v[16:17]
	v_fma_f64 v[10:11], v[25:26], v[39:40], v[10:11]
	v_fma_f64 v[14:15], -v[47:48], v[39:40], v[14:15]
	v_fma_f64 v[12:13], v[45:46], v[39:40], v[12:13]
	s_cbranch_scc0 .LBB272_16
; %bb.17:                               ;   in Loop: Header=BB272_15 Depth=1
	v_add_nc_u32_e32 v18, 64, v18
	v_add_nc_u32_e32 v21, 0x500, v21
	;; [unrolled: 1-line block ×3, first 2 shown]
	v_cmp_ge_i32_e32 vcc_lo, v18, v24
	s_or_b32 s0, vcc_lo, s0
	s_andn2_b32 exec_lo, exec_lo, s0
	s_cbranch_execnz .LBB272_15
; %bb.18:
	s_or_b32 exec_lo, exec_lo, s0
.LBB272_19:
	s_or_b32 exec_lo, exec_lo, s1
.LBB272_20:
	v_mbcnt_lo_u32_b32 v26, -1, 0
	v_or_b32_e32 v18, 32, v26
	v_cmp_gt_i32_e32 vcc_lo, 32, v18
	v_cndmask_b32_e32 v18, v26, v18, vcc_lo
	v_lshlrev_b32_e32 v25, 2, v18
	ds_bpermute_b32 v18, v25, v16
	ds_bpermute_b32 v19, v25, v17
	ds_bpermute_b32 v20, v25, v10
	ds_bpermute_b32 v21, v25, v11
	ds_bpermute_b32 v22, v25, v14
	ds_bpermute_b32 v23, v25, v15
	ds_bpermute_b32 v24, v25, v12
	ds_bpermute_b32 v25, v25, v13
	s_waitcnt lgkmcnt(6)
	v_add_f64 v[16:17], v[16:17], v[18:19]
	v_xor_b32_e32 v18, 16, v26
	s_waitcnt lgkmcnt(4)
	v_add_f64 v[10:11], v[10:11], v[20:21]
	s_waitcnt lgkmcnt(2)
	v_add_f64 v[14:15], v[14:15], v[22:23]
	s_waitcnt lgkmcnt(0)
	v_add_f64 v[12:13], v[12:13], v[24:25]
	v_cmp_gt_i32_e32 vcc_lo, 32, v18
	v_cndmask_b32_e32 v18, v26, v18, vcc_lo
	v_lshlrev_b32_e32 v25, 2, v18
	ds_bpermute_b32 v18, v25, v16
	ds_bpermute_b32 v19, v25, v17
	ds_bpermute_b32 v20, v25, v10
	ds_bpermute_b32 v21, v25, v11
	ds_bpermute_b32 v22, v25, v14
	ds_bpermute_b32 v23, v25, v15
	ds_bpermute_b32 v24, v25, v12
	ds_bpermute_b32 v25, v25, v13
	s_waitcnt lgkmcnt(6)
	v_add_f64 v[16:17], v[16:17], v[18:19]
	v_xor_b32_e32 v18, 8, v26
	s_waitcnt lgkmcnt(4)
	v_add_f64 v[10:11], v[10:11], v[20:21]
	s_waitcnt lgkmcnt(2)
	v_add_f64 v[14:15], v[14:15], v[22:23]
	s_waitcnt lgkmcnt(0)
	v_add_f64 v[12:13], v[12:13], v[24:25]
	;; [unrolled: 20-line block ×3, first 2 shown]
	v_cmp_gt_i32_e32 vcc_lo, 32, v18
	v_cndmask_b32_e32 v18, v26, v18, vcc_lo
	v_lshlrev_b32_e32 v25, 2, v18
	ds_bpermute_b32 v18, v25, v16
	ds_bpermute_b32 v19, v25, v17
	;; [unrolled: 1-line block ×8, first 2 shown]
	s_waitcnt lgkmcnt(6)
	v_add_f64 v[16:17], v[16:17], v[18:19]
	s_waitcnt lgkmcnt(4)
	v_add_f64 v[18:19], v[10:11], v[20:21]
	v_xor_b32_e32 v10, 2, v26
	s_waitcnt lgkmcnt(2)
	v_add_f64 v[14:15], v[14:15], v[22:23]
	s_waitcnt lgkmcnt(0)
	v_add_f64 v[20:21], v[12:13], v[24:25]
	v_cmp_gt_i32_e32 vcc_lo, 32, v10
	v_cndmask_b32_e32 v10, v26, v10, vcc_lo
	v_lshlrev_b32_e32 v25, 2, v10
	ds_bpermute_b32 v10, v25, v16
	ds_bpermute_b32 v11, v25, v17
	;; [unrolled: 1-line block ×8, first 2 shown]
	s_waitcnt lgkmcnt(6)
	v_add_f64 v[10:11], v[16:17], v[10:11]
	s_waitcnt lgkmcnt(4)
	v_add_f64 v[16:17], v[18:19], v[12:13]
	v_xor_b32_e32 v18, 1, v26
	s_waitcnt lgkmcnt(2)
	v_add_f64 v[12:13], v[14:15], v[22:23]
	s_waitcnt lgkmcnt(0)
	v_add_f64 v[14:15], v[20:21], v[24:25]
	v_cmp_gt_i32_e32 vcc_lo, 32, v18
	v_cndmask_b32_e32 v18, v26, v18, vcc_lo
	v_cmp_eq_u32_e32 vcc_lo, 63, v0
	v_lshlrev_b32_e32 v21, 2, v18
	ds_bpermute_b32 v24, v21, v10
	ds_bpermute_b32 v25, v21, v11
	;; [unrolled: 1-line block ×8, first 2 shown]
	s_and_b32 exec_lo, exec_lo, vcc_lo
	s_cbranch_execz .LBB272_25
; %bb.21:
	v_cmp_eq_f64_e32 vcc_lo, 0, v[5:6]
	v_cmp_eq_f64_e64 s0, 0, v[7:8]
	s_waitcnt lgkmcnt(6)
	v_add_f64 v[10:11], v[10:11], v[24:25]
	s_waitcnt lgkmcnt(4)
	v_add_f64 v[16:17], v[16:17], v[22:23]
	;; [unrolled: 2-line block ×4, first 2 shown]
	s_load_dwordx2 s[2:3], s[4:5], 0x48
	s_and_b32 s0, vcc_lo, s0
	s_and_saveexec_b32 s1, s0
	s_xor_b32 s0, exec_lo, s1
	s_cbranch_execz .LBB272_23
; %bb.22:
	v_mul_f64 v[5:6], v[16:17], -v[3:4]
	v_mul_f64 v[7:8], v[1:2], v[16:17]
	v_mul_f64 v[16:17], v[14:15], -v[3:4]
	v_mul_f64 v[14:15], v[1:2], v[14:15]
	v_lshlrev_b32_e32 v9, 1, v9
	v_fma_f64 v[5:6], v[1:2], v[10:11], v[5:6]
	v_fma_f64 v[7:8], v[3:4], v[10:11], v[7:8]
	;; [unrolled: 1-line block ×4, first 2 shown]
	v_ashrrev_i32_e32 v10, 31, v9
                                        ; implicit-def: $vgpr16_vgpr17
                                        ; implicit-def: $vgpr12_vgpr13
                                        ; implicit-def: $vgpr14_vgpr15
	v_lshlrev_b64 v[9:10], 4, v[9:10]
	s_waitcnt lgkmcnt(0)
	v_add_co_u32 v9, vcc_lo, s2, v9
	v_add_co_ci_u32_e64 v10, null, s3, v10, vcc_lo
	global_store_dwordx4 v[9:10], v[5:8], off
	global_store_dwordx4 v[9:10], v[0:3], off offset:16
                                        ; implicit-def: $vgpr9
                                        ; implicit-def: $vgpr10_vgpr11
                                        ; implicit-def: $vgpr7_vgpr8
                                        ; implicit-def: $vgpr3_vgpr4
.LBB272_23:
	s_andn2_saveexec_b32 s0, s0
	s_cbranch_execz .LBB272_25
; %bb.24:
	v_lshlrev_b32_e32 v18, 1, v9
	v_mul_f64 v[28:29], v[16:17], -v[3:4]
	v_mul_f64 v[16:17], v[1:2], v[16:17]
	v_mul_f64 v[30:31], v[14:15], -v[3:4]
	v_mul_f64 v[14:15], v[1:2], v[14:15]
	v_ashrrev_i32_e32 v19, 31, v18
	v_lshlrev_b64 v[18:19], 4, v[18:19]
	s_waitcnt lgkmcnt(0)
	v_add_co_u32 v26, vcc_lo, s2, v18
	v_add_co_ci_u32_e64 v27, null, s3, v19, vcc_lo
	s_clause 0x1
	global_load_dwordx4 v[18:21], v[26:27], off
	global_load_dwordx4 v[22:25], v[26:27], off offset:16
	v_fma_f64 v[28:29], v[1:2], v[10:11], v[28:29]
	v_fma_f64 v[9:10], v[3:4], v[10:11], v[16:17]
	;; [unrolled: 1-line block ×4, first 2 shown]
	s_waitcnt vmcnt(1)
	v_fma_f64 v[11:12], v[5:6], v[18:19], v[28:29]
	v_fma_f64 v[9:10], v[7:8], v[18:19], v[9:10]
	s_waitcnt vmcnt(0)
	v_fma_f64 v[13:14], v[5:6], v[22:23], v[0:1]
	v_fma_f64 v[15:16], v[7:8], v[22:23], v[2:3]
	v_fma_f64 v[0:1], -v[7:8], v[20:21], v[11:12]
	v_fma_f64 v[2:3], v[5:6], v[20:21], v[9:10]
	v_fma_f64 v[7:8], -v[7:8], v[24:25], v[13:14]
	v_fma_f64 v[9:10], v[5:6], v[24:25], v[15:16]
	global_store_dwordx4 v[26:27], v[0:3], off
	global_store_dwordx4 v[26:27], v[7:10], off offset:16
.LBB272_25:
	s_endpgm
	.section	.rodata,"a",@progbits
	.p2align	6, 0x0
	.amdhsa_kernel _ZN9rocsparseL19gebsrmvn_2xn_kernelILj128ELj10ELj64E21rocsparse_complex_numIdEEEvi20rocsparse_direction_NS_24const_host_device_scalarIT2_EEPKiS8_PKS5_SA_S6_PS5_21rocsparse_index_base_b
		.amdhsa_group_segment_fixed_size 0
		.amdhsa_private_segment_fixed_size 0
		.amdhsa_kernarg_size 88
		.amdhsa_user_sgpr_count 6
		.amdhsa_user_sgpr_private_segment_buffer 1
		.amdhsa_user_sgpr_dispatch_ptr 0
		.amdhsa_user_sgpr_queue_ptr 0
		.amdhsa_user_sgpr_kernarg_segment_ptr 1
		.amdhsa_user_sgpr_dispatch_id 0
		.amdhsa_user_sgpr_flat_scratch_init 0
		.amdhsa_user_sgpr_private_segment_size 0
		.amdhsa_wavefront_size32 1
		.amdhsa_uses_dynamic_stack 0
		.amdhsa_system_sgpr_private_segment_wavefront_offset 0
		.amdhsa_system_sgpr_workgroup_id_x 1
		.amdhsa_system_sgpr_workgroup_id_y 0
		.amdhsa_system_sgpr_workgroup_id_z 0
		.amdhsa_system_sgpr_workgroup_info 0
		.amdhsa_system_vgpr_workitem_id 0
		.amdhsa_next_free_vgpr 50
		.amdhsa_next_free_sgpr 16
		.amdhsa_reserve_vcc 1
		.amdhsa_reserve_flat_scratch 0
		.amdhsa_float_round_mode_32 0
		.amdhsa_float_round_mode_16_64 0
		.amdhsa_float_denorm_mode_32 3
		.amdhsa_float_denorm_mode_16_64 3
		.amdhsa_dx10_clamp 1
		.amdhsa_ieee_mode 1
		.amdhsa_fp16_overflow 0
		.amdhsa_workgroup_processor_mode 1
		.amdhsa_memory_ordered 1
		.amdhsa_forward_progress 1
		.amdhsa_shared_vgpr_count 0
		.amdhsa_exception_fp_ieee_invalid_op 0
		.amdhsa_exception_fp_denorm_src 0
		.amdhsa_exception_fp_ieee_div_zero 0
		.amdhsa_exception_fp_ieee_overflow 0
		.amdhsa_exception_fp_ieee_underflow 0
		.amdhsa_exception_fp_ieee_inexact 0
		.amdhsa_exception_int_div_zero 0
	.end_amdhsa_kernel
	.section	.text._ZN9rocsparseL19gebsrmvn_2xn_kernelILj128ELj10ELj64E21rocsparse_complex_numIdEEEvi20rocsparse_direction_NS_24const_host_device_scalarIT2_EEPKiS8_PKS5_SA_S6_PS5_21rocsparse_index_base_b,"axG",@progbits,_ZN9rocsparseL19gebsrmvn_2xn_kernelILj128ELj10ELj64E21rocsparse_complex_numIdEEEvi20rocsparse_direction_NS_24const_host_device_scalarIT2_EEPKiS8_PKS5_SA_S6_PS5_21rocsparse_index_base_b,comdat
.Lfunc_end272:
	.size	_ZN9rocsparseL19gebsrmvn_2xn_kernelILj128ELj10ELj64E21rocsparse_complex_numIdEEEvi20rocsparse_direction_NS_24const_host_device_scalarIT2_EEPKiS8_PKS5_SA_S6_PS5_21rocsparse_index_base_b, .Lfunc_end272-_ZN9rocsparseL19gebsrmvn_2xn_kernelILj128ELj10ELj64E21rocsparse_complex_numIdEEEvi20rocsparse_direction_NS_24const_host_device_scalarIT2_EEPKiS8_PKS5_SA_S6_PS5_21rocsparse_index_base_b
                                        ; -- End function
	.set _ZN9rocsparseL19gebsrmvn_2xn_kernelILj128ELj10ELj64E21rocsparse_complex_numIdEEEvi20rocsparse_direction_NS_24const_host_device_scalarIT2_EEPKiS8_PKS5_SA_S6_PS5_21rocsparse_index_base_b.num_vgpr, 50
	.set _ZN9rocsparseL19gebsrmvn_2xn_kernelILj128ELj10ELj64E21rocsparse_complex_numIdEEEvi20rocsparse_direction_NS_24const_host_device_scalarIT2_EEPKiS8_PKS5_SA_S6_PS5_21rocsparse_index_base_b.num_agpr, 0
	.set _ZN9rocsparseL19gebsrmvn_2xn_kernelILj128ELj10ELj64E21rocsparse_complex_numIdEEEvi20rocsparse_direction_NS_24const_host_device_scalarIT2_EEPKiS8_PKS5_SA_S6_PS5_21rocsparse_index_base_b.numbered_sgpr, 16
	.set _ZN9rocsparseL19gebsrmvn_2xn_kernelILj128ELj10ELj64E21rocsparse_complex_numIdEEEvi20rocsparse_direction_NS_24const_host_device_scalarIT2_EEPKiS8_PKS5_SA_S6_PS5_21rocsparse_index_base_b.num_named_barrier, 0
	.set _ZN9rocsparseL19gebsrmvn_2xn_kernelILj128ELj10ELj64E21rocsparse_complex_numIdEEEvi20rocsparse_direction_NS_24const_host_device_scalarIT2_EEPKiS8_PKS5_SA_S6_PS5_21rocsparse_index_base_b.private_seg_size, 0
	.set _ZN9rocsparseL19gebsrmvn_2xn_kernelILj128ELj10ELj64E21rocsparse_complex_numIdEEEvi20rocsparse_direction_NS_24const_host_device_scalarIT2_EEPKiS8_PKS5_SA_S6_PS5_21rocsparse_index_base_b.uses_vcc, 1
	.set _ZN9rocsparseL19gebsrmvn_2xn_kernelILj128ELj10ELj64E21rocsparse_complex_numIdEEEvi20rocsparse_direction_NS_24const_host_device_scalarIT2_EEPKiS8_PKS5_SA_S6_PS5_21rocsparse_index_base_b.uses_flat_scratch, 0
	.set _ZN9rocsparseL19gebsrmvn_2xn_kernelILj128ELj10ELj64E21rocsparse_complex_numIdEEEvi20rocsparse_direction_NS_24const_host_device_scalarIT2_EEPKiS8_PKS5_SA_S6_PS5_21rocsparse_index_base_b.has_dyn_sized_stack, 0
	.set _ZN9rocsparseL19gebsrmvn_2xn_kernelILj128ELj10ELj64E21rocsparse_complex_numIdEEEvi20rocsparse_direction_NS_24const_host_device_scalarIT2_EEPKiS8_PKS5_SA_S6_PS5_21rocsparse_index_base_b.has_recursion, 0
	.set _ZN9rocsparseL19gebsrmvn_2xn_kernelILj128ELj10ELj64E21rocsparse_complex_numIdEEEvi20rocsparse_direction_NS_24const_host_device_scalarIT2_EEPKiS8_PKS5_SA_S6_PS5_21rocsparse_index_base_b.has_indirect_call, 0
	.section	.AMDGPU.csdata,"",@progbits
; Kernel info:
; codeLenInByte = 2424
; TotalNumSgprs: 18
; NumVgprs: 50
; ScratchSize: 0
; MemoryBound: 0
; FloatMode: 240
; IeeeMode: 1
; LDSByteSize: 0 bytes/workgroup (compile time only)
; SGPRBlocks: 0
; VGPRBlocks: 6
; NumSGPRsForWavesPerEU: 18
; NumVGPRsForWavesPerEU: 50
; Occupancy: 16
; WaveLimiterHint : 1
; COMPUTE_PGM_RSRC2:SCRATCH_EN: 0
; COMPUTE_PGM_RSRC2:USER_SGPR: 6
; COMPUTE_PGM_RSRC2:TRAP_HANDLER: 0
; COMPUTE_PGM_RSRC2:TGID_X_EN: 1
; COMPUTE_PGM_RSRC2:TGID_Y_EN: 0
; COMPUTE_PGM_RSRC2:TGID_Z_EN: 0
; COMPUTE_PGM_RSRC2:TIDIG_COMP_CNT: 0
	.section	.text._ZN9rocsparseL19gebsrmvn_2xn_kernelILj128ELj11ELj4E21rocsparse_complex_numIdEEEvi20rocsparse_direction_NS_24const_host_device_scalarIT2_EEPKiS8_PKS5_SA_S6_PS5_21rocsparse_index_base_b,"axG",@progbits,_ZN9rocsparseL19gebsrmvn_2xn_kernelILj128ELj11ELj4E21rocsparse_complex_numIdEEEvi20rocsparse_direction_NS_24const_host_device_scalarIT2_EEPKiS8_PKS5_SA_S6_PS5_21rocsparse_index_base_b,comdat
	.globl	_ZN9rocsparseL19gebsrmvn_2xn_kernelILj128ELj11ELj4E21rocsparse_complex_numIdEEEvi20rocsparse_direction_NS_24const_host_device_scalarIT2_EEPKiS8_PKS5_SA_S6_PS5_21rocsparse_index_base_b ; -- Begin function _ZN9rocsparseL19gebsrmvn_2xn_kernelILj128ELj11ELj4E21rocsparse_complex_numIdEEEvi20rocsparse_direction_NS_24const_host_device_scalarIT2_EEPKiS8_PKS5_SA_S6_PS5_21rocsparse_index_base_b
	.p2align	8
	.type	_ZN9rocsparseL19gebsrmvn_2xn_kernelILj128ELj11ELj4E21rocsparse_complex_numIdEEEvi20rocsparse_direction_NS_24const_host_device_scalarIT2_EEPKiS8_PKS5_SA_S6_PS5_21rocsparse_index_base_b,@function
_ZN9rocsparseL19gebsrmvn_2xn_kernelILj128ELj11ELj4E21rocsparse_complex_numIdEEEvi20rocsparse_direction_NS_24const_host_device_scalarIT2_EEPKiS8_PKS5_SA_S6_PS5_21rocsparse_index_base_b: ; @_ZN9rocsparseL19gebsrmvn_2xn_kernelILj128ELj11ELj4E21rocsparse_complex_numIdEEEvi20rocsparse_direction_NS_24const_host_device_scalarIT2_EEPKiS8_PKS5_SA_S6_PS5_21rocsparse_index_base_b
; %bb.0:
	s_clause 0x1
	s_load_dwordx2 s[2:3], s[4:5], 0x50
	s_load_dwordx2 s[0:1], s[4:5], 0x8
	s_add_u32 s7, s4, 8
	s_addc_u32 s10, s5, 0
	s_add_u32 s11, s4, 56
	s_addc_u32 s12, s5, 0
	s_load_dwordx2 s[8:9], s[4:5], 0x38
	s_waitcnt lgkmcnt(0)
	s_bitcmp1_b32 s3, 0
	s_cselect_b32 s0, s7, s0
	s_cselect_b32 s1, s10, s1
	v_mov_b32_e32 v1, s0
	v_mov_b32_e32 v2, s1
	s_cselect_b32 s0, s11, s8
	s_cselect_b32 s1, s12, s9
	v_mov_b32_e32 v5, s0
	v_mov_b32_e32 v6, s1
	flat_load_dwordx4 v[1:4], v[1:2]
	flat_load_dwordx4 v[5:8], v[5:6]
	s_waitcnt vmcnt(1) lgkmcnt(1)
	v_cmp_eq_f64_e32 vcc_lo, 0, v[1:2]
	v_cmp_eq_f64_e64 s0, 0, v[3:4]
	s_and_b32 s3, vcc_lo, s0
	s_mov_b32 s0, -1
	s_and_saveexec_b32 s1, s3
	s_cbranch_execz .LBB273_2
; %bb.1:
	s_waitcnt vmcnt(0) lgkmcnt(0)
	v_cmp_neq_f64_e32 vcc_lo, 1.0, v[5:6]
	v_cmp_neq_f64_e64 s0, 0, v[7:8]
	s_or_b32 s0, vcc_lo, s0
	s_orn2_b32 s0, s0, exec_lo
.LBB273_2:
	s_or_b32 exec_lo, exec_lo, s1
	s_and_saveexec_b32 s1, s0
	s_cbranch_execz .LBB273_29
; %bb.3:
	s_load_dwordx2 s[0:1], s[4:5], 0x0
	v_lshrrev_b32_e32 v9, 2, v0
	v_lshl_or_b32 v9, s6, 5, v9
	s_waitcnt lgkmcnt(0)
	v_cmp_gt_i32_e32 vcc_lo, s0, v9
	s_and_b32 exec_lo, exec_lo, vcc_lo
	s_cbranch_execz .LBB273_29
; %bb.4:
	s_load_dwordx8 s[8:15], s[4:5], 0x18
	v_ashrrev_i32_e32 v10, 31, v9
	v_and_b32_e32 v0, 3, v0
	s_cmp_lg_u32 s1, 0
	v_lshlrev_b64 v[10:11], 2, v[9:10]
	s_waitcnt lgkmcnt(0)
	v_add_co_u32 v10, vcc_lo, s8, v10
	v_add_co_ci_u32_e64 v11, null, s9, v11, vcc_lo
	global_load_dwordx2 v[11:12], v[10:11], off
	s_waitcnt vmcnt(0)
	v_subrev_nc_u32_e32 v10, s2, v11
	v_subrev_nc_u32_e32 v33, s2, v12
	v_add_nc_u32_e32 v10, v10, v0
	v_cmp_lt_i32_e64 s0, v10, v33
	s_cbranch_scc0 .LBB273_12
; %bb.5:
	v_mov_b32_e32 v12, 0
	v_mov_b32_e32 v14, 0
	;; [unrolled: 1-line block ×8, first 2 shown]
	s_and_saveexec_b32 s1, s0
	s_cbranch_execz .LBB273_14
; %bb.6:
	v_mul_lo_u32 v14, v11, 22
	v_mul_lo_u32 v34, v10, 22
	s_mul_i32 s3, s2, 22
	v_mov_b32_e32 v12, 0
	v_mov_b32_e32 v16, 0
	;; [unrolled: 1-line block ×5, first 2 shown]
	v_mad_u32_u24 v20, v0, 22, v14
	v_mov_b32_e32 v14, 0
	v_mov_b32_e32 v15, 0
	v_mov_b32_e32 v17, 0
	v_mov_b32_e32 v19, 0
	v_subrev_nc_u32_e32 v35, s3, v20
	v_mov_b32_e32 v22, v10
	s_mov_b32 s3, 0
	s_branch .LBB273_8
.LBB273_7:                              ;   in Loop: Header=BB273_8 Depth=1
	v_add_nc_u32_e32 v22, 4, v22
	v_add_nc_u32_e32 v34, 0x58, v34
	;; [unrolled: 1-line block ×3, first 2 shown]
	v_cmp_ge_i32_e32 vcc_lo, v22, v33
	s_or_b32 s3, vcc_lo, s3
	s_andn2_b32 exec_lo, exec_lo, s3
	s_cbranch_execz .LBB273_13
.LBB273_8:                              ; =>This Loop Header: Depth=1
                                        ;     Child Loop BB273_10 Depth 2
	v_ashrrev_i32_e32 v23, 31, v22
	v_mov_b32_e32 v26, v13
	v_mov_b32_e32 v28, v15
	;; [unrolled: 1-line block ×4, first 2 shown]
	v_lshlrev_b64 v[23:24], 2, v[22:23]
	v_mov_b32_e32 v25, v12
	v_mov_b32_e32 v27, v14
	;; [unrolled: 1-line block ×4, first 2 shown]
	s_mov_b32 s6, 0
	v_add_co_u32 v23, vcc_lo, s10, v23
	v_add_co_ci_u32_e64 v24, null, s11, v24, vcc_lo
	global_load_dword v20, v[23:24], off
	s_waitcnt vmcnt(0)
	v_subrev_nc_u32_e32 v20, s2, v20
	v_mul_lo_u32 v23, v20, 11
	s_branch .LBB273_10
.LBB273_9:                              ;   in Loop: Header=BB273_8 Depth=1
                                        ; implicit-def: $vgpr31_vgpr32
                                        ; implicit-def: $vgpr29_vgpr30
                                        ; implicit-def: $vgpr27_vgpr28
                                        ; implicit-def: $vgpr25_vgpr26
                                        ; implicit-def: $sgpr6
                                        ; implicit-def: $vgpr23
	s_branch .LBB273_7
.LBB273_10:                             ;   Parent Loop BB273_8 Depth=1
                                        ; =>  This Inner Loop Header: Depth=2
	v_mov_b32_e32 v24, v21
	v_add_nc_u32_e32 v20, s6, v35
	s_cmp_eq_u32 s6, 16
	v_lshlrev_b64 v[12:13], 4, v[23:24]
	v_lshlrev_b64 v[14:15], 4, v[20:21]
	v_add_nc_u32_e32 v24, s6, v34
	v_add_co_u32 v12, vcc_lo, s14, v12
	v_add_co_ci_u32_e64 v13, null, s15, v13, vcc_lo
	v_add_co_u32 v36, vcc_lo, s12, v14
	v_add_co_ci_u32_e64 v37, null, s13, v15, vcc_lo
	global_load_dwordx4 v[12:15], v[12:13], off
	s_clause 0x1
	global_load_dwordx4 v[16:19], v[36:37], off
	global_load_dwordx4 v[36:39], v[36:37], off offset:16
	v_add_nc_u32_e32 v20, 2, v24
	v_lshlrev_b64 v[40:41], 4, v[20:21]
	v_add_nc_u32_e32 v20, 1, v23
	v_lshlrev_b64 v[42:43], 4, v[20:21]
	v_add_nc_u32_e32 v20, 4, v24
	v_add_co_u32 v42, vcc_lo, s14, v42
	v_add_co_ci_u32_e64 v43, null, s15, v43, vcc_lo
	v_add_co_u32 v48, vcc_lo, s12, v40
	v_add_co_ci_u32_e64 v49, null, s13, v41, vcc_lo
	global_load_dwordx4 v[40:43], v[42:43], off
	s_clause 0x1
	global_load_dwordx4 v[44:47], v[48:49], off
	global_load_dwordx4 v[48:51], v[48:49], off offset:16
	v_lshlrev_b64 v[52:53], 4, v[20:21]
	v_add_nc_u32_e32 v20, 2, v23
	v_lshlrev_b64 v[54:55], 4, v[20:21]
	v_add_co_u32 v54, vcc_lo, s14, v54
	v_add_co_ci_u32_e64 v55, null, s15, v55, vcc_lo
	v_add_co_u32 v60, vcc_lo, s12, v52
	v_add_co_ci_u32_e64 v61, null, s13, v53, vcc_lo
	global_load_dwordx4 v[52:55], v[54:55], off
	s_clause 0x1
	global_load_dwordx4 v[56:59], v[60:61], off
	global_load_dwordx4 v[60:63], v[60:61], off offset:16
	s_waitcnt vmcnt(7)
	v_fma_f64 v[27:28], v[16:17], v[12:13], v[27:28]
	v_fma_f64 v[25:26], v[18:19], v[12:13], v[25:26]
	s_waitcnt vmcnt(6)
	v_fma_f64 v[29:30], v[36:37], v[12:13], v[29:30]
	v_fma_f64 v[12:13], v[38:39], v[12:13], v[31:32]
	v_fma_f64 v[18:19], -v[18:19], v[14:15], v[27:28]
	v_fma_f64 v[16:17], v[16:17], v[14:15], v[25:26]
	v_fma_f64 v[25:26], -v[38:39], v[14:15], v[29:30]
	v_fma_f64 v[12:13], v[36:37], v[14:15], v[12:13]
	s_waitcnt vmcnt(4)
	v_fma_f64 v[14:15], v[44:45], v[40:41], v[18:19]
	v_fma_f64 v[16:17], v[46:47], v[40:41], v[16:17]
	s_waitcnt vmcnt(3)
	v_fma_f64 v[18:19], v[48:49], v[40:41], v[25:26]
	v_fma_f64 v[12:13], v[50:51], v[40:41], v[12:13]
	v_fma_f64 v[14:15], -v[46:47], v[42:43], v[14:15]
	v_fma_f64 v[16:17], v[44:45], v[42:43], v[16:17]
	v_fma_f64 v[18:19], -v[50:51], v[42:43], v[18:19]
	v_fma_f64 v[12:13], v[48:49], v[42:43], v[12:13]
	;; [unrolled: 10-line block ×3, first 2 shown]
	s_cbranch_scc1 .LBB273_9
; %bb.11:                               ;   in Loop: Header=BB273_10 Depth=2
	v_add_nc_u32_e32 v20, 6, v24
	s_add_i32 s6, s6, 8
	v_lshlrev_b64 v[24:25], 4, v[20:21]
	v_add_nc_u32_e32 v20, 3, v23
	v_add_nc_u32_e32 v23, 4, v23
	v_lshlrev_b64 v[26:27], 4, v[20:21]
	v_add_co_u32 v26, vcc_lo, s14, v26
	v_add_co_ci_u32_e64 v27, null, s15, v27, vcc_lo
	v_add_co_u32 v36, vcc_lo, s12, v24
	v_add_co_ci_u32_e64 v37, null, s13, v25, vcc_lo
	global_load_dwordx4 v[29:32], v[26:27], off
	s_clause 0x1
	global_load_dwordx4 v[24:27], v[36:37], off
	global_load_dwordx4 v[36:39], v[36:37], off offset:16
	s_waitcnt vmcnt(1)
	v_fma_f64 v[40:41], v[24:25], v[29:30], v[14:15]
	v_fma_f64 v[42:43], v[26:27], v[29:30], v[12:13]
	s_waitcnt vmcnt(0)
	v_fma_f64 v[44:45], v[36:37], v[29:30], v[16:17]
	v_fma_f64 v[46:47], v[38:39], v[29:30], v[18:19]
	v_fma_f64 v[27:28], -v[26:27], v[31:32], v[40:41]
	v_fma_f64 v[25:26], v[24:25], v[31:32], v[42:43]
	v_fma_f64 v[29:30], -v[38:39], v[31:32], v[44:45]
	v_fma_f64 v[31:32], v[36:37], v[31:32], v[46:47]
	s_cbranch_execnz .LBB273_10
	s_branch .LBB273_7
.LBB273_12:
                                        ; implicit-def: $vgpr12_vgpr13
                                        ; implicit-def: $vgpr14_vgpr15
                                        ; implicit-def: $vgpr16_vgpr17
                                        ; implicit-def: $vgpr18_vgpr19
	s_branch .LBB273_15
.LBB273_13:
	s_or_b32 exec_lo, exec_lo, s3
.LBB273_14:
	s_or_b32 exec_lo, exec_lo, s1
	s_cbranch_execnz .LBB273_24
.LBB273_15:
	v_mov_b32_e32 v12, 0
	v_mov_b32_e32 v14, 0
	;; [unrolled: 1-line block ×8, first 2 shown]
	s_and_saveexec_b32 s1, s0
	s_cbranch_execz .LBB273_23
; %bb.16:
	v_mul_lo_u32 v11, v11, 22
	v_mul_lo_u32 v30, v10, 22
	s_mul_i32 s0, s2, 22
	v_mov_b32_e32 v12, 0
	v_mov_b32_e32 v14, 0
	;; [unrolled: 1-line block ×5, first 2 shown]
	v_mad_u32_u24 v11, v0, 22, v11
	v_mov_b32_e32 v15, 0
	v_mov_b32_e32 v17, 0
	;; [unrolled: 1-line block ×4, first 2 shown]
	v_subrev_nc_u32_e32 v31, s0, v11
	s_mov_b32 s0, 0
	s_branch .LBB273_18
.LBB273_17:                             ;   in Loop: Header=BB273_18 Depth=1
	v_add_nc_u32_e32 v10, 4, v10
	v_add_nc_u32_e32 v30, 0x58, v30
	;; [unrolled: 1-line block ×3, first 2 shown]
	v_cmp_ge_i32_e32 vcc_lo, v10, v33
	s_or_b32 s0, vcc_lo, s0
	s_andn2_b32 exec_lo, exec_lo, s0
	s_cbranch_execz .LBB273_22
.LBB273_18:                             ; =>This Loop Header: Depth=1
                                        ;     Child Loop BB273_20 Depth 2
	v_ashrrev_i32_e32 v11, 31, v10
	v_mov_b32_e32 v25, v15
	v_mov_b32_e32 v27, v17
	v_mov_b32_e32 v29, v19
	v_mov_b32_e32 v24, v14
	v_lshlrev_b64 v[22:23], 2, v[10:11]
	v_mov_b32_e32 v26, v16
	v_mov_b32_e32 v28, v18
	s_mov_b32 s3, 0
	v_add_co_u32 v22, vcc_lo, s10, v22
	v_add_co_ci_u32_e64 v23, null, s11, v23, vcc_lo
	global_load_dword v11, v[22:23], off
	v_mov_b32_e32 v23, v13
	v_mov_b32_e32 v22, v12
	s_waitcnt vmcnt(0)
	v_subrev_nc_u32_e32 v11, s2, v11
	v_mul_lo_u32 v11, v11, 11
	s_branch .LBB273_20
.LBB273_19:                             ;   in Loop: Header=BB273_20 Depth=2
	s_andn2_b32 vcc_lo, exec_lo, s6
	s_cbranch_vccz .LBB273_17
.LBB273_20:                             ;   Parent Loop BB273_18 Depth=1
                                        ; =>  This Inner Loop Header: Depth=2
	v_add_nc_u32_e32 v20, s3, v31
	v_add_nc_u32_e32 v32, s3, v30
	v_mov_b32_e32 v13, v21
	v_mov_b32_e32 v41, v21
	;; [unrolled: 1-line block ×3, first 2 shown]
	v_lshlrev_b64 v[14:15], 4, v[20:21]
	v_add_nc_u32_e32 v20, s3, v11
	v_add_nc_u32_e32 v12, 11, v32
	;; [unrolled: 1-line block ×3, first 2 shown]
	v_mov_b32_e32 v51, v21
	v_add_nc_u32_e32 v50, 2, v32
	v_lshlrev_b64 v[16:17], 4, v[20:21]
	v_lshlrev_b64 v[12:13], 4, v[12:13]
	v_add_co_u32 v38, vcc_lo, s12, v14
	v_add_co_ci_u32_e64 v39, null, s13, v15, vcc_lo
	v_add_co_u32 v16, vcc_lo, s14, v16
	v_add_co_ci_u32_e64 v17, null, s15, v17, vcc_lo
	;; [unrolled: 2-line block ×3, first 2 shown]
	global_load_dwordx4 v[12:15], v[38:39], off
	global_load_dwordx4 v[16:19], v[16:17], off
	;; [unrolled: 1-line block ×3, first 2 shown]
	v_add_nc_u32_e32 v40, 1, v20
	v_lshlrev_b64 v[42:43], 4, v[42:43]
	v_mov_b32_e32 v53, v21
	v_add_nc_u32_e32 v52, 2, v20
	v_lshlrev_b64 v[50:51], 4, v[50:51]
	v_lshlrev_b64 v[40:41], 4, v[40:41]
	s_cmp_eq_u32 s3, 8
	s_mov_b32 s6, -1
	v_lshlrev_b64 v[52:53], 4, v[52:53]
	v_add_co_u32 v44, vcc_lo, s14, v40
	v_add_co_ci_u32_e64 v45, null, s15, v41, vcc_lo
	v_add_co_u32 v58, vcc_lo, s12, v42
	v_add_co_ci_u32_e64 v59, null, s13, v43, vcc_lo
	global_load_dwordx4 v[38:41], v[38:39], off offset:16
	global_load_dwordx4 v[42:45], v[44:45], off
	global_load_dwordx4 v[46:49], v[58:59], off
	v_add_co_u32 v50, vcc_lo, s12, v50
	v_add_co_ci_u32_e64 v51, null, s13, v51, vcc_lo
	v_add_co_u32 v54, vcc_lo, s14, v52
	v_add_co_ci_u32_e64 v55, null, s15, v53, vcc_lo
	global_load_dwordx4 v[50:53], v[50:51], off
	global_load_dwordx4 v[54:57], v[54:55], off
	global_load_dwordx4 v[58:61], v[58:59], off offset:16
	s_waitcnt vmcnt(7)
	v_fma_f64 v[24:25], v[12:13], v[16:17], v[24:25]
	v_fma_f64 v[22:23], v[14:15], v[16:17], v[22:23]
	s_waitcnt vmcnt(6)
	v_fma_f64 v[26:27], v[34:35], v[16:17], v[26:27]
	v_fma_f64 v[16:17], v[36:37], v[16:17], v[28:29]
                                        ; implicit-def: $vgpr28_vgpr29
	v_fma_f64 v[14:15], -v[14:15], v[18:19], v[24:25]
	v_fma_f64 v[12:13], v[12:13], v[18:19], v[22:23]
	v_fma_f64 v[22:23], -v[36:37], v[18:19], v[26:27]
	v_fma_f64 v[16:17], v[34:35], v[18:19], v[16:17]
                                        ; implicit-def: $vgpr26_vgpr27
                                        ; implicit-def: $vgpr24_vgpr25
	s_waitcnt vmcnt(4)
	v_fma_f64 v[14:15], v[38:39], v[42:43], v[14:15]
	v_fma_f64 v[12:13], v[40:41], v[42:43], v[12:13]
	s_waitcnt vmcnt(3)
	v_fma_f64 v[18:19], v[46:47], v[42:43], v[22:23]
	v_fma_f64 v[16:17], v[48:49], v[42:43], v[16:17]
	v_fma_f64 v[14:15], -v[40:41], v[44:45], v[14:15]
	v_fma_f64 v[12:13], v[38:39], v[44:45], v[12:13]
	v_fma_f64 v[18:19], -v[48:49], v[44:45], v[18:19]
	v_fma_f64 v[16:17], v[46:47], v[44:45], v[16:17]
	s_waitcnt vmcnt(1)
	v_fma_f64 v[14:15], v[50:51], v[54:55], v[14:15]
	v_fma_f64 v[12:13], v[52:53], v[54:55], v[12:13]
	s_waitcnt vmcnt(0)
	v_fma_f64 v[18:19], v[58:59], v[54:55], v[18:19]
	v_fma_f64 v[22:23], v[60:61], v[54:55], v[16:17]
	v_fma_f64 v[14:15], -v[52:53], v[56:57], v[14:15]
	v_fma_f64 v[12:13], v[50:51], v[56:57], v[12:13]
	v_fma_f64 v[16:17], -v[60:61], v[56:57], v[18:19]
	v_fma_f64 v[18:19], v[58:59], v[56:57], v[22:23]
                                        ; implicit-def: $vgpr22_vgpr23
	s_cbranch_scc1 .LBB273_19
; %bb.21:                               ;   in Loop: Header=BB273_20 Depth=2
	v_add_nc_u32_e32 v20, 3, v20
	v_add_nc_u32_e32 v22, 3, v32
	v_mov_b32_e32 v23, v21
	s_add_i32 s3, s3, 4
	s_mov_b32 s6, 0
	v_lshlrev_b64 v[24:25], 4, v[20:21]
	v_add_nc_u32_e32 v20, 14, v32
	v_lshlrev_b64 v[22:23], 4, v[22:23]
	v_lshlrev_b64 v[26:27], 4, v[20:21]
	v_add_co_u32 v22, vcc_lo, s12, v22
	v_add_co_ci_u32_e64 v23, null, s13, v23, vcc_lo
	v_add_co_u32 v28, vcc_lo, s14, v24
	v_add_co_ci_u32_e64 v29, null, s15, v25, vcc_lo
	;; [unrolled: 2-line block ×3, first 2 shown]
	global_load_dwordx4 v[22:25], v[22:23], off
	global_load_dwordx4 v[26:29], v[28:29], off
	global_load_dwordx4 v[34:37], v[34:35], off
	s_waitcnt vmcnt(1)
	v_fma_f64 v[38:39], v[22:23], v[26:27], v[14:15]
	v_fma_f64 v[40:41], v[24:25], v[26:27], v[12:13]
	s_waitcnt vmcnt(0)
	v_fma_f64 v[42:43], v[34:35], v[26:27], v[16:17]
	v_fma_f64 v[44:45], v[36:37], v[26:27], v[18:19]
	v_fma_f64 v[24:25], -v[24:25], v[28:29], v[38:39]
	v_fma_f64 v[22:23], v[22:23], v[28:29], v[40:41]
	v_fma_f64 v[26:27], -v[36:37], v[28:29], v[42:43]
	v_fma_f64 v[28:29], v[34:35], v[28:29], v[44:45]
	s_branch .LBB273_19
.LBB273_22:
	s_or_b32 exec_lo, exec_lo, s0
.LBB273_23:
	s_or_b32 exec_lo, exec_lo, s1
.LBB273_24:
	v_mbcnt_lo_u32_b32 v26, -1, 0
	v_xor_b32_e32 v10, 2, v26
	v_cmp_gt_i32_e32 vcc_lo, 32, v10
	v_cndmask_b32_e32 v10, v26, v10, vcc_lo
	v_lshlrev_b32_e32 v25, 2, v10
	ds_bpermute_b32 v10, v25, v14
	ds_bpermute_b32 v11, v25, v15
	;; [unrolled: 1-line block ×8, first 2 shown]
	s_waitcnt lgkmcnt(6)
	v_add_f64 v[10:11], v[14:15], v[10:11]
	s_waitcnt lgkmcnt(4)
	v_add_f64 v[20:21], v[12:13], v[20:21]
	;; [unrolled: 2-line block ×3, first 2 shown]
	v_xor_b32_e32 v16, 1, v26
	s_waitcnt lgkmcnt(0)
	v_add_f64 v[14:15], v[18:19], v[24:25]
	v_cmp_gt_i32_e32 vcc_lo, 32, v16
	v_cndmask_b32_e32 v16, v26, v16, vcc_lo
	v_cmp_eq_u32_e32 vcc_lo, 3, v0
	v_lshlrev_b32_e32 v23, 2, v16
	ds_bpermute_b32 v24, v23, v10
	ds_bpermute_b32 v25, v23, v11
	;; [unrolled: 1-line block ×8, first 2 shown]
	s_and_b32 exec_lo, exec_lo, vcc_lo
	s_cbranch_execz .LBB273_29
; %bb.25:
	v_cmp_eq_f64_e32 vcc_lo, 0, v[5:6]
	v_cmp_eq_f64_e64 s0, 0, v[7:8]
	s_waitcnt lgkmcnt(6)
	v_add_f64 v[10:11], v[10:11], v[24:25]
	s_waitcnt lgkmcnt(4)
	v_add_f64 v[16:17], v[20:21], v[16:17]
	s_waitcnt lgkmcnt(2)
	v_add_f64 v[12:13], v[12:13], v[18:19]
	s_waitcnt lgkmcnt(0)
	v_add_f64 v[14:15], v[14:15], v[22:23]
	s_load_dwordx2 s[2:3], s[4:5], 0x48
	s_and_b32 s0, vcc_lo, s0
	s_and_saveexec_b32 s1, s0
	s_xor_b32 s0, exec_lo, s1
	s_cbranch_execz .LBB273_27
; %bb.26:
	v_mul_f64 v[5:6], v[16:17], -v[3:4]
	v_mul_f64 v[7:8], v[1:2], v[16:17]
	v_mul_f64 v[16:17], v[14:15], -v[3:4]
	v_mul_f64 v[14:15], v[1:2], v[14:15]
	v_lshlrev_b32_e32 v9, 1, v9
	v_fma_f64 v[5:6], v[1:2], v[10:11], v[5:6]
	v_fma_f64 v[7:8], v[3:4], v[10:11], v[7:8]
	;; [unrolled: 1-line block ×4, first 2 shown]
	v_ashrrev_i32_e32 v10, 31, v9
                                        ; implicit-def: $vgpr16_vgpr17
                                        ; implicit-def: $vgpr12_vgpr13
                                        ; implicit-def: $vgpr14_vgpr15
	v_lshlrev_b64 v[9:10], 4, v[9:10]
	s_waitcnt lgkmcnt(0)
	v_add_co_u32 v9, vcc_lo, s2, v9
	v_add_co_ci_u32_e64 v10, null, s3, v10, vcc_lo
	global_store_dwordx4 v[9:10], v[5:8], off
	global_store_dwordx4 v[9:10], v[0:3], off offset:16
                                        ; implicit-def: $vgpr9
                                        ; implicit-def: $vgpr10_vgpr11
                                        ; implicit-def: $vgpr7_vgpr8
                                        ; implicit-def: $vgpr3_vgpr4
.LBB273_27:
	s_andn2_saveexec_b32 s0, s0
	s_cbranch_execz .LBB273_29
; %bb.28:
	v_lshlrev_b32_e32 v18, 1, v9
	v_mul_f64 v[28:29], v[16:17], -v[3:4]
	v_mul_f64 v[16:17], v[1:2], v[16:17]
	v_mul_f64 v[30:31], v[14:15], -v[3:4]
	v_mul_f64 v[14:15], v[1:2], v[14:15]
	v_ashrrev_i32_e32 v19, 31, v18
	v_lshlrev_b64 v[18:19], 4, v[18:19]
	s_waitcnt lgkmcnt(0)
	v_add_co_u32 v26, vcc_lo, s2, v18
	v_add_co_ci_u32_e64 v27, null, s3, v19, vcc_lo
	s_clause 0x1
	global_load_dwordx4 v[18:21], v[26:27], off
	global_load_dwordx4 v[22:25], v[26:27], off offset:16
	v_fma_f64 v[28:29], v[1:2], v[10:11], v[28:29]
	v_fma_f64 v[9:10], v[3:4], v[10:11], v[16:17]
	;; [unrolled: 1-line block ×4, first 2 shown]
	s_waitcnt vmcnt(1)
	v_fma_f64 v[11:12], v[5:6], v[18:19], v[28:29]
	v_fma_f64 v[9:10], v[7:8], v[18:19], v[9:10]
	s_waitcnt vmcnt(0)
	v_fma_f64 v[13:14], v[5:6], v[22:23], v[0:1]
	v_fma_f64 v[15:16], v[7:8], v[22:23], v[2:3]
	v_fma_f64 v[0:1], -v[7:8], v[20:21], v[11:12]
	v_fma_f64 v[2:3], v[5:6], v[20:21], v[9:10]
	v_fma_f64 v[7:8], -v[7:8], v[24:25], v[13:14]
	v_fma_f64 v[9:10], v[5:6], v[24:25], v[15:16]
	global_store_dwordx4 v[26:27], v[0:3], off
	global_store_dwordx4 v[26:27], v[7:10], off offset:16
.LBB273_29:
	s_endpgm
	.section	.rodata,"a",@progbits
	.p2align	6, 0x0
	.amdhsa_kernel _ZN9rocsparseL19gebsrmvn_2xn_kernelILj128ELj11ELj4E21rocsparse_complex_numIdEEEvi20rocsparse_direction_NS_24const_host_device_scalarIT2_EEPKiS8_PKS5_SA_S6_PS5_21rocsparse_index_base_b
		.amdhsa_group_segment_fixed_size 0
		.amdhsa_private_segment_fixed_size 0
		.amdhsa_kernarg_size 88
		.amdhsa_user_sgpr_count 6
		.amdhsa_user_sgpr_private_segment_buffer 1
		.amdhsa_user_sgpr_dispatch_ptr 0
		.amdhsa_user_sgpr_queue_ptr 0
		.amdhsa_user_sgpr_kernarg_segment_ptr 1
		.amdhsa_user_sgpr_dispatch_id 0
		.amdhsa_user_sgpr_flat_scratch_init 0
		.amdhsa_user_sgpr_private_segment_size 0
		.amdhsa_wavefront_size32 1
		.amdhsa_uses_dynamic_stack 0
		.amdhsa_system_sgpr_private_segment_wavefront_offset 0
		.amdhsa_system_sgpr_workgroup_id_x 1
		.amdhsa_system_sgpr_workgroup_id_y 0
		.amdhsa_system_sgpr_workgroup_id_z 0
		.amdhsa_system_sgpr_workgroup_info 0
		.amdhsa_system_vgpr_workitem_id 0
		.amdhsa_next_free_vgpr 64
		.amdhsa_next_free_sgpr 16
		.amdhsa_reserve_vcc 1
		.amdhsa_reserve_flat_scratch 0
		.amdhsa_float_round_mode_32 0
		.amdhsa_float_round_mode_16_64 0
		.amdhsa_float_denorm_mode_32 3
		.amdhsa_float_denorm_mode_16_64 3
		.amdhsa_dx10_clamp 1
		.amdhsa_ieee_mode 1
		.amdhsa_fp16_overflow 0
		.amdhsa_workgroup_processor_mode 1
		.amdhsa_memory_ordered 1
		.amdhsa_forward_progress 1
		.amdhsa_shared_vgpr_count 0
		.amdhsa_exception_fp_ieee_invalid_op 0
		.amdhsa_exception_fp_denorm_src 0
		.amdhsa_exception_fp_ieee_div_zero 0
		.amdhsa_exception_fp_ieee_overflow 0
		.amdhsa_exception_fp_ieee_underflow 0
		.amdhsa_exception_fp_ieee_inexact 0
		.amdhsa_exception_int_div_zero 0
	.end_amdhsa_kernel
	.section	.text._ZN9rocsparseL19gebsrmvn_2xn_kernelILj128ELj11ELj4E21rocsparse_complex_numIdEEEvi20rocsparse_direction_NS_24const_host_device_scalarIT2_EEPKiS8_PKS5_SA_S6_PS5_21rocsparse_index_base_b,"axG",@progbits,_ZN9rocsparseL19gebsrmvn_2xn_kernelILj128ELj11ELj4E21rocsparse_complex_numIdEEEvi20rocsparse_direction_NS_24const_host_device_scalarIT2_EEPKiS8_PKS5_SA_S6_PS5_21rocsparse_index_base_b,comdat
.Lfunc_end273:
	.size	_ZN9rocsparseL19gebsrmvn_2xn_kernelILj128ELj11ELj4E21rocsparse_complex_numIdEEEvi20rocsparse_direction_NS_24const_host_device_scalarIT2_EEPKiS8_PKS5_SA_S6_PS5_21rocsparse_index_base_b, .Lfunc_end273-_ZN9rocsparseL19gebsrmvn_2xn_kernelILj128ELj11ELj4E21rocsparse_complex_numIdEEEvi20rocsparse_direction_NS_24const_host_device_scalarIT2_EEPKiS8_PKS5_SA_S6_PS5_21rocsparse_index_base_b
                                        ; -- End function
	.set _ZN9rocsparseL19gebsrmvn_2xn_kernelILj128ELj11ELj4E21rocsparse_complex_numIdEEEvi20rocsparse_direction_NS_24const_host_device_scalarIT2_EEPKiS8_PKS5_SA_S6_PS5_21rocsparse_index_base_b.num_vgpr, 64
	.set _ZN9rocsparseL19gebsrmvn_2xn_kernelILj128ELj11ELj4E21rocsparse_complex_numIdEEEvi20rocsparse_direction_NS_24const_host_device_scalarIT2_EEPKiS8_PKS5_SA_S6_PS5_21rocsparse_index_base_b.num_agpr, 0
	.set _ZN9rocsparseL19gebsrmvn_2xn_kernelILj128ELj11ELj4E21rocsparse_complex_numIdEEEvi20rocsparse_direction_NS_24const_host_device_scalarIT2_EEPKiS8_PKS5_SA_S6_PS5_21rocsparse_index_base_b.numbered_sgpr, 16
	.set _ZN9rocsparseL19gebsrmvn_2xn_kernelILj128ELj11ELj4E21rocsparse_complex_numIdEEEvi20rocsparse_direction_NS_24const_host_device_scalarIT2_EEPKiS8_PKS5_SA_S6_PS5_21rocsparse_index_base_b.num_named_barrier, 0
	.set _ZN9rocsparseL19gebsrmvn_2xn_kernelILj128ELj11ELj4E21rocsparse_complex_numIdEEEvi20rocsparse_direction_NS_24const_host_device_scalarIT2_EEPKiS8_PKS5_SA_S6_PS5_21rocsparse_index_base_b.private_seg_size, 0
	.set _ZN9rocsparseL19gebsrmvn_2xn_kernelILj128ELj11ELj4E21rocsparse_complex_numIdEEEvi20rocsparse_direction_NS_24const_host_device_scalarIT2_EEPKiS8_PKS5_SA_S6_PS5_21rocsparse_index_base_b.uses_vcc, 1
	.set _ZN9rocsparseL19gebsrmvn_2xn_kernelILj128ELj11ELj4E21rocsparse_complex_numIdEEEvi20rocsparse_direction_NS_24const_host_device_scalarIT2_EEPKiS8_PKS5_SA_S6_PS5_21rocsparse_index_base_b.uses_flat_scratch, 0
	.set _ZN9rocsparseL19gebsrmvn_2xn_kernelILj128ELj11ELj4E21rocsparse_complex_numIdEEEvi20rocsparse_direction_NS_24const_host_device_scalarIT2_EEPKiS8_PKS5_SA_S6_PS5_21rocsparse_index_base_b.has_dyn_sized_stack, 0
	.set _ZN9rocsparseL19gebsrmvn_2xn_kernelILj128ELj11ELj4E21rocsparse_complex_numIdEEEvi20rocsparse_direction_NS_24const_host_device_scalarIT2_EEPKiS8_PKS5_SA_S6_PS5_21rocsparse_index_base_b.has_recursion, 0
	.set _ZN9rocsparseL19gebsrmvn_2xn_kernelILj128ELj11ELj4E21rocsparse_complex_numIdEEEvi20rocsparse_direction_NS_24const_host_device_scalarIT2_EEPKiS8_PKS5_SA_S6_PS5_21rocsparse_index_base_b.has_indirect_call, 0
	.section	.AMDGPU.csdata,"",@progbits
; Kernel info:
; codeLenInByte = 2832
; TotalNumSgprs: 18
; NumVgprs: 64
; ScratchSize: 0
; MemoryBound: 0
; FloatMode: 240
; IeeeMode: 1
; LDSByteSize: 0 bytes/workgroup (compile time only)
; SGPRBlocks: 0
; VGPRBlocks: 7
; NumSGPRsForWavesPerEU: 18
; NumVGPRsForWavesPerEU: 64
; Occupancy: 16
; WaveLimiterHint : 1
; COMPUTE_PGM_RSRC2:SCRATCH_EN: 0
; COMPUTE_PGM_RSRC2:USER_SGPR: 6
; COMPUTE_PGM_RSRC2:TRAP_HANDLER: 0
; COMPUTE_PGM_RSRC2:TGID_X_EN: 1
; COMPUTE_PGM_RSRC2:TGID_Y_EN: 0
; COMPUTE_PGM_RSRC2:TGID_Z_EN: 0
; COMPUTE_PGM_RSRC2:TIDIG_COMP_CNT: 0
	.section	.text._ZN9rocsparseL19gebsrmvn_2xn_kernelILj128ELj11ELj8E21rocsparse_complex_numIdEEEvi20rocsparse_direction_NS_24const_host_device_scalarIT2_EEPKiS8_PKS5_SA_S6_PS5_21rocsparse_index_base_b,"axG",@progbits,_ZN9rocsparseL19gebsrmvn_2xn_kernelILj128ELj11ELj8E21rocsparse_complex_numIdEEEvi20rocsparse_direction_NS_24const_host_device_scalarIT2_EEPKiS8_PKS5_SA_S6_PS5_21rocsparse_index_base_b,comdat
	.globl	_ZN9rocsparseL19gebsrmvn_2xn_kernelILj128ELj11ELj8E21rocsparse_complex_numIdEEEvi20rocsparse_direction_NS_24const_host_device_scalarIT2_EEPKiS8_PKS5_SA_S6_PS5_21rocsparse_index_base_b ; -- Begin function _ZN9rocsparseL19gebsrmvn_2xn_kernelILj128ELj11ELj8E21rocsparse_complex_numIdEEEvi20rocsparse_direction_NS_24const_host_device_scalarIT2_EEPKiS8_PKS5_SA_S6_PS5_21rocsparse_index_base_b
	.p2align	8
	.type	_ZN9rocsparseL19gebsrmvn_2xn_kernelILj128ELj11ELj8E21rocsparse_complex_numIdEEEvi20rocsparse_direction_NS_24const_host_device_scalarIT2_EEPKiS8_PKS5_SA_S6_PS5_21rocsparse_index_base_b,@function
_ZN9rocsparseL19gebsrmvn_2xn_kernelILj128ELj11ELj8E21rocsparse_complex_numIdEEEvi20rocsparse_direction_NS_24const_host_device_scalarIT2_EEPKiS8_PKS5_SA_S6_PS5_21rocsparse_index_base_b: ; @_ZN9rocsparseL19gebsrmvn_2xn_kernelILj128ELj11ELj8E21rocsparse_complex_numIdEEEvi20rocsparse_direction_NS_24const_host_device_scalarIT2_EEPKiS8_PKS5_SA_S6_PS5_21rocsparse_index_base_b
; %bb.0:
	s_clause 0x1
	s_load_dwordx2 s[2:3], s[4:5], 0x50
	s_load_dwordx2 s[0:1], s[4:5], 0x8
	s_add_u32 s7, s4, 8
	s_addc_u32 s10, s5, 0
	s_add_u32 s11, s4, 56
	s_addc_u32 s12, s5, 0
	s_load_dwordx2 s[8:9], s[4:5], 0x38
	s_waitcnt lgkmcnt(0)
	s_bitcmp1_b32 s3, 0
	s_cselect_b32 s0, s7, s0
	s_cselect_b32 s1, s10, s1
	v_mov_b32_e32 v1, s0
	v_mov_b32_e32 v2, s1
	s_cselect_b32 s0, s11, s8
	s_cselect_b32 s1, s12, s9
	v_mov_b32_e32 v5, s0
	v_mov_b32_e32 v6, s1
	flat_load_dwordx4 v[1:4], v[1:2]
	flat_load_dwordx4 v[5:8], v[5:6]
	s_waitcnt vmcnt(1) lgkmcnt(1)
	v_cmp_eq_f64_e32 vcc_lo, 0, v[1:2]
	v_cmp_eq_f64_e64 s0, 0, v[3:4]
	s_and_b32 s3, vcc_lo, s0
	s_mov_b32 s0, -1
	s_and_saveexec_b32 s1, s3
	s_cbranch_execz .LBB274_2
; %bb.1:
	s_waitcnt vmcnt(0) lgkmcnt(0)
	v_cmp_neq_f64_e32 vcc_lo, 1.0, v[5:6]
	v_cmp_neq_f64_e64 s0, 0, v[7:8]
	s_or_b32 s0, vcc_lo, s0
	s_orn2_b32 s0, s0, exec_lo
.LBB274_2:
	s_or_b32 exec_lo, exec_lo, s1
	s_and_saveexec_b32 s1, s0
	s_cbranch_execz .LBB274_29
; %bb.3:
	s_load_dwordx2 s[0:1], s[4:5], 0x0
	v_lshrrev_b32_e32 v9, 3, v0
	v_lshl_or_b32 v9, s6, 4, v9
	s_waitcnt lgkmcnt(0)
	v_cmp_gt_i32_e32 vcc_lo, s0, v9
	s_and_b32 exec_lo, exec_lo, vcc_lo
	s_cbranch_execz .LBB274_29
; %bb.4:
	s_load_dwordx8 s[8:15], s[4:5], 0x18
	v_ashrrev_i32_e32 v10, 31, v9
	v_and_b32_e32 v0, 7, v0
	s_cmp_lg_u32 s1, 0
	v_lshlrev_b64 v[10:11], 2, v[9:10]
	s_waitcnt lgkmcnt(0)
	v_add_co_u32 v10, vcc_lo, s8, v10
	v_add_co_ci_u32_e64 v11, null, s9, v11, vcc_lo
	global_load_dwordx2 v[11:12], v[10:11], off
	s_waitcnt vmcnt(0)
	v_subrev_nc_u32_e32 v10, s2, v11
	v_subrev_nc_u32_e32 v33, s2, v12
	v_add_nc_u32_e32 v10, v10, v0
	v_cmp_lt_i32_e64 s0, v10, v33
	s_cbranch_scc0 .LBB274_12
; %bb.5:
	v_mov_b32_e32 v12, 0
	v_mov_b32_e32 v14, 0
	;; [unrolled: 1-line block ×8, first 2 shown]
	s_and_saveexec_b32 s1, s0
	s_cbranch_execz .LBB274_14
; %bb.6:
	v_mul_lo_u32 v14, v11, 22
	v_mul_lo_u32 v34, v10, 22
	s_mul_i32 s3, s2, 22
	v_mov_b32_e32 v12, 0
	v_mov_b32_e32 v16, 0
	;; [unrolled: 1-line block ×5, first 2 shown]
	v_mad_u32_u24 v20, v0, 22, v14
	v_mov_b32_e32 v14, 0
	v_mov_b32_e32 v15, 0
	;; [unrolled: 1-line block ×4, first 2 shown]
	v_subrev_nc_u32_e32 v35, s3, v20
	v_mov_b32_e32 v22, v10
	s_mov_b32 s3, 0
	s_branch .LBB274_8
.LBB274_7:                              ;   in Loop: Header=BB274_8 Depth=1
	v_add_nc_u32_e32 v22, 8, v22
	v_add_nc_u32_e32 v34, 0xb0, v34
	;; [unrolled: 1-line block ×3, first 2 shown]
	v_cmp_ge_i32_e32 vcc_lo, v22, v33
	s_or_b32 s3, vcc_lo, s3
	s_andn2_b32 exec_lo, exec_lo, s3
	s_cbranch_execz .LBB274_13
.LBB274_8:                              ; =>This Loop Header: Depth=1
                                        ;     Child Loop BB274_10 Depth 2
	v_ashrrev_i32_e32 v23, 31, v22
	v_mov_b32_e32 v26, v13
	v_mov_b32_e32 v28, v15
	;; [unrolled: 1-line block ×4, first 2 shown]
	v_lshlrev_b64 v[23:24], 2, v[22:23]
	v_mov_b32_e32 v25, v12
	v_mov_b32_e32 v27, v14
	;; [unrolled: 1-line block ×4, first 2 shown]
	s_mov_b32 s6, 0
	v_add_co_u32 v23, vcc_lo, s10, v23
	v_add_co_ci_u32_e64 v24, null, s11, v24, vcc_lo
	global_load_dword v20, v[23:24], off
	s_waitcnt vmcnt(0)
	v_subrev_nc_u32_e32 v20, s2, v20
	v_mul_lo_u32 v23, v20, 11
	s_branch .LBB274_10
.LBB274_9:                              ;   in Loop: Header=BB274_8 Depth=1
                                        ; implicit-def: $vgpr31_vgpr32
                                        ; implicit-def: $vgpr29_vgpr30
                                        ; implicit-def: $vgpr27_vgpr28
                                        ; implicit-def: $vgpr25_vgpr26
                                        ; implicit-def: $sgpr6
                                        ; implicit-def: $vgpr23
	s_branch .LBB274_7
.LBB274_10:                             ;   Parent Loop BB274_8 Depth=1
                                        ; =>  This Inner Loop Header: Depth=2
	v_mov_b32_e32 v24, v21
	v_add_nc_u32_e32 v20, s6, v35
	s_cmp_eq_u32 s6, 16
	v_lshlrev_b64 v[12:13], 4, v[23:24]
	v_lshlrev_b64 v[14:15], 4, v[20:21]
	v_add_nc_u32_e32 v24, s6, v34
	v_add_co_u32 v12, vcc_lo, s14, v12
	v_add_co_ci_u32_e64 v13, null, s15, v13, vcc_lo
	v_add_co_u32 v36, vcc_lo, s12, v14
	v_add_co_ci_u32_e64 v37, null, s13, v15, vcc_lo
	global_load_dwordx4 v[12:15], v[12:13], off
	s_clause 0x1
	global_load_dwordx4 v[16:19], v[36:37], off
	global_load_dwordx4 v[36:39], v[36:37], off offset:16
	v_add_nc_u32_e32 v20, 2, v24
	v_lshlrev_b64 v[40:41], 4, v[20:21]
	v_add_nc_u32_e32 v20, 1, v23
	v_lshlrev_b64 v[42:43], 4, v[20:21]
	v_add_nc_u32_e32 v20, 4, v24
	v_add_co_u32 v42, vcc_lo, s14, v42
	v_add_co_ci_u32_e64 v43, null, s15, v43, vcc_lo
	v_add_co_u32 v48, vcc_lo, s12, v40
	v_add_co_ci_u32_e64 v49, null, s13, v41, vcc_lo
	global_load_dwordx4 v[40:43], v[42:43], off
	s_clause 0x1
	global_load_dwordx4 v[44:47], v[48:49], off
	global_load_dwordx4 v[48:51], v[48:49], off offset:16
	v_lshlrev_b64 v[52:53], 4, v[20:21]
	v_add_nc_u32_e32 v20, 2, v23
	v_lshlrev_b64 v[54:55], 4, v[20:21]
	v_add_co_u32 v54, vcc_lo, s14, v54
	v_add_co_ci_u32_e64 v55, null, s15, v55, vcc_lo
	v_add_co_u32 v60, vcc_lo, s12, v52
	v_add_co_ci_u32_e64 v61, null, s13, v53, vcc_lo
	global_load_dwordx4 v[52:55], v[54:55], off
	s_clause 0x1
	global_load_dwordx4 v[56:59], v[60:61], off
	global_load_dwordx4 v[60:63], v[60:61], off offset:16
	s_waitcnt vmcnt(7)
	v_fma_f64 v[27:28], v[16:17], v[12:13], v[27:28]
	v_fma_f64 v[25:26], v[18:19], v[12:13], v[25:26]
	s_waitcnt vmcnt(6)
	v_fma_f64 v[29:30], v[36:37], v[12:13], v[29:30]
	v_fma_f64 v[12:13], v[38:39], v[12:13], v[31:32]
	v_fma_f64 v[18:19], -v[18:19], v[14:15], v[27:28]
	v_fma_f64 v[16:17], v[16:17], v[14:15], v[25:26]
	v_fma_f64 v[25:26], -v[38:39], v[14:15], v[29:30]
	v_fma_f64 v[12:13], v[36:37], v[14:15], v[12:13]
	s_waitcnt vmcnt(4)
	v_fma_f64 v[14:15], v[44:45], v[40:41], v[18:19]
	v_fma_f64 v[16:17], v[46:47], v[40:41], v[16:17]
	s_waitcnt vmcnt(3)
	v_fma_f64 v[18:19], v[48:49], v[40:41], v[25:26]
	v_fma_f64 v[12:13], v[50:51], v[40:41], v[12:13]
	v_fma_f64 v[14:15], -v[46:47], v[42:43], v[14:15]
	v_fma_f64 v[16:17], v[44:45], v[42:43], v[16:17]
	v_fma_f64 v[18:19], -v[50:51], v[42:43], v[18:19]
	v_fma_f64 v[12:13], v[48:49], v[42:43], v[12:13]
	;; [unrolled: 10-line block ×3, first 2 shown]
	s_cbranch_scc1 .LBB274_9
; %bb.11:                               ;   in Loop: Header=BB274_10 Depth=2
	v_add_nc_u32_e32 v20, 6, v24
	s_add_i32 s6, s6, 8
	v_lshlrev_b64 v[24:25], 4, v[20:21]
	v_add_nc_u32_e32 v20, 3, v23
	v_add_nc_u32_e32 v23, 4, v23
	v_lshlrev_b64 v[26:27], 4, v[20:21]
	v_add_co_u32 v26, vcc_lo, s14, v26
	v_add_co_ci_u32_e64 v27, null, s15, v27, vcc_lo
	v_add_co_u32 v36, vcc_lo, s12, v24
	v_add_co_ci_u32_e64 v37, null, s13, v25, vcc_lo
	global_load_dwordx4 v[29:32], v[26:27], off
	s_clause 0x1
	global_load_dwordx4 v[24:27], v[36:37], off
	global_load_dwordx4 v[36:39], v[36:37], off offset:16
	s_waitcnt vmcnt(1)
	v_fma_f64 v[40:41], v[24:25], v[29:30], v[14:15]
	v_fma_f64 v[42:43], v[26:27], v[29:30], v[12:13]
	s_waitcnt vmcnt(0)
	v_fma_f64 v[44:45], v[36:37], v[29:30], v[16:17]
	v_fma_f64 v[46:47], v[38:39], v[29:30], v[18:19]
	v_fma_f64 v[27:28], -v[26:27], v[31:32], v[40:41]
	v_fma_f64 v[25:26], v[24:25], v[31:32], v[42:43]
	v_fma_f64 v[29:30], -v[38:39], v[31:32], v[44:45]
	v_fma_f64 v[31:32], v[36:37], v[31:32], v[46:47]
	s_cbranch_execnz .LBB274_10
	s_branch .LBB274_7
.LBB274_12:
                                        ; implicit-def: $vgpr12_vgpr13
                                        ; implicit-def: $vgpr14_vgpr15
                                        ; implicit-def: $vgpr16_vgpr17
                                        ; implicit-def: $vgpr18_vgpr19
	s_branch .LBB274_15
.LBB274_13:
	s_or_b32 exec_lo, exec_lo, s3
.LBB274_14:
	s_or_b32 exec_lo, exec_lo, s1
	s_cbranch_execnz .LBB274_24
.LBB274_15:
	v_mov_b32_e32 v12, 0
	v_mov_b32_e32 v14, 0
	;; [unrolled: 1-line block ×8, first 2 shown]
	s_and_saveexec_b32 s1, s0
	s_cbranch_execz .LBB274_23
; %bb.16:
	v_mul_lo_u32 v11, v11, 22
	v_mul_lo_u32 v30, v10, 22
	s_mul_i32 s0, s2, 22
	v_mov_b32_e32 v12, 0
	v_mov_b32_e32 v14, 0
	;; [unrolled: 1-line block ×5, first 2 shown]
	v_mad_u32_u24 v11, v0, 22, v11
	v_mov_b32_e32 v15, 0
	v_mov_b32_e32 v17, 0
	;; [unrolled: 1-line block ×4, first 2 shown]
	v_subrev_nc_u32_e32 v31, s0, v11
	s_mov_b32 s0, 0
	s_branch .LBB274_18
.LBB274_17:                             ;   in Loop: Header=BB274_18 Depth=1
	v_add_nc_u32_e32 v10, 8, v10
	v_add_nc_u32_e32 v30, 0xb0, v30
	v_add_nc_u32_e32 v31, 0xb0, v31
	v_cmp_ge_i32_e32 vcc_lo, v10, v33
	s_or_b32 s0, vcc_lo, s0
	s_andn2_b32 exec_lo, exec_lo, s0
	s_cbranch_execz .LBB274_22
.LBB274_18:                             ; =>This Loop Header: Depth=1
                                        ;     Child Loop BB274_20 Depth 2
	v_ashrrev_i32_e32 v11, 31, v10
	v_mov_b32_e32 v25, v15
	v_mov_b32_e32 v27, v17
	;; [unrolled: 1-line block ×4, first 2 shown]
	v_lshlrev_b64 v[22:23], 2, v[10:11]
	v_mov_b32_e32 v26, v16
	v_mov_b32_e32 v28, v18
	s_mov_b32 s3, 0
	v_add_co_u32 v22, vcc_lo, s10, v22
	v_add_co_ci_u32_e64 v23, null, s11, v23, vcc_lo
	global_load_dword v11, v[22:23], off
	v_mov_b32_e32 v23, v13
	v_mov_b32_e32 v22, v12
	s_waitcnt vmcnt(0)
	v_subrev_nc_u32_e32 v11, s2, v11
	v_mul_lo_u32 v11, v11, 11
	s_branch .LBB274_20
.LBB274_19:                             ;   in Loop: Header=BB274_20 Depth=2
	s_andn2_b32 vcc_lo, exec_lo, s6
	s_cbranch_vccz .LBB274_17
.LBB274_20:                             ;   Parent Loop BB274_18 Depth=1
                                        ; =>  This Inner Loop Header: Depth=2
	v_add_nc_u32_e32 v20, s3, v31
	v_add_nc_u32_e32 v32, s3, v30
	v_mov_b32_e32 v13, v21
	v_mov_b32_e32 v41, v21
	v_mov_b32_e32 v43, v21
	v_lshlrev_b64 v[14:15], 4, v[20:21]
	v_add_nc_u32_e32 v20, s3, v11
	v_add_nc_u32_e32 v12, 11, v32
	;; [unrolled: 1-line block ×3, first 2 shown]
	v_mov_b32_e32 v51, v21
	v_add_nc_u32_e32 v50, 2, v32
	v_lshlrev_b64 v[16:17], 4, v[20:21]
	v_lshlrev_b64 v[12:13], 4, v[12:13]
	v_add_co_u32 v38, vcc_lo, s12, v14
	v_add_co_ci_u32_e64 v39, null, s13, v15, vcc_lo
	v_add_co_u32 v16, vcc_lo, s14, v16
	v_add_co_ci_u32_e64 v17, null, s15, v17, vcc_lo
	;; [unrolled: 2-line block ×3, first 2 shown]
	global_load_dwordx4 v[12:15], v[38:39], off
	global_load_dwordx4 v[16:19], v[16:17], off
	;; [unrolled: 1-line block ×3, first 2 shown]
	v_add_nc_u32_e32 v40, 1, v20
	v_lshlrev_b64 v[42:43], 4, v[42:43]
	v_mov_b32_e32 v53, v21
	v_add_nc_u32_e32 v52, 2, v20
	v_lshlrev_b64 v[50:51], 4, v[50:51]
	v_lshlrev_b64 v[40:41], 4, v[40:41]
	s_cmp_eq_u32 s3, 8
	s_mov_b32 s6, -1
	v_lshlrev_b64 v[52:53], 4, v[52:53]
	v_add_co_u32 v44, vcc_lo, s14, v40
	v_add_co_ci_u32_e64 v45, null, s15, v41, vcc_lo
	v_add_co_u32 v58, vcc_lo, s12, v42
	v_add_co_ci_u32_e64 v59, null, s13, v43, vcc_lo
	global_load_dwordx4 v[38:41], v[38:39], off offset:16
	global_load_dwordx4 v[42:45], v[44:45], off
	global_load_dwordx4 v[46:49], v[58:59], off
	v_add_co_u32 v50, vcc_lo, s12, v50
	v_add_co_ci_u32_e64 v51, null, s13, v51, vcc_lo
	v_add_co_u32 v54, vcc_lo, s14, v52
	v_add_co_ci_u32_e64 v55, null, s15, v53, vcc_lo
	global_load_dwordx4 v[50:53], v[50:51], off
	global_load_dwordx4 v[54:57], v[54:55], off
	global_load_dwordx4 v[58:61], v[58:59], off offset:16
	s_waitcnt vmcnt(7)
	v_fma_f64 v[24:25], v[12:13], v[16:17], v[24:25]
	v_fma_f64 v[22:23], v[14:15], v[16:17], v[22:23]
	s_waitcnt vmcnt(6)
	v_fma_f64 v[26:27], v[34:35], v[16:17], v[26:27]
	v_fma_f64 v[16:17], v[36:37], v[16:17], v[28:29]
                                        ; implicit-def: $vgpr28_vgpr29
	v_fma_f64 v[14:15], -v[14:15], v[18:19], v[24:25]
	v_fma_f64 v[12:13], v[12:13], v[18:19], v[22:23]
	v_fma_f64 v[22:23], -v[36:37], v[18:19], v[26:27]
	v_fma_f64 v[16:17], v[34:35], v[18:19], v[16:17]
                                        ; implicit-def: $vgpr26_vgpr27
                                        ; implicit-def: $vgpr24_vgpr25
	s_waitcnt vmcnt(4)
	v_fma_f64 v[14:15], v[38:39], v[42:43], v[14:15]
	v_fma_f64 v[12:13], v[40:41], v[42:43], v[12:13]
	s_waitcnt vmcnt(3)
	v_fma_f64 v[18:19], v[46:47], v[42:43], v[22:23]
	v_fma_f64 v[16:17], v[48:49], v[42:43], v[16:17]
	v_fma_f64 v[14:15], -v[40:41], v[44:45], v[14:15]
	v_fma_f64 v[12:13], v[38:39], v[44:45], v[12:13]
	v_fma_f64 v[18:19], -v[48:49], v[44:45], v[18:19]
	v_fma_f64 v[16:17], v[46:47], v[44:45], v[16:17]
	s_waitcnt vmcnt(1)
	v_fma_f64 v[14:15], v[50:51], v[54:55], v[14:15]
	v_fma_f64 v[12:13], v[52:53], v[54:55], v[12:13]
	s_waitcnt vmcnt(0)
	v_fma_f64 v[18:19], v[58:59], v[54:55], v[18:19]
	v_fma_f64 v[22:23], v[60:61], v[54:55], v[16:17]
	v_fma_f64 v[14:15], -v[52:53], v[56:57], v[14:15]
	v_fma_f64 v[12:13], v[50:51], v[56:57], v[12:13]
	v_fma_f64 v[16:17], -v[60:61], v[56:57], v[18:19]
	v_fma_f64 v[18:19], v[58:59], v[56:57], v[22:23]
                                        ; implicit-def: $vgpr22_vgpr23
	s_cbranch_scc1 .LBB274_19
; %bb.21:                               ;   in Loop: Header=BB274_20 Depth=2
	v_add_nc_u32_e32 v20, 3, v20
	v_add_nc_u32_e32 v22, 3, v32
	v_mov_b32_e32 v23, v21
	s_add_i32 s3, s3, 4
	s_mov_b32 s6, 0
	v_lshlrev_b64 v[24:25], 4, v[20:21]
	v_add_nc_u32_e32 v20, 14, v32
	v_lshlrev_b64 v[22:23], 4, v[22:23]
	v_lshlrev_b64 v[26:27], 4, v[20:21]
	v_add_co_u32 v22, vcc_lo, s12, v22
	v_add_co_ci_u32_e64 v23, null, s13, v23, vcc_lo
	v_add_co_u32 v28, vcc_lo, s14, v24
	v_add_co_ci_u32_e64 v29, null, s15, v25, vcc_lo
	;; [unrolled: 2-line block ×3, first 2 shown]
	global_load_dwordx4 v[22:25], v[22:23], off
	global_load_dwordx4 v[26:29], v[28:29], off
	;; [unrolled: 1-line block ×3, first 2 shown]
	s_waitcnt vmcnt(1)
	v_fma_f64 v[38:39], v[22:23], v[26:27], v[14:15]
	v_fma_f64 v[40:41], v[24:25], v[26:27], v[12:13]
	s_waitcnt vmcnt(0)
	v_fma_f64 v[42:43], v[34:35], v[26:27], v[16:17]
	v_fma_f64 v[44:45], v[36:37], v[26:27], v[18:19]
	v_fma_f64 v[24:25], -v[24:25], v[28:29], v[38:39]
	v_fma_f64 v[22:23], v[22:23], v[28:29], v[40:41]
	v_fma_f64 v[26:27], -v[36:37], v[28:29], v[42:43]
	v_fma_f64 v[28:29], v[34:35], v[28:29], v[44:45]
	s_branch .LBB274_19
.LBB274_22:
	s_or_b32 exec_lo, exec_lo, s0
.LBB274_23:
	s_or_b32 exec_lo, exec_lo, s1
.LBB274_24:
	v_mbcnt_lo_u32_b32 v26, -1, 0
	v_xor_b32_e32 v10, 4, v26
	v_cmp_gt_i32_e32 vcc_lo, 32, v10
	v_cndmask_b32_e32 v10, v26, v10, vcc_lo
	v_lshlrev_b32_e32 v25, 2, v10
	ds_bpermute_b32 v10, v25, v14
	ds_bpermute_b32 v11, v25, v15
	;; [unrolled: 1-line block ×8, first 2 shown]
	s_waitcnt lgkmcnt(6)
	v_add_f64 v[10:11], v[14:15], v[10:11]
	s_waitcnt lgkmcnt(4)
	v_add_f64 v[12:13], v[12:13], v[20:21]
	;; [unrolled: 2-line block ×3, first 2 shown]
	v_xor_b32_e32 v16, 2, v26
	s_waitcnt lgkmcnt(0)
	v_add_f64 v[18:19], v[18:19], v[24:25]
	v_cmp_gt_i32_e32 vcc_lo, 32, v16
	v_cndmask_b32_e32 v16, v26, v16, vcc_lo
	v_lshlrev_b32_e32 v25, 2, v16
	ds_bpermute_b32 v16, v25, v10
	ds_bpermute_b32 v17, v25, v11
	;; [unrolled: 1-line block ×8, first 2 shown]
	s_waitcnt lgkmcnt(6)
	v_add_f64 v[10:11], v[10:11], v[16:17]
	s_waitcnt lgkmcnt(4)
	v_add_f64 v[16:17], v[12:13], v[20:21]
	;; [unrolled: 2-line block ×4, first 2 shown]
	v_xor_b32_e32 v18, 1, v26
	v_cmp_gt_i32_e32 vcc_lo, 32, v18
	v_cndmask_b32_e32 v18, v26, v18, vcc_lo
	v_cmp_eq_u32_e32 vcc_lo, 7, v0
	v_lshlrev_b32_e32 v21, 2, v18
	ds_bpermute_b32 v24, v21, v10
	ds_bpermute_b32 v25, v21, v11
	;; [unrolled: 1-line block ×8, first 2 shown]
	s_and_b32 exec_lo, exec_lo, vcc_lo
	s_cbranch_execz .LBB274_29
; %bb.25:
	v_cmp_eq_f64_e32 vcc_lo, 0, v[5:6]
	v_cmp_eq_f64_e64 s0, 0, v[7:8]
	s_waitcnt lgkmcnt(6)
	v_add_f64 v[10:11], v[10:11], v[24:25]
	s_waitcnt lgkmcnt(4)
	v_add_f64 v[16:17], v[16:17], v[22:23]
	;; [unrolled: 2-line block ×4, first 2 shown]
	s_load_dwordx2 s[2:3], s[4:5], 0x48
	s_and_b32 s0, vcc_lo, s0
	s_and_saveexec_b32 s1, s0
	s_xor_b32 s0, exec_lo, s1
	s_cbranch_execz .LBB274_27
; %bb.26:
	v_mul_f64 v[5:6], v[16:17], -v[3:4]
	v_mul_f64 v[7:8], v[1:2], v[16:17]
	v_mul_f64 v[16:17], v[14:15], -v[3:4]
	v_mul_f64 v[14:15], v[1:2], v[14:15]
	v_lshlrev_b32_e32 v9, 1, v9
	v_fma_f64 v[5:6], v[1:2], v[10:11], v[5:6]
	v_fma_f64 v[7:8], v[3:4], v[10:11], v[7:8]
	;; [unrolled: 1-line block ×4, first 2 shown]
	v_ashrrev_i32_e32 v10, 31, v9
                                        ; implicit-def: $vgpr16_vgpr17
                                        ; implicit-def: $vgpr12_vgpr13
                                        ; implicit-def: $vgpr14_vgpr15
	v_lshlrev_b64 v[9:10], 4, v[9:10]
	s_waitcnt lgkmcnt(0)
	v_add_co_u32 v9, vcc_lo, s2, v9
	v_add_co_ci_u32_e64 v10, null, s3, v10, vcc_lo
	global_store_dwordx4 v[9:10], v[5:8], off
	global_store_dwordx4 v[9:10], v[0:3], off offset:16
                                        ; implicit-def: $vgpr9
                                        ; implicit-def: $vgpr10_vgpr11
                                        ; implicit-def: $vgpr7_vgpr8
                                        ; implicit-def: $vgpr3_vgpr4
.LBB274_27:
	s_andn2_saveexec_b32 s0, s0
	s_cbranch_execz .LBB274_29
; %bb.28:
	v_lshlrev_b32_e32 v18, 1, v9
	v_mul_f64 v[28:29], v[16:17], -v[3:4]
	v_mul_f64 v[16:17], v[1:2], v[16:17]
	v_mul_f64 v[30:31], v[14:15], -v[3:4]
	v_mul_f64 v[14:15], v[1:2], v[14:15]
	v_ashrrev_i32_e32 v19, 31, v18
	v_lshlrev_b64 v[18:19], 4, v[18:19]
	s_waitcnt lgkmcnt(0)
	v_add_co_u32 v26, vcc_lo, s2, v18
	v_add_co_ci_u32_e64 v27, null, s3, v19, vcc_lo
	s_clause 0x1
	global_load_dwordx4 v[18:21], v[26:27], off
	global_load_dwordx4 v[22:25], v[26:27], off offset:16
	v_fma_f64 v[28:29], v[1:2], v[10:11], v[28:29]
	v_fma_f64 v[9:10], v[3:4], v[10:11], v[16:17]
	;; [unrolled: 1-line block ×4, first 2 shown]
	s_waitcnt vmcnt(1)
	v_fma_f64 v[11:12], v[5:6], v[18:19], v[28:29]
	v_fma_f64 v[9:10], v[7:8], v[18:19], v[9:10]
	s_waitcnt vmcnt(0)
	v_fma_f64 v[13:14], v[5:6], v[22:23], v[0:1]
	v_fma_f64 v[15:16], v[7:8], v[22:23], v[2:3]
	v_fma_f64 v[0:1], -v[7:8], v[20:21], v[11:12]
	v_fma_f64 v[2:3], v[5:6], v[20:21], v[9:10]
	v_fma_f64 v[7:8], -v[7:8], v[24:25], v[13:14]
	v_fma_f64 v[9:10], v[5:6], v[24:25], v[15:16]
	global_store_dwordx4 v[26:27], v[0:3], off
	global_store_dwordx4 v[26:27], v[7:10], off offset:16
.LBB274_29:
	s_endpgm
	.section	.rodata,"a",@progbits
	.p2align	6, 0x0
	.amdhsa_kernel _ZN9rocsparseL19gebsrmvn_2xn_kernelILj128ELj11ELj8E21rocsparse_complex_numIdEEEvi20rocsparse_direction_NS_24const_host_device_scalarIT2_EEPKiS8_PKS5_SA_S6_PS5_21rocsparse_index_base_b
		.amdhsa_group_segment_fixed_size 0
		.amdhsa_private_segment_fixed_size 0
		.amdhsa_kernarg_size 88
		.amdhsa_user_sgpr_count 6
		.amdhsa_user_sgpr_private_segment_buffer 1
		.amdhsa_user_sgpr_dispatch_ptr 0
		.amdhsa_user_sgpr_queue_ptr 0
		.amdhsa_user_sgpr_kernarg_segment_ptr 1
		.amdhsa_user_sgpr_dispatch_id 0
		.amdhsa_user_sgpr_flat_scratch_init 0
		.amdhsa_user_sgpr_private_segment_size 0
		.amdhsa_wavefront_size32 1
		.amdhsa_uses_dynamic_stack 0
		.amdhsa_system_sgpr_private_segment_wavefront_offset 0
		.amdhsa_system_sgpr_workgroup_id_x 1
		.amdhsa_system_sgpr_workgroup_id_y 0
		.amdhsa_system_sgpr_workgroup_id_z 0
		.amdhsa_system_sgpr_workgroup_info 0
		.amdhsa_system_vgpr_workitem_id 0
		.amdhsa_next_free_vgpr 64
		.amdhsa_next_free_sgpr 16
		.amdhsa_reserve_vcc 1
		.amdhsa_reserve_flat_scratch 0
		.amdhsa_float_round_mode_32 0
		.amdhsa_float_round_mode_16_64 0
		.amdhsa_float_denorm_mode_32 3
		.amdhsa_float_denorm_mode_16_64 3
		.amdhsa_dx10_clamp 1
		.amdhsa_ieee_mode 1
		.amdhsa_fp16_overflow 0
		.amdhsa_workgroup_processor_mode 1
		.amdhsa_memory_ordered 1
		.amdhsa_forward_progress 1
		.amdhsa_shared_vgpr_count 0
		.amdhsa_exception_fp_ieee_invalid_op 0
		.amdhsa_exception_fp_denorm_src 0
		.amdhsa_exception_fp_ieee_div_zero 0
		.amdhsa_exception_fp_ieee_overflow 0
		.amdhsa_exception_fp_ieee_underflow 0
		.amdhsa_exception_fp_ieee_inexact 0
		.amdhsa_exception_int_div_zero 0
	.end_amdhsa_kernel
	.section	.text._ZN9rocsparseL19gebsrmvn_2xn_kernelILj128ELj11ELj8E21rocsparse_complex_numIdEEEvi20rocsparse_direction_NS_24const_host_device_scalarIT2_EEPKiS8_PKS5_SA_S6_PS5_21rocsparse_index_base_b,"axG",@progbits,_ZN9rocsparseL19gebsrmvn_2xn_kernelILj128ELj11ELj8E21rocsparse_complex_numIdEEEvi20rocsparse_direction_NS_24const_host_device_scalarIT2_EEPKiS8_PKS5_SA_S6_PS5_21rocsparse_index_base_b,comdat
.Lfunc_end274:
	.size	_ZN9rocsparseL19gebsrmvn_2xn_kernelILj128ELj11ELj8E21rocsparse_complex_numIdEEEvi20rocsparse_direction_NS_24const_host_device_scalarIT2_EEPKiS8_PKS5_SA_S6_PS5_21rocsparse_index_base_b, .Lfunc_end274-_ZN9rocsparseL19gebsrmvn_2xn_kernelILj128ELj11ELj8E21rocsparse_complex_numIdEEEvi20rocsparse_direction_NS_24const_host_device_scalarIT2_EEPKiS8_PKS5_SA_S6_PS5_21rocsparse_index_base_b
                                        ; -- End function
	.set _ZN9rocsparseL19gebsrmvn_2xn_kernelILj128ELj11ELj8E21rocsparse_complex_numIdEEEvi20rocsparse_direction_NS_24const_host_device_scalarIT2_EEPKiS8_PKS5_SA_S6_PS5_21rocsparse_index_base_b.num_vgpr, 64
	.set _ZN9rocsparseL19gebsrmvn_2xn_kernelILj128ELj11ELj8E21rocsparse_complex_numIdEEEvi20rocsparse_direction_NS_24const_host_device_scalarIT2_EEPKiS8_PKS5_SA_S6_PS5_21rocsparse_index_base_b.num_agpr, 0
	.set _ZN9rocsparseL19gebsrmvn_2xn_kernelILj128ELj11ELj8E21rocsparse_complex_numIdEEEvi20rocsparse_direction_NS_24const_host_device_scalarIT2_EEPKiS8_PKS5_SA_S6_PS5_21rocsparse_index_base_b.numbered_sgpr, 16
	.set _ZN9rocsparseL19gebsrmvn_2xn_kernelILj128ELj11ELj8E21rocsparse_complex_numIdEEEvi20rocsparse_direction_NS_24const_host_device_scalarIT2_EEPKiS8_PKS5_SA_S6_PS5_21rocsparse_index_base_b.num_named_barrier, 0
	.set _ZN9rocsparseL19gebsrmvn_2xn_kernelILj128ELj11ELj8E21rocsparse_complex_numIdEEEvi20rocsparse_direction_NS_24const_host_device_scalarIT2_EEPKiS8_PKS5_SA_S6_PS5_21rocsparse_index_base_b.private_seg_size, 0
	.set _ZN9rocsparseL19gebsrmvn_2xn_kernelILj128ELj11ELj8E21rocsparse_complex_numIdEEEvi20rocsparse_direction_NS_24const_host_device_scalarIT2_EEPKiS8_PKS5_SA_S6_PS5_21rocsparse_index_base_b.uses_vcc, 1
	.set _ZN9rocsparseL19gebsrmvn_2xn_kernelILj128ELj11ELj8E21rocsparse_complex_numIdEEEvi20rocsparse_direction_NS_24const_host_device_scalarIT2_EEPKiS8_PKS5_SA_S6_PS5_21rocsparse_index_base_b.uses_flat_scratch, 0
	.set _ZN9rocsparseL19gebsrmvn_2xn_kernelILj128ELj11ELj8E21rocsparse_complex_numIdEEEvi20rocsparse_direction_NS_24const_host_device_scalarIT2_EEPKiS8_PKS5_SA_S6_PS5_21rocsparse_index_base_b.has_dyn_sized_stack, 0
	.set _ZN9rocsparseL19gebsrmvn_2xn_kernelILj128ELj11ELj8E21rocsparse_complex_numIdEEEvi20rocsparse_direction_NS_24const_host_device_scalarIT2_EEPKiS8_PKS5_SA_S6_PS5_21rocsparse_index_base_b.has_recursion, 0
	.set _ZN9rocsparseL19gebsrmvn_2xn_kernelILj128ELj11ELj8E21rocsparse_complex_numIdEEEvi20rocsparse_direction_NS_24const_host_device_scalarIT2_EEPKiS8_PKS5_SA_S6_PS5_21rocsparse_index_base_b.has_indirect_call, 0
	.section	.AMDGPU.csdata,"",@progbits
; Kernel info:
; codeLenInByte = 2960
; TotalNumSgprs: 18
; NumVgprs: 64
; ScratchSize: 0
; MemoryBound: 0
; FloatMode: 240
; IeeeMode: 1
; LDSByteSize: 0 bytes/workgroup (compile time only)
; SGPRBlocks: 0
; VGPRBlocks: 7
; NumSGPRsForWavesPerEU: 18
; NumVGPRsForWavesPerEU: 64
; Occupancy: 16
; WaveLimiterHint : 1
; COMPUTE_PGM_RSRC2:SCRATCH_EN: 0
; COMPUTE_PGM_RSRC2:USER_SGPR: 6
; COMPUTE_PGM_RSRC2:TRAP_HANDLER: 0
; COMPUTE_PGM_RSRC2:TGID_X_EN: 1
; COMPUTE_PGM_RSRC2:TGID_Y_EN: 0
; COMPUTE_PGM_RSRC2:TGID_Z_EN: 0
; COMPUTE_PGM_RSRC2:TIDIG_COMP_CNT: 0
	.section	.text._ZN9rocsparseL19gebsrmvn_2xn_kernelILj128ELj11ELj16E21rocsparse_complex_numIdEEEvi20rocsparse_direction_NS_24const_host_device_scalarIT2_EEPKiS8_PKS5_SA_S6_PS5_21rocsparse_index_base_b,"axG",@progbits,_ZN9rocsparseL19gebsrmvn_2xn_kernelILj128ELj11ELj16E21rocsparse_complex_numIdEEEvi20rocsparse_direction_NS_24const_host_device_scalarIT2_EEPKiS8_PKS5_SA_S6_PS5_21rocsparse_index_base_b,comdat
	.globl	_ZN9rocsparseL19gebsrmvn_2xn_kernelILj128ELj11ELj16E21rocsparse_complex_numIdEEEvi20rocsparse_direction_NS_24const_host_device_scalarIT2_EEPKiS8_PKS5_SA_S6_PS5_21rocsparse_index_base_b ; -- Begin function _ZN9rocsparseL19gebsrmvn_2xn_kernelILj128ELj11ELj16E21rocsparse_complex_numIdEEEvi20rocsparse_direction_NS_24const_host_device_scalarIT2_EEPKiS8_PKS5_SA_S6_PS5_21rocsparse_index_base_b
	.p2align	8
	.type	_ZN9rocsparseL19gebsrmvn_2xn_kernelILj128ELj11ELj16E21rocsparse_complex_numIdEEEvi20rocsparse_direction_NS_24const_host_device_scalarIT2_EEPKiS8_PKS5_SA_S6_PS5_21rocsparse_index_base_b,@function
_ZN9rocsparseL19gebsrmvn_2xn_kernelILj128ELj11ELj16E21rocsparse_complex_numIdEEEvi20rocsparse_direction_NS_24const_host_device_scalarIT2_EEPKiS8_PKS5_SA_S6_PS5_21rocsparse_index_base_b: ; @_ZN9rocsparseL19gebsrmvn_2xn_kernelILj128ELj11ELj16E21rocsparse_complex_numIdEEEvi20rocsparse_direction_NS_24const_host_device_scalarIT2_EEPKiS8_PKS5_SA_S6_PS5_21rocsparse_index_base_b
; %bb.0:
	s_clause 0x1
	s_load_dwordx2 s[2:3], s[4:5], 0x50
	s_load_dwordx2 s[0:1], s[4:5], 0x8
	s_add_u32 s7, s4, 8
	s_addc_u32 s10, s5, 0
	s_add_u32 s11, s4, 56
	s_addc_u32 s12, s5, 0
	s_load_dwordx2 s[8:9], s[4:5], 0x38
	s_waitcnt lgkmcnt(0)
	s_bitcmp1_b32 s3, 0
	s_cselect_b32 s0, s7, s0
	s_cselect_b32 s1, s10, s1
	v_mov_b32_e32 v1, s0
	v_mov_b32_e32 v2, s1
	s_cselect_b32 s0, s11, s8
	s_cselect_b32 s1, s12, s9
	v_mov_b32_e32 v5, s0
	v_mov_b32_e32 v6, s1
	flat_load_dwordx4 v[1:4], v[1:2]
	flat_load_dwordx4 v[5:8], v[5:6]
	s_waitcnt vmcnt(1) lgkmcnt(1)
	v_cmp_eq_f64_e32 vcc_lo, 0, v[1:2]
	v_cmp_eq_f64_e64 s0, 0, v[3:4]
	s_and_b32 s3, vcc_lo, s0
	s_mov_b32 s0, -1
	s_and_saveexec_b32 s1, s3
	s_cbranch_execz .LBB275_2
; %bb.1:
	s_waitcnt vmcnt(0) lgkmcnt(0)
	v_cmp_neq_f64_e32 vcc_lo, 1.0, v[5:6]
	v_cmp_neq_f64_e64 s0, 0, v[7:8]
	s_or_b32 s0, vcc_lo, s0
	s_orn2_b32 s0, s0, exec_lo
.LBB275_2:
	s_or_b32 exec_lo, exec_lo, s1
	s_and_saveexec_b32 s1, s0
	s_cbranch_execz .LBB275_29
; %bb.3:
	s_load_dwordx2 s[0:1], s[4:5], 0x0
	v_lshrrev_b32_e32 v9, 4, v0
	v_lshl_or_b32 v9, s6, 3, v9
	s_waitcnt lgkmcnt(0)
	v_cmp_gt_i32_e32 vcc_lo, s0, v9
	s_and_b32 exec_lo, exec_lo, vcc_lo
	s_cbranch_execz .LBB275_29
; %bb.4:
	s_load_dwordx8 s[8:15], s[4:5], 0x18
	v_ashrrev_i32_e32 v10, 31, v9
	v_and_b32_e32 v0, 15, v0
	s_cmp_lg_u32 s1, 0
	v_lshlrev_b64 v[10:11], 2, v[9:10]
	s_waitcnt lgkmcnt(0)
	v_add_co_u32 v10, vcc_lo, s8, v10
	v_add_co_ci_u32_e64 v11, null, s9, v11, vcc_lo
	global_load_dwordx2 v[11:12], v[10:11], off
	s_waitcnt vmcnt(0)
	v_subrev_nc_u32_e32 v10, s2, v11
	v_subrev_nc_u32_e32 v33, s2, v12
	v_add_nc_u32_e32 v10, v10, v0
	v_cmp_lt_i32_e64 s0, v10, v33
	s_cbranch_scc0 .LBB275_12
; %bb.5:
	v_mov_b32_e32 v12, 0
	v_mov_b32_e32 v14, 0
	;; [unrolled: 1-line block ×8, first 2 shown]
	s_and_saveexec_b32 s1, s0
	s_cbranch_execz .LBB275_14
; %bb.6:
	v_mul_lo_u32 v14, v11, 22
	v_mul_lo_u32 v34, v10, 22
	s_mul_i32 s3, s2, 22
	v_mov_b32_e32 v12, 0
	v_mov_b32_e32 v16, 0
	;; [unrolled: 1-line block ×5, first 2 shown]
	v_mad_u32_u24 v20, v0, 22, v14
	v_mov_b32_e32 v14, 0
	v_mov_b32_e32 v15, 0
	;; [unrolled: 1-line block ×4, first 2 shown]
	v_subrev_nc_u32_e32 v35, s3, v20
	v_mov_b32_e32 v22, v10
	s_mov_b32 s3, 0
	s_branch .LBB275_8
.LBB275_7:                              ;   in Loop: Header=BB275_8 Depth=1
	v_add_nc_u32_e32 v22, 16, v22
	v_add_nc_u32_e32 v34, 0x160, v34
	;; [unrolled: 1-line block ×3, first 2 shown]
	v_cmp_ge_i32_e32 vcc_lo, v22, v33
	s_or_b32 s3, vcc_lo, s3
	s_andn2_b32 exec_lo, exec_lo, s3
	s_cbranch_execz .LBB275_13
.LBB275_8:                              ; =>This Loop Header: Depth=1
                                        ;     Child Loop BB275_10 Depth 2
	v_ashrrev_i32_e32 v23, 31, v22
	v_mov_b32_e32 v26, v13
	v_mov_b32_e32 v28, v15
	;; [unrolled: 1-line block ×4, first 2 shown]
	v_lshlrev_b64 v[23:24], 2, v[22:23]
	v_mov_b32_e32 v25, v12
	v_mov_b32_e32 v27, v14
	;; [unrolled: 1-line block ×4, first 2 shown]
	s_mov_b32 s6, 0
	v_add_co_u32 v23, vcc_lo, s10, v23
	v_add_co_ci_u32_e64 v24, null, s11, v24, vcc_lo
	global_load_dword v20, v[23:24], off
	s_waitcnt vmcnt(0)
	v_subrev_nc_u32_e32 v20, s2, v20
	v_mul_lo_u32 v23, v20, 11
	s_branch .LBB275_10
.LBB275_9:                              ;   in Loop: Header=BB275_8 Depth=1
                                        ; implicit-def: $vgpr31_vgpr32
                                        ; implicit-def: $vgpr29_vgpr30
                                        ; implicit-def: $vgpr27_vgpr28
                                        ; implicit-def: $vgpr25_vgpr26
                                        ; implicit-def: $sgpr6
                                        ; implicit-def: $vgpr23
	s_branch .LBB275_7
.LBB275_10:                             ;   Parent Loop BB275_8 Depth=1
                                        ; =>  This Inner Loop Header: Depth=2
	v_mov_b32_e32 v24, v21
	v_add_nc_u32_e32 v20, s6, v35
	s_cmp_eq_u32 s6, 16
	v_lshlrev_b64 v[12:13], 4, v[23:24]
	v_lshlrev_b64 v[14:15], 4, v[20:21]
	v_add_nc_u32_e32 v24, s6, v34
	v_add_co_u32 v12, vcc_lo, s14, v12
	v_add_co_ci_u32_e64 v13, null, s15, v13, vcc_lo
	v_add_co_u32 v36, vcc_lo, s12, v14
	v_add_co_ci_u32_e64 v37, null, s13, v15, vcc_lo
	global_load_dwordx4 v[12:15], v[12:13], off
	s_clause 0x1
	global_load_dwordx4 v[16:19], v[36:37], off
	global_load_dwordx4 v[36:39], v[36:37], off offset:16
	v_add_nc_u32_e32 v20, 2, v24
	v_lshlrev_b64 v[40:41], 4, v[20:21]
	v_add_nc_u32_e32 v20, 1, v23
	v_lshlrev_b64 v[42:43], 4, v[20:21]
	v_add_nc_u32_e32 v20, 4, v24
	v_add_co_u32 v42, vcc_lo, s14, v42
	v_add_co_ci_u32_e64 v43, null, s15, v43, vcc_lo
	v_add_co_u32 v48, vcc_lo, s12, v40
	v_add_co_ci_u32_e64 v49, null, s13, v41, vcc_lo
	global_load_dwordx4 v[40:43], v[42:43], off
	s_clause 0x1
	global_load_dwordx4 v[44:47], v[48:49], off
	global_load_dwordx4 v[48:51], v[48:49], off offset:16
	v_lshlrev_b64 v[52:53], 4, v[20:21]
	v_add_nc_u32_e32 v20, 2, v23
	v_lshlrev_b64 v[54:55], 4, v[20:21]
	v_add_co_u32 v54, vcc_lo, s14, v54
	v_add_co_ci_u32_e64 v55, null, s15, v55, vcc_lo
	v_add_co_u32 v60, vcc_lo, s12, v52
	v_add_co_ci_u32_e64 v61, null, s13, v53, vcc_lo
	global_load_dwordx4 v[52:55], v[54:55], off
	s_clause 0x1
	global_load_dwordx4 v[56:59], v[60:61], off
	global_load_dwordx4 v[60:63], v[60:61], off offset:16
	s_waitcnt vmcnt(7)
	v_fma_f64 v[27:28], v[16:17], v[12:13], v[27:28]
	v_fma_f64 v[25:26], v[18:19], v[12:13], v[25:26]
	s_waitcnt vmcnt(6)
	v_fma_f64 v[29:30], v[36:37], v[12:13], v[29:30]
	v_fma_f64 v[12:13], v[38:39], v[12:13], v[31:32]
	v_fma_f64 v[18:19], -v[18:19], v[14:15], v[27:28]
	v_fma_f64 v[16:17], v[16:17], v[14:15], v[25:26]
	v_fma_f64 v[25:26], -v[38:39], v[14:15], v[29:30]
	v_fma_f64 v[12:13], v[36:37], v[14:15], v[12:13]
	s_waitcnt vmcnt(4)
	v_fma_f64 v[14:15], v[44:45], v[40:41], v[18:19]
	v_fma_f64 v[16:17], v[46:47], v[40:41], v[16:17]
	s_waitcnt vmcnt(3)
	v_fma_f64 v[18:19], v[48:49], v[40:41], v[25:26]
	v_fma_f64 v[12:13], v[50:51], v[40:41], v[12:13]
	v_fma_f64 v[14:15], -v[46:47], v[42:43], v[14:15]
	v_fma_f64 v[16:17], v[44:45], v[42:43], v[16:17]
	v_fma_f64 v[18:19], -v[50:51], v[42:43], v[18:19]
	v_fma_f64 v[12:13], v[48:49], v[42:43], v[12:13]
	;; [unrolled: 10-line block ×3, first 2 shown]
	s_cbranch_scc1 .LBB275_9
; %bb.11:                               ;   in Loop: Header=BB275_10 Depth=2
	v_add_nc_u32_e32 v20, 6, v24
	s_add_i32 s6, s6, 8
	v_lshlrev_b64 v[24:25], 4, v[20:21]
	v_add_nc_u32_e32 v20, 3, v23
	v_add_nc_u32_e32 v23, 4, v23
	v_lshlrev_b64 v[26:27], 4, v[20:21]
	v_add_co_u32 v26, vcc_lo, s14, v26
	v_add_co_ci_u32_e64 v27, null, s15, v27, vcc_lo
	v_add_co_u32 v36, vcc_lo, s12, v24
	v_add_co_ci_u32_e64 v37, null, s13, v25, vcc_lo
	global_load_dwordx4 v[29:32], v[26:27], off
	s_clause 0x1
	global_load_dwordx4 v[24:27], v[36:37], off
	global_load_dwordx4 v[36:39], v[36:37], off offset:16
	s_waitcnt vmcnt(1)
	v_fma_f64 v[40:41], v[24:25], v[29:30], v[14:15]
	v_fma_f64 v[42:43], v[26:27], v[29:30], v[12:13]
	s_waitcnt vmcnt(0)
	v_fma_f64 v[44:45], v[36:37], v[29:30], v[16:17]
	v_fma_f64 v[46:47], v[38:39], v[29:30], v[18:19]
	v_fma_f64 v[27:28], -v[26:27], v[31:32], v[40:41]
	v_fma_f64 v[25:26], v[24:25], v[31:32], v[42:43]
	v_fma_f64 v[29:30], -v[38:39], v[31:32], v[44:45]
	v_fma_f64 v[31:32], v[36:37], v[31:32], v[46:47]
	s_cbranch_execnz .LBB275_10
	s_branch .LBB275_7
.LBB275_12:
                                        ; implicit-def: $vgpr12_vgpr13
                                        ; implicit-def: $vgpr14_vgpr15
                                        ; implicit-def: $vgpr16_vgpr17
                                        ; implicit-def: $vgpr18_vgpr19
	s_branch .LBB275_15
.LBB275_13:
	s_or_b32 exec_lo, exec_lo, s3
.LBB275_14:
	s_or_b32 exec_lo, exec_lo, s1
	s_cbranch_execnz .LBB275_24
.LBB275_15:
	v_mov_b32_e32 v12, 0
	v_mov_b32_e32 v14, 0
	;; [unrolled: 1-line block ×8, first 2 shown]
	s_and_saveexec_b32 s1, s0
	s_cbranch_execz .LBB275_23
; %bb.16:
	v_mul_lo_u32 v11, v11, 22
	v_mul_lo_u32 v30, v10, 22
	s_mul_i32 s0, s2, 22
	v_mov_b32_e32 v12, 0
	v_mov_b32_e32 v14, 0
	;; [unrolled: 1-line block ×5, first 2 shown]
	v_mad_u32_u24 v11, v0, 22, v11
	v_mov_b32_e32 v15, 0
	v_mov_b32_e32 v17, 0
	;; [unrolled: 1-line block ×4, first 2 shown]
	v_subrev_nc_u32_e32 v31, s0, v11
	s_mov_b32 s0, 0
	s_branch .LBB275_18
.LBB275_17:                             ;   in Loop: Header=BB275_18 Depth=1
	v_add_nc_u32_e32 v10, 16, v10
	v_add_nc_u32_e32 v30, 0x160, v30
	;; [unrolled: 1-line block ×3, first 2 shown]
	v_cmp_ge_i32_e32 vcc_lo, v10, v33
	s_or_b32 s0, vcc_lo, s0
	s_andn2_b32 exec_lo, exec_lo, s0
	s_cbranch_execz .LBB275_22
.LBB275_18:                             ; =>This Loop Header: Depth=1
                                        ;     Child Loop BB275_20 Depth 2
	v_ashrrev_i32_e32 v11, 31, v10
	v_mov_b32_e32 v25, v15
	v_mov_b32_e32 v27, v17
	;; [unrolled: 1-line block ×4, first 2 shown]
	v_lshlrev_b64 v[22:23], 2, v[10:11]
	v_mov_b32_e32 v26, v16
	v_mov_b32_e32 v28, v18
	s_mov_b32 s3, 0
	v_add_co_u32 v22, vcc_lo, s10, v22
	v_add_co_ci_u32_e64 v23, null, s11, v23, vcc_lo
	global_load_dword v11, v[22:23], off
	v_mov_b32_e32 v23, v13
	v_mov_b32_e32 v22, v12
	s_waitcnt vmcnt(0)
	v_subrev_nc_u32_e32 v11, s2, v11
	v_mul_lo_u32 v11, v11, 11
	s_branch .LBB275_20
.LBB275_19:                             ;   in Loop: Header=BB275_20 Depth=2
	s_andn2_b32 vcc_lo, exec_lo, s6
	s_cbranch_vccz .LBB275_17
.LBB275_20:                             ;   Parent Loop BB275_18 Depth=1
                                        ; =>  This Inner Loop Header: Depth=2
	v_add_nc_u32_e32 v20, s3, v31
	v_add_nc_u32_e32 v32, s3, v30
	v_mov_b32_e32 v13, v21
	v_mov_b32_e32 v41, v21
	;; [unrolled: 1-line block ×3, first 2 shown]
	v_lshlrev_b64 v[14:15], 4, v[20:21]
	v_add_nc_u32_e32 v20, s3, v11
	v_add_nc_u32_e32 v12, 11, v32
	;; [unrolled: 1-line block ×3, first 2 shown]
	v_mov_b32_e32 v51, v21
	v_add_nc_u32_e32 v50, 2, v32
	v_lshlrev_b64 v[16:17], 4, v[20:21]
	v_lshlrev_b64 v[12:13], 4, v[12:13]
	v_add_co_u32 v38, vcc_lo, s12, v14
	v_add_co_ci_u32_e64 v39, null, s13, v15, vcc_lo
	v_add_co_u32 v16, vcc_lo, s14, v16
	v_add_co_ci_u32_e64 v17, null, s15, v17, vcc_lo
	;; [unrolled: 2-line block ×3, first 2 shown]
	global_load_dwordx4 v[12:15], v[38:39], off
	global_load_dwordx4 v[16:19], v[16:17], off
	;; [unrolled: 1-line block ×3, first 2 shown]
	v_add_nc_u32_e32 v40, 1, v20
	v_lshlrev_b64 v[42:43], 4, v[42:43]
	v_mov_b32_e32 v53, v21
	v_add_nc_u32_e32 v52, 2, v20
	v_lshlrev_b64 v[50:51], 4, v[50:51]
	v_lshlrev_b64 v[40:41], 4, v[40:41]
	s_cmp_eq_u32 s3, 8
	s_mov_b32 s6, -1
	v_lshlrev_b64 v[52:53], 4, v[52:53]
	v_add_co_u32 v44, vcc_lo, s14, v40
	v_add_co_ci_u32_e64 v45, null, s15, v41, vcc_lo
	v_add_co_u32 v58, vcc_lo, s12, v42
	v_add_co_ci_u32_e64 v59, null, s13, v43, vcc_lo
	global_load_dwordx4 v[38:41], v[38:39], off offset:16
	global_load_dwordx4 v[42:45], v[44:45], off
	global_load_dwordx4 v[46:49], v[58:59], off
	v_add_co_u32 v50, vcc_lo, s12, v50
	v_add_co_ci_u32_e64 v51, null, s13, v51, vcc_lo
	v_add_co_u32 v54, vcc_lo, s14, v52
	v_add_co_ci_u32_e64 v55, null, s15, v53, vcc_lo
	global_load_dwordx4 v[50:53], v[50:51], off
	global_load_dwordx4 v[54:57], v[54:55], off
	global_load_dwordx4 v[58:61], v[58:59], off offset:16
	s_waitcnt vmcnt(7)
	v_fma_f64 v[24:25], v[12:13], v[16:17], v[24:25]
	v_fma_f64 v[22:23], v[14:15], v[16:17], v[22:23]
	s_waitcnt vmcnt(6)
	v_fma_f64 v[26:27], v[34:35], v[16:17], v[26:27]
	v_fma_f64 v[16:17], v[36:37], v[16:17], v[28:29]
                                        ; implicit-def: $vgpr28_vgpr29
	v_fma_f64 v[14:15], -v[14:15], v[18:19], v[24:25]
	v_fma_f64 v[12:13], v[12:13], v[18:19], v[22:23]
	v_fma_f64 v[22:23], -v[36:37], v[18:19], v[26:27]
	v_fma_f64 v[16:17], v[34:35], v[18:19], v[16:17]
                                        ; implicit-def: $vgpr26_vgpr27
                                        ; implicit-def: $vgpr24_vgpr25
	s_waitcnt vmcnt(4)
	v_fma_f64 v[14:15], v[38:39], v[42:43], v[14:15]
	v_fma_f64 v[12:13], v[40:41], v[42:43], v[12:13]
	s_waitcnt vmcnt(3)
	v_fma_f64 v[18:19], v[46:47], v[42:43], v[22:23]
	v_fma_f64 v[16:17], v[48:49], v[42:43], v[16:17]
	v_fma_f64 v[14:15], -v[40:41], v[44:45], v[14:15]
	v_fma_f64 v[12:13], v[38:39], v[44:45], v[12:13]
	v_fma_f64 v[18:19], -v[48:49], v[44:45], v[18:19]
	v_fma_f64 v[16:17], v[46:47], v[44:45], v[16:17]
	s_waitcnt vmcnt(1)
	v_fma_f64 v[14:15], v[50:51], v[54:55], v[14:15]
	v_fma_f64 v[12:13], v[52:53], v[54:55], v[12:13]
	s_waitcnt vmcnt(0)
	v_fma_f64 v[18:19], v[58:59], v[54:55], v[18:19]
	v_fma_f64 v[22:23], v[60:61], v[54:55], v[16:17]
	v_fma_f64 v[14:15], -v[52:53], v[56:57], v[14:15]
	v_fma_f64 v[12:13], v[50:51], v[56:57], v[12:13]
	v_fma_f64 v[16:17], -v[60:61], v[56:57], v[18:19]
	v_fma_f64 v[18:19], v[58:59], v[56:57], v[22:23]
                                        ; implicit-def: $vgpr22_vgpr23
	s_cbranch_scc1 .LBB275_19
; %bb.21:                               ;   in Loop: Header=BB275_20 Depth=2
	v_add_nc_u32_e32 v20, 3, v20
	v_add_nc_u32_e32 v22, 3, v32
	v_mov_b32_e32 v23, v21
	s_add_i32 s3, s3, 4
	s_mov_b32 s6, 0
	v_lshlrev_b64 v[24:25], 4, v[20:21]
	v_add_nc_u32_e32 v20, 14, v32
	v_lshlrev_b64 v[22:23], 4, v[22:23]
	v_lshlrev_b64 v[26:27], 4, v[20:21]
	v_add_co_u32 v22, vcc_lo, s12, v22
	v_add_co_ci_u32_e64 v23, null, s13, v23, vcc_lo
	v_add_co_u32 v28, vcc_lo, s14, v24
	v_add_co_ci_u32_e64 v29, null, s15, v25, vcc_lo
	;; [unrolled: 2-line block ×3, first 2 shown]
	global_load_dwordx4 v[22:25], v[22:23], off
	global_load_dwordx4 v[26:29], v[28:29], off
	;; [unrolled: 1-line block ×3, first 2 shown]
	s_waitcnt vmcnt(1)
	v_fma_f64 v[38:39], v[22:23], v[26:27], v[14:15]
	v_fma_f64 v[40:41], v[24:25], v[26:27], v[12:13]
	s_waitcnt vmcnt(0)
	v_fma_f64 v[42:43], v[34:35], v[26:27], v[16:17]
	v_fma_f64 v[44:45], v[36:37], v[26:27], v[18:19]
	v_fma_f64 v[24:25], -v[24:25], v[28:29], v[38:39]
	v_fma_f64 v[22:23], v[22:23], v[28:29], v[40:41]
	v_fma_f64 v[26:27], -v[36:37], v[28:29], v[42:43]
	v_fma_f64 v[28:29], v[34:35], v[28:29], v[44:45]
	s_branch .LBB275_19
.LBB275_22:
	s_or_b32 exec_lo, exec_lo, s0
.LBB275_23:
	s_or_b32 exec_lo, exec_lo, s1
.LBB275_24:
	v_mbcnt_lo_u32_b32 v26, -1, 0
	v_xor_b32_e32 v10, 8, v26
	v_cmp_gt_i32_e32 vcc_lo, 32, v10
	v_cndmask_b32_e32 v10, v26, v10, vcc_lo
	v_lshlrev_b32_e32 v25, 2, v10
	ds_bpermute_b32 v10, v25, v14
	ds_bpermute_b32 v11, v25, v15
	;; [unrolled: 1-line block ×8, first 2 shown]
	s_waitcnt lgkmcnt(6)
	v_add_f64 v[10:11], v[14:15], v[10:11]
	s_waitcnt lgkmcnt(4)
	v_add_f64 v[12:13], v[12:13], v[20:21]
	v_xor_b32_e32 v20, 4, v26
	s_waitcnt lgkmcnt(2)
	v_add_f64 v[14:15], v[16:17], v[22:23]
	s_waitcnt lgkmcnt(0)
	v_add_f64 v[16:17], v[18:19], v[24:25]
	v_cmp_gt_i32_e32 vcc_lo, 32, v20
	v_cndmask_b32_e32 v18, v26, v20, vcc_lo
	v_lshlrev_b32_e32 v25, 2, v18
	ds_bpermute_b32 v18, v25, v10
	ds_bpermute_b32 v19, v25, v11
	;; [unrolled: 1-line block ×8, first 2 shown]
	s_waitcnt lgkmcnt(6)
	v_add_f64 v[10:11], v[10:11], v[18:19]
	s_waitcnt lgkmcnt(4)
	v_add_f64 v[12:13], v[12:13], v[20:21]
	;; [unrolled: 2-line block ×4, first 2 shown]
	v_xor_b32_e32 v16, 2, v26
	v_cmp_gt_i32_e32 vcc_lo, 32, v16
	v_cndmask_b32_e32 v16, v26, v16, vcc_lo
	v_lshlrev_b32_e32 v25, 2, v16
	ds_bpermute_b32 v16, v25, v10
	ds_bpermute_b32 v17, v25, v11
	;; [unrolled: 1-line block ×8, first 2 shown]
	s_waitcnt lgkmcnt(6)
	v_add_f64 v[10:11], v[10:11], v[16:17]
	s_waitcnt lgkmcnt(4)
	v_add_f64 v[16:17], v[12:13], v[20:21]
	;; [unrolled: 2-line block ×4, first 2 shown]
	v_xor_b32_e32 v18, 1, v26
	v_cmp_gt_i32_e32 vcc_lo, 32, v18
	v_cndmask_b32_e32 v18, v26, v18, vcc_lo
	v_cmp_eq_u32_e32 vcc_lo, 15, v0
	v_lshlrev_b32_e32 v21, 2, v18
	ds_bpermute_b32 v24, v21, v10
	ds_bpermute_b32 v25, v21, v11
	;; [unrolled: 1-line block ×8, first 2 shown]
	s_and_b32 exec_lo, exec_lo, vcc_lo
	s_cbranch_execz .LBB275_29
; %bb.25:
	v_cmp_eq_f64_e32 vcc_lo, 0, v[5:6]
	v_cmp_eq_f64_e64 s0, 0, v[7:8]
	s_waitcnt lgkmcnt(6)
	v_add_f64 v[10:11], v[10:11], v[24:25]
	s_waitcnt lgkmcnt(4)
	v_add_f64 v[16:17], v[16:17], v[22:23]
	s_waitcnt lgkmcnt(2)
	v_add_f64 v[12:13], v[12:13], v[18:19]
	s_waitcnt lgkmcnt(0)
	v_add_f64 v[14:15], v[14:15], v[20:21]
	s_load_dwordx2 s[2:3], s[4:5], 0x48
	s_and_b32 s0, vcc_lo, s0
	s_and_saveexec_b32 s1, s0
	s_xor_b32 s0, exec_lo, s1
	s_cbranch_execz .LBB275_27
; %bb.26:
	v_mul_f64 v[5:6], v[16:17], -v[3:4]
	v_mul_f64 v[7:8], v[1:2], v[16:17]
	v_mul_f64 v[16:17], v[14:15], -v[3:4]
	v_mul_f64 v[14:15], v[1:2], v[14:15]
	v_lshlrev_b32_e32 v9, 1, v9
	v_fma_f64 v[5:6], v[1:2], v[10:11], v[5:6]
	v_fma_f64 v[7:8], v[3:4], v[10:11], v[7:8]
	;; [unrolled: 1-line block ×4, first 2 shown]
	v_ashrrev_i32_e32 v10, 31, v9
                                        ; implicit-def: $vgpr16_vgpr17
                                        ; implicit-def: $vgpr12_vgpr13
                                        ; implicit-def: $vgpr14_vgpr15
	v_lshlrev_b64 v[9:10], 4, v[9:10]
	s_waitcnt lgkmcnt(0)
	v_add_co_u32 v9, vcc_lo, s2, v9
	v_add_co_ci_u32_e64 v10, null, s3, v10, vcc_lo
	global_store_dwordx4 v[9:10], v[5:8], off
	global_store_dwordx4 v[9:10], v[0:3], off offset:16
                                        ; implicit-def: $vgpr9
                                        ; implicit-def: $vgpr10_vgpr11
                                        ; implicit-def: $vgpr7_vgpr8
                                        ; implicit-def: $vgpr3_vgpr4
.LBB275_27:
	s_andn2_saveexec_b32 s0, s0
	s_cbranch_execz .LBB275_29
; %bb.28:
	v_lshlrev_b32_e32 v18, 1, v9
	v_mul_f64 v[28:29], v[16:17], -v[3:4]
	v_mul_f64 v[16:17], v[1:2], v[16:17]
	v_mul_f64 v[30:31], v[14:15], -v[3:4]
	v_mul_f64 v[14:15], v[1:2], v[14:15]
	v_ashrrev_i32_e32 v19, 31, v18
	v_lshlrev_b64 v[18:19], 4, v[18:19]
	s_waitcnt lgkmcnt(0)
	v_add_co_u32 v26, vcc_lo, s2, v18
	v_add_co_ci_u32_e64 v27, null, s3, v19, vcc_lo
	s_clause 0x1
	global_load_dwordx4 v[18:21], v[26:27], off
	global_load_dwordx4 v[22:25], v[26:27], off offset:16
	v_fma_f64 v[28:29], v[1:2], v[10:11], v[28:29]
	v_fma_f64 v[9:10], v[3:4], v[10:11], v[16:17]
	;; [unrolled: 1-line block ×4, first 2 shown]
	s_waitcnt vmcnt(1)
	v_fma_f64 v[11:12], v[5:6], v[18:19], v[28:29]
	v_fma_f64 v[9:10], v[7:8], v[18:19], v[9:10]
	s_waitcnt vmcnt(0)
	v_fma_f64 v[13:14], v[5:6], v[22:23], v[0:1]
	v_fma_f64 v[15:16], v[7:8], v[22:23], v[2:3]
	v_fma_f64 v[0:1], -v[7:8], v[20:21], v[11:12]
	v_fma_f64 v[2:3], v[5:6], v[20:21], v[9:10]
	v_fma_f64 v[7:8], -v[7:8], v[24:25], v[13:14]
	v_fma_f64 v[9:10], v[5:6], v[24:25], v[15:16]
	global_store_dwordx4 v[26:27], v[0:3], off
	global_store_dwordx4 v[26:27], v[7:10], off offset:16
.LBB275_29:
	s_endpgm
	.section	.rodata,"a",@progbits
	.p2align	6, 0x0
	.amdhsa_kernel _ZN9rocsparseL19gebsrmvn_2xn_kernelILj128ELj11ELj16E21rocsparse_complex_numIdEEEvi20rocsparse_direction_NS_24const_host_device_scalarIT2_EEPKiS8_PKS5_SA_S6_PS5_21rocsparse_index_base_b
		.amdhsa_group_segment_fixed_size 0
		.amdhsa_private_segment_fixed_size 0
		.amdhsa_kernarg_size 88
		.amdhsa_user_sgpr_count 6
		.amdhsa_user_sgpr_private_segment_buffer 1
		.amdhsa_user_sgpr_dispatch_ptr 0
		.amdhsa_user_sgpr_queue_ptr 0
		.amdhsa_user_sgpr_kernarg_segment_ptr 1
		.amdhsa_user_sgpr_dispatch_id 0
		.amdhsa_user_sgpr_flat_scratch_init 0
		.amdhsa_user_sgpr_private_segment_size 0
		.amdhsa_wavefront_size32 1
		.amdhsa_uses_dynamic_stack 0
		.amdhsa_system_sgpr_private_segment_wavefront_offset 0
		.amdhsa_system_sgpr_workgroup_id_x 1
		.amdhsa_system_sgpr_workgroup_id_y 0
		.amdhsa_system_sgpr_workgroup_id_z 0
		.amdhsa_system_sgpr_workgroup_info 0
		.amdhsa_system_vgpr_workitem_id 0
		.amdhsa_next_free_vgpr 64
		.amdhsa_next_free_sgpr 16
		.amdhsa_reserve_vcc 1
		.amdhsa_reserve_flat_scratch 0
		.amdhsa_float_round_mode_32 0
		.amdhsa_float_round_mode_16_64 0
		.amdhsa_float_denorm_mode_32 3
		.amdhsa_float_denorm_mode_16_64 3
		.amdhsa_dx10_clamp 1
		.amdhsa_ieee_mode 1
		.amdhsa_fp16_overflow 0
		.amdhsa_workgroup_processor_mode 1
		.amdhsa_memory_ordered 1
		.amdhsa_forward_progress 1
		.amdhsa_shared_vgpr_count 0
		.amdhsa_exception_fp_ieee_invalid_op 0
		.amdhsa_exception_fp_denorm_src 0
		.amdhsa_exception_fp_ieee_div_zero 0
		.amdhsa_exception_fp_ieee_overflow 0
		.amdhsa_exception_fp_ieee_underflow 0
		.amdhsa_exception_fp_ieee_inexact 0
		.amdhsa_exception_int_div_zero 0
	.end_amdhsa_kernel
	.section	.text._ZN9rocsparseL19gebsrmvn_2xn_kernelILj128ELj11ELj16E21rocsparse_complex_numIdEEEvi20rocsparse_direction_NS_24const_host_device_scalarIT2_EEPKiS8_PKS5_SA_S6_PS5_21rocsparse_index_base_b,"axG",@progbits,_ZN9rocsparseL19gebsrmvn_2xn_kernelILj128ELj11ELj16E21rocsparse_complex_numIdEEEvi20rocsparse_direction_NS_24const_host_device_scalarIT2_EEPKiS8_PKS5_SA_S6_PS5_21rocsparse_index_base_b,comdat
.Lfunc_end275:
	.size	_ZN9rocsparseL19gebsrmvn_2xn_kernelILj128ELj11ELj16E21rocsparse_complex_numIdEEEvi20rocsparse_direction_NS_24const_host_device_scalarIT2_EEPKiS8_PKS5_SA_S6_PS5_21rocsparse_index_base_b, .Lfunc_end275-_ZN9rocsparseL19gebsrmvn_2xn_kernelILj128ELj11ELj16E21rocsparse_complex_numIdEEEvi20rocsparse_direction_NS_24const_host_device_scalarIT2_EEPKiS8_PKS5_SA_S6_PS5_21rocsparse_index_base_b
                                        ; -- End function
	.set _ZN9rocsparseL19gebsrmvn_2xn_kernelILj128ELj11ELj16E21rocsparse_complex_numIdEEEvi20rocsparse_direction_NS_24const_host_device_scalarIT2_EEPKiS8_PKS5_SA_S6_PS5_21rocsparse_index_base_b.num_vgpr, 64
	.set _ZN9rocsparseL19gebsrmvn_2xn_kernelILj128ELj11ELj16E21rocsparse_complex_numIdEEEvi20rocsparse_direction_NS_24const_host_device_scalarIT2_EEPKiS8_PKS5_SA_S6_PS5_21rocsparse_index_base_b.num_agpr, 0
	.set _ZN9rocsparseL19gebsrmvn_2xn_kernelILj128ELj11ELj16E21rocsparse_complex_numIdEEEvi20rocsparse_direction_NS_24const_host_device_scalarIT2_EEPKiS8_PKS5_SA_S6_PS5_21rocsparse_index_base_b.numbered_sgpr, 16
	.set _ZN9rocsparseL19gebsrmvn_2xn_kernelILj128ELj11ELj16E21rocsparse_complex_numIdEEEvi20rocsparse_direction_NS_24const_host_device_scalarIT2_EEPKiS8_PKS5_SA_S6_PS5_21rocsparse_index_base_b.num_named_barrier, 0
	.set _ZN9rocsparseL19gebsrmvn_2xn_kernelILj128ELj11ELj16E21rocsparse_complex_numIdEEEvi20rocsparse_direction_NS_24const_host_device_scalarIT2_EEPKiS8_PKS5_SA_S6_PS5_21rocsparse_index_base_b.private_seg_size, 0
	.set _ZN9rocsparseL19gebsrmvn_2xn_kernelILj128ELj11ELj16E21rocsparse_complex_numIdEEEvi20rocsparse_direction_NS_24const_host_device_scalarIT2_EEPKiS8_PKS5_SA_S6_PS5_21rocsparse_index_base_b.uses_vcc, 1
	.set _ZN9rocsparseL19gebsrmvn_2xn_kernelILj128ELj11ELj16E21rocsparse_complex_numIdEEEvi20rocsparse_direction_NS_24const_host_device_scalarIT2_EEPKiS8_PKS5_SA_S6_PS5_21rocsparse_index_base_b.uses_flat_scratch, 0
	.set _ZN9rocsparseL19gebsrmvn_2xn_kernelILj128ELj11ELj16E21rocsparse_complex_numIdEEEvi20rocsparse_direction_NS_24const_host_device_scalarIT2_EEPKiS8_PKS5_SA_S6_PS5_21rocsparse_index_base_b.has_dyn_sized_stack, 0
	.set _ZN9rocsparseL19gebsrmvn_2xn_kernelILj128ELj11ELj16E21rocsparse_complex_numIdEEEvi20rocsparse_direction_NS_24const_host_device_scalarIT2_EEPKiS8_PKS5_SA_S6_PS5_21rocsparse_index_base_b.has_recursion, 0
	.set _ZN9rocsparseL19gebsrmvn_2xn_kernelILj128ELj11ELj16E21rocsparse_complex_numIdEEEvi20rocsparse_direction_NS_24const_host_device_scalarIT2_EEPKiS8_PKS5_SA_S6_PS5_21rocsparse_index_base_b.has_indirect_call, 0
	.section	.AMDGPU.csdata,"",@progbits
; Kernel info:
; codeLenInByte = 3088
; TotalNumSgprs: 18
; NumVgprs: 64
; ScratchSize: 0
; MemoryBound: 0
; FloatMode: 240
; IeeeMode: 1
; LDSByteSize: 0 bytes/workgroup (compile time only)
; SGPRBlocks: 0
; VGPRBlocks: 7
; NumSGPRsForWavesPerEU: 18
; NumVGPRsForWavesPerEU: 64
; Occupancy: 16
; WaveLimiterHint : 1
; COMPUTE_PGM_RSRC2:SCRATCH_EN: 0
; COMPUTE_PGM_RSRC2:USER_SGPR: 6
; COMPUTE_PGM_RSRC2:TRAP_HANDLER: 0
; COMPUTE_PGM_RSRC2:TGID_X_EN: 1
; COMPUTE_PGM_RSRC2:TGID_Y_EN: 0
; COMPUTE_PGM_RSRC2:TGID_Z_EN: 0
; COMPUTE_PGM_RSRC2:TIDIG_COMP_CNT: 0
	.section	.text._ZN9rocsparseL19gebsrmvn_2xn_kernelILj128ELj11ELj32E21rocsparse_complex_numIdEEEvi20rocsparse_direction_NS_24const_host_device_scalarIT2_EEPKiS8_PKS5_SA_S6_PS5_21rocsparse_index_base_b,"axG",@progbits,_ZN9rocsparseL19gebsrmvn_2xn_kernelILj128ELj11ELj32E21rocsparse_complex_numIdEEEvi20rocsparse_direction_NS_24const_host_device_scalarIT2_EEPKiS8_PKS5_SA_S6_PS5_21rocsparse_index_base_b,comdat
	.globl	_ZN9rocsparseL19gebsrmvn_2xn_kernelILj128ELj11ELj32E21rocsparse_complex_numIdEEEvi20rocsparse_direction_NS_24const_host_device_scalarIT2_EEPKiS8_PKS5_SA_S6_PS5_21rocsparse_index_base_b ; -- Begin function _ZN9rocsparseL19gebsrmvn_2xn_kernelILj128ELj11ELj32E21rocsparse_complex_numIdEEEvi20rocsparse_direction_NS_24const_host_device_scalarIT2_EEPKiS8_PKS5_SA_S6_PS5_21rocsparse_index_base_b
	.p2align	8
	.type	_ZN9rocsparseL19gebsrmvn_2xn_kernelILj128ELj11ELj32E21rocsparse_complex_numIdEEEvi20rocsparse_direction_NS_24const_host_device_scalarIT2_EEPKiS8_PKS5_SA_S6_PS5_21rocsparse_index_base_b,@function
_ZN9rocsparseL19gebsrmvn_2xn_kernelILj128ELj11ELj32E21rocsparse_complex_numIdEEEvi20rocsparse_direction_NS_24const_host_device_scalarIT2_EEPKiS8_PKS5_SA_S6_PS5_21rocsparse_index_base_b: ; @_ZN9rocsparseL19gebsrmvn_2xn_kernelILj128ELj11ELj32E21rocsparse_complex_numIdEEEvi20rocsparse_direction_NS_24const_host_device_scalarIT2_EEPKiS8_PKS5_SA_S6_PS5_21rocsparse_index_base_b
; %bb.0:
	s_clause 0x1
	s_load_dwordx2 s[2:3], s[4:5], 0x50
	s_load_dwordx2 s[0:1], s[4:5], 0x8
	s_add_u32 s7, s4, 8
	s_addc_u32 s10, s5, 0
	s_add_u32 s11, s4, 56
	s_addc_u32 s12, s5, 0
	s_load_dwordx2 s[8:9], s[4:5], 0x38
	s_waitcnt lgkmcnt(0)
	s_bitcmp1_b32 s3, 0
	s_cselect_b32 s0, s7, s0
	s_cselect_b32 s1, s10, s1
	v_mov_b32_e32 v1, s0
	v_mov_b32_e32 v2, s1
	s_cselect_b32 s0, s11, s8
	s_cselect_b32 s1, s12, s9
	v_mov_b32_e32 v5, s0
	v_mov_b32_e32 v6, s1
	flat_load_dwordx4 v[1:4], v[1:2]
	flat_load_dwordx4 v[5:8], v[5:6]
	s_waitcnt vmcnt(1) lgkmcnt(1)
	v_cmp_eq_f64_e32 vcc_lo, 0, v[1:2]
	v_cmp_eq_f64_e64 s0, 0, v[3:4]
	s_and_b32 s3, vcc_lo, s0
	s_mov_b32 s0, -1
	s_and_saveexec_b32 s1, s3
	s_cbranch_execz .LBB276_2
; %bb.1:
	s_waitcnt vmcnt(0) lgkmcnt(0)
	v_cmp_neq_f64_e32 vcc_lo, 1.0, v[5:6]
	v_cmp_neq_f64_e64 s0, 0, v[7:8]
	s_or_b32 s0, vcc_lo, s0
	s_orn2_b32 s0, s0, exec_lo
.LBB276_2:
	s_or_b32 exec_lo, exec_lo, s1
	s_and_saveexec_b32 s1, s0
	s_cbranch_execz .LBB276_29
; %bb.3:
	s_load_dwordx2 s[0:1], s[4:5], 0x0
	v_lshrrev_b32_e32 v9, 5, v0
	v_lshl_or_b32 v9, s6, 2, v9
	s_waitcnt lgkmcnt(0)
	v_cmp_gt_i32_e32 vcc_lo, s0, v9
	s_and_b32 exec_lo, exec_lo, vcc_lo
	s_cbranch_execz .LBB276_29
; %bb.4:
	s_load_dwordx8 s[8:15], s[4:5], 0x18
	v_ashrrev_i32_e32 v10, 31, v9
	v_and_b32_e32 v0, 31, v0
	s_cmp_lg_u32 s1, 0
	v_lshlrev_b64 v[10:11], 2, v[9:10]
	s_waitcnt lgkmcnt(0)
	v_add_co_u32 v10, vcc_lo, s8, v10
	v_add_co_ci_u32_e64 v11, null, s9, v11, vcc_lo
	global_load_dwordx2 v[11:12], v[10:11], off
	s_waitcnt vmcnt(0)
	v_subrev_nc_u32_e32 v10, s2, v11
	v_subrev_nc_u32_e32 v33, s2, v12
	v_add_nc_u32_e32 v10, v10, v0
	v_cmp_lt_i32_e64 s0, v10, v33
	s_cbranch_scc0 .LBB276_12
; %bb.5:
	v_mov_b32_e32 v12, 0
	v_mov_b32_e32 v14, 0
	;; [unrolled: 1-line block ×8, first 2 shown]
	s_and_saveexec_b32 s1, s0
	s_cbranch_execz .LBB276_14
; %bb.6:
	v_mul_lo_u32 v14, v11, 22
	v_mul_lo_u32 v34, v10, 22
	s_mul_i32 s3, s2, 22
	v_mov_b32_e32 v12, 0
	v_mov_b32_e32 v16, 0
	;; [unrolled: 1-line block ×5, first 2 shown]
	v_mad_u32_u24 v20, v0, 22, v14
	v_mov_b32_e32 v14, 0
	v_mov_b32_e32 v15, 0
	v_mov_b32_e32 v17, 0
	v_mov_b32_e32 v19, 0
	v_subrev_nc_u32_e32 v35, s3, v20
	v_mov_b32_e32 v22, v10
	s_mov_b32 s3, 0
	s_branch .LBB276_8
.LBB276_7:                              ;   in Loop: Header=BB276_8 Depth=1
	v_add_nc_u32_e32 v22, 32, v22
	v_add_nc_u32_e32 v34, 0x2c0, v34
	;; [unrolled: 1-line block ×3, first 2 shown]
	v_cmp_ge_i32_e32 vcc_lo, v22, v33
	s_or_b32 s3, vcc_lo, s3
	s_andn2_b32 exec_lo, exec_lo, s3
	s_cbranch_execz .LBB276_13
.LBB276_8:                              ; =>This Loop Header: Depth=1
                                        ;     Child Loop BB276_10 Depth 2
	v_ashrrev_i32_e32 v23, 31, v22
	v_mov_b32_e32 v26, v13
	v_mov_b32_e32 v28, v15
	;; [unrolled: 1-line block ×4, first 2 shown]
	v_lshlrev_b64 v[23:24], 2, v[22:23]
	v_mov_b32_e32 v25, v12
	v_mov_b32_e32 v27, v14
	;; [unrolled: 1-line block ×4, first 2 shown]
	s_mov_b32 s6, 0
	v_add_co_u32 v23, vcc_lo, s10, v23
	v_add_co_ci_u32_e64 v24, null, s11, v24, vcc_lo
	global_load_dword v20, v[23:24], off
	s_waitcnt vmcnt(0)
	v_subrev_nc_u32_e32 v20, s2, v20
	v_mul_lo_u32 v23, v20, 11
	s_branch .LBB276_10
.LBB276_9:                              ;   in Loop: Header=BB276_8 Depth=1
                                        ; implicit-def: $vgpr31_vgpr32
                                        ; implicit-def: $vgpr29_vgpr30
                                        ; implicit-def: $vgpr27_vgpr28
                                        ; implicit-def: $vgpr25_vgpr26
                                        ; implicit-def: $sgpr6
                                        ; implicit-def: $vgpr23
	s_branch .LBB276_7
.LBB276_10:                             ;   Parent Loop BB276_8 Depth=1
                                        ; =>  This Inner Loop Header: Depth=2
	v_mov_b32_e32 v24, v21
	v_add_nc_u32_e32 v20, s6, v35
	s_cmp_eq_u32 s6, 16
	v_lshlrev_b64 v[12:13], 4, v[23:24]
	v_lshlrev_b64 v[14:15], 4, v[20:21]
	v_add_nc_u32_e32 v24, s6, v34
	v_add_co_u32 v12, vcc_lo, s14, v12
	v_add_co_ci_u32_e64 v13, null, s15, v13, vcc_lo
	v_add_co_u32 v36, vcc_lo, s12, v14
	v_add_co_ci_u32_e64 v37, null, s13, v15, vcc_lo
	global_load_dwordx4 v[12:15], v[12:13], off
	s_clause 0x1
	global_load_dwordx4 v[16:19], v[36:37], off
	global_load_dwordx4 v[36:39], v[36:37], off offset:16
	v_add_nc_u32_e32 v20, 2, v24
	v_lshlrev_b64 v[40:41], 4, v[20:21]
	v_add_nc_u32_e32 v20, 1, v23
	v_lshlrev_b64 v[42:43], 4, v[20:21]
	v_add_nc_u32_e32 v20, 4, v24
	v_add_co_u32 v42, vcc_lo, s14, v42
	v_add_co_ci_u32_e64 v43, null, s15, v43, vcc_lo
	v_add_co_u32 v48, vcc_lo, s12, v40
	v_add_co_ci_u32_e64 v49, null, s13, v41, vcc_lo
	global_load_dwordx4 v[40:43], v[42:43], off
	s_clause 0x1
	global_load_dwordx4 v[44:47], v[48:49], off
	global_load_dwordx4 v[48:51], v[48:49], off offset:16
	v_lshlrev_b64 v[52:53], 4, v[20:21]
	v_add_nc_u32_e32 v20, 2, v23
	v_lshlrev_b64 v[54:55], 4, v[20:21]
	v_add_co_u32 v54, vcc_lo, s14, v54
	v_add_co_ci_u32_e64 v55, null, s15, v55, vcc_lo
	v_add_co_u32 v60, vcc_lo, s12, v52
	v_add_co_ci_u32_e64 v61, null, s13, v53, vcc_lo
	global_load_dwordx4 v[52:55], v[54:55], off
	s_clause 0x1
	global_load_dwordx4 v[56:59], v[60:61], off
	global_load_dwordx4 v[60:63], v[60:61], off offset:16
	s_waitcnt vmcnt(7)
	v_fma_f64 v[27:28], v[16:17], v[12:13], v[27:28]
	v_fma_f64 v[25:26], v[18:19], v[12:13], v[25:26]
	s_waitcnt vmcnt(6)
	v_fma_f64 v[29:30], v[36:37], v[12:13], v[29:30]
	v_fma_f64 v[12:13], v[38:39], v[12:13], v[31:32]
	v_fma_f64 v[18:19], -v[18:19], v[14:15], v[27:28]
	v_fma_f64 v[16:17], v[16:17], v[14:15], v[25:26]
	v_fma_f64 v[25:26], -v[38:39], v[14:15], v[29:30]
	v_fma_f64 v[12:13], v[36:37], v[14:15], v[12:13]
	s_waitcnt vmcnt(4)
	v_fma_f64 v[14:15], v[44:45], v[40:41], v[18:19]
	v_fma_f64 v[16:17], v[46:47], v[40:41], v[16:17]
	s_waitcnt vmcnt(3)
	v_fma_f64 v[18:19], v[48:49], v[40:41], v[25:26]
	v_fma_f64 v[12:13], v[50:51], v[40:41], v[12:13]
	v_fma_f64 v[14:15], -v[46:47], v[42:43], v[14:15]
	v_fma_f64 v[16:17], v[44:45], v[42:43], v[16:17]
	v_fma_f64 v[18:19], -v[50:51], v[42:43], v[18:19]
	v_fma_f64 v[12:13], v[48:49], v[42:43], v[12:13]
	s_waitcnt vmcnt(1)
	v_fma_f64 v[14:15], v[56:57], v[52:53], v[14:15]
	v_fma_f64 v[16:17], v[58:59], v[52:53], v[16:17]
	s_waitcnt vmcnt(0)
	v_fma_f64 v[18:19], v[60:61], v[52:53], v[18:19]
	v_fma_f64 v[25:26], v[62:63], v[52:53], v[12:13]
	v_fma_f64 v[14:15], -v[58:59], v[54:55], v[14:15]
	v_fma_f64 v[12:13], v[56:57], v[54:55], v[16:17]
	v_fma_f64 v[16:17], -v[62:63], v[54:55], v[18:19]
	v_fma_f64 v[18:19], v[60:61], v[54:55], v[25:26]
	s_cbranch_scc1 .LBB276_9
; %bb.11:                               ;   in Loop: Header=BB276_10 Depth=2
	v_add_nc_u32_e32 v20, 6, v24
	s_add_i32 s6, s6, 8
	v_lshlrev_b64 v[24:25], 4, v[20:21]
	v_add_nc_u32_e32 v20, 3, v23
	v_add_nc_u32_e32 v23, 4, v23
	v_lshlrev_b64 v[26:27], 4, v[20:21]
	v_add_co_u32 v26, vcc_lo, s14, v26
	v_add_co_ci_u32_e64 v27, null, s15, v27, vcc_lo
	v_add_co_u32 v36, vcc_lo, s12, v24
	v_add_co_ci_u32_e64 v37, null, s13, v25, vcc_lo
	global_load_dwordx4 v[29:32], v[26:27], off
	s_clause 0x1
	global_load_dwordx4 v[24:27], v[36:37], off
	global_load_dwordx4 v[36:39], v[36:37], off offset:16
	s_waitcnt vmcnt(1)
	v_fma_f64 v[40:41], v[24:25], v[29:30], v[14:15]
	v_fma_f64 v[42:43], v[26:27], v[29:30], v[12:13]
	s_waitcnt vmcnt(0)
	v_fma_f64 v[44:45], v[36:37], v[29:30], v[16:17]
	v_fma_f64 v[46:47], v[38:39], v[29:30], v[18:19]
	v_fma_f64 v[27:28], -v[26:27], v[31:32], v[40:41]
	v_fma_f64 v[25:26], v[24:25], v[31:32], v[42:43]
	v_fma_f64 v[29:30], -v[38:39], v[31:32], v[44:45]
	v_fma_f64 v[31:32], v[36:37], v[31:32], v[46:47]
	s_cbranch_execnz .LBB276_10
	s_branch .LBB276_7
.LBB276_12:
                                        ; implicit-def: $vgpr12_vgpr13
                                        ; implicit-def: $vgpr14_vgpr15
                                        ; implicit-def: $vgpr16_vgpr17
                                        ; implicit-def: $vgpr18_vgpr19
	s_branch .LBB276_15
.LBB276_13:
	s_or_b32 exec_lo, exec_lo, s3
.LBB276_14:
	s_or_b32 exec_lo, exec_lo, s1
	s_cbranch_execnz .LBB276_24
.LBB276_15:
	v_mov_b32_e32 v12, 0
	v_mov_b32_e32 v14, 0
	;; [unrolled: 1-line block ×8, first 2 shown]
	s_and_saveexec_b32 s1, s0
	s_cbranch_execz .LBB276_23
; %bb.16:
	v_mul_lo_u32 v11, v11, 22
	v_mul_lo_u32 v30, v10, 22
	s_mul_i32 s0, s2, 22
	v_mov_b32_e32 v12, 0
	v_mov_b32_e32 v14, 0
	;; [unrolled: 1-line block ×5, first 2 shown]
	v_mad_u32_u24 v11, v0, 22, v11
	v_mov_b32_e32 v15, 0
	v_mov_b32_e32 v17, 0
	;; [unrolled: 1-line block ×4, first 2 shown]
	v_subrev_nc_u32_e32 v31, s0, v11
	s_mov_b32 s0, 0
	s_branch .LBB276_18
.LBB276_17:                             ;   in Loop: Header=BB276_18 Depth=1
	v_add_nc_u32_e32 v10, 32, v10
	v_add_nc_u32_e32 v30, 0x2c0, v30
	;; [unrolled: 1-line block ×3, first 2 shown]
	v_cmp_ge_i32_e32 vcc_lo, v10, v33
	s_or_b32 s0, vcc_lo, s0
	s_andn2_b32 exec_lo, exec_lo, s0
	s_cbranch_execz .LBB276_22
.LBB276_18:                             ; =>This Loop Header: Depth=1
                                        ;     Child Loop BB276_20 Depth 2
	v_ashrrev_i32_e32 v11, 31, v10
	v_mov_b32_e32 v25, v15
	v_mov_b32_e32 v27, v17
	v_mov_b32_e32 v29, v19
	v_mov_b32_e32 v24, v14
	v_lshlrev_b64 v[22:23], 2, v[10:11]
	v_mov_b32_e32 v26, v16
	v_mov_b32_e32 v28, v18
	s_mov_b32 s3, 0
	v_add_co_u32 v22, vcc_lo, s10, v22
	v_add_co_ci_u32_e64 v23, null, s11, v23, vcc_lo
	global_load_dword v11, v[22:23], off
	v_mov_b32_e32 v23, v13
	v_mov_b32_e32 v22, v12
	s_waitcnt vmcnt(0)
	v_subrev_nc_u32_e32 v11, s2, v11
	v_mul_lo_u32 v11, v11, 11
	s_branch .LBB276_20
.LBB276_19:                             ;   in Loop: Header=BB276_20 Depth=2
	s_andn2_b32 vcc_lo, exec_lo, s6
	s_cbranch_vccz .LBB276_17
.LBB276_20:                             ;   Parent Loop BB276_18 Depth=1
                                        ; =>  This Inner Loop Header: Depth=2
	v_add_nc_u32_e32 v20, s3, v31
	v_add_nc_u32_e32 v32, s3, v30
	v_mov_b32_e32 v13, v21
	v_mov_b32_e32 v41, v21
	;; [unrolled: 1-line block ×3, first 2 shown]
	v_lshlrev_b64 v[14:15], 4, v[20:21]
	v_add_nc_u32_e32 v20, s3, v11
	v_add_nc_u32_e32 v12, 11, v32
	;; [unrolled: 1-line block ×3, first 2 shown]
	v_mov_b32_e32 v51, v21
	v_add_nc_u32_e32 v50, 2, v32
	v_lshlrev_b64 v[16:17], 4, v[20:21]
	v_lshlrev_b64 v[12:13], 4, v[12:13]
	v_add_co_u32 v38, vcc_lo, s12, v14
	v_add_co_ci_u32_e64 v39, null, s13, v15, vcc_lo
	v_add_co_u32 v16, vcc_lo, s14, v16
	v_add_co_ci_u32_e64 v17, null, s15, v17, vcc_lo
	;; [unrolled: 2-line block ×3, first 2 shown]
	global_load_dwordx4 v[12:15], v[38:39], off
	global_load_dwordx4 v[16:19], v[16:17], off
	;; [unrolled: 1-line block ×3, first 2 shown]
	v_add_nc_u32_e32 v40, 1, v20
	v_lshlrev_b64 v[42:43], 4, v[42:43]
	v_mov_b32_e32 v53, v21
	v_add_nc_u32_e32 v52, 2, v20
	v_lshlrev_b64 v[50:51], 4, v[50:51]
	v_lshlrev_b64 v[40:41], 4, v[40:41]
	s_cmp_eq_u32 s3, 8
	s_mov_b32 s6, -1
	v_lshlrev_b64 v[52:53], 4, v[52:53]
	v_add_co_u32 v44, vcc_lo, s14, v40
	v_add_co_ci_u32_e64 v45, null, s15, v41, vcc_lo
	v_add_co_u32 v58, vcc_lo, s12, v42
	v_add_co_ci_u32_e64 v59, null, s13, v43, vcc_lo
	global_load_dwordx4 v[38:41], v[38:39], off offset:16
	global_load_dwordx4 v[42:45], v[44:45], off
	global_load_dwordx4 v[46:49], v[58:59], off
	v_add_co_u32 v50, vcc_lo, s12, v50
	v_add_co_ci_u32_e64 v51, null, s13, v51, vcc_lo
	v_add_co_u32 v54, vcc_lo, s14, v52
	v_add_co_ci_u32_e64 v55, null, s15, v53, vcc_lo
	global_load_dwordx4 v[50:53], v[50:51], off
	global_load_dwordx4 v[54:57], v[54:55], off
	global_load_dwordx4 v[58:61], v[58:59], off offset:16
	s_waitcnt vmcnt(7)
	v_fma_f64 v[24:25], v[12:13], v[16:17], v[24:25]
	v_fma_f64 v[22:23], v[14:15], v[16:17], v[22:23]
	s_waitcnt vmcnt(6)
	v_fma_f64 v[26:27], v[34:35], v[16:17], v[26:27]
	v_fma_f64 v[16:17], v[36:37], v[16:17], v[28:29]
                                        ; implicit-def: $vgpr28_vgpr29
	v_fma_f64 v[14:15], -v[14:15], v[18:19], v[24:25]
	v_fma_f64 v[12:13], v[12:13], v[18:19], v[22:23]
	v_fma_f64 v[22:23], -v[36:37], v[18:19], v[26:27]
	v_fma_f64 v[16:17], v[34:35], v[18:19], v[16:17]
                                        ; implicit-def: $vgpr26_vgpr27
                                        ; implicit-def: $vgpr24_vgpr25
	s_waitcnt vmcnt(4)
	v_fma_f64 v[14:15], v[38:39], v[42:43], v[14:15]
	v_fma_f64 v[12:13], v[40:41], v[42:43], v[12:13]
	s_waitcnt vmcnt(3)
	v_fma_f64 v[18:19], v[46:47], v[42:43], v[22:23]
	v_fma_f64 v[16:17], v[48:49], v[42:43], v[16:17]
	v_fma_f64 v[14:15], -v[40:41], v[44:45], v[14:15]
	v_fma_f64 v[12:13], v[38:39], v[44:45], v[12:13]
	v_fma_f64 v[18:19], -v[48:49], v[44:45], v[18:19]
	v_fma_f64 v[16:17], v[46:47], v[44:45], v[16:17]
	s_waitcnt vmcnt(1)
	v_fma_f64 v[14:15], v[50:51], v[54:55], v[14:15]
	v_fma_f64 v[12:13], v[52:53], v[54:55], v[12:13]
	s_waitcnt vmcnt(0)
	v_fma_f64 v[18:19], v[58:59], v[54:55], v[18:19]
	v_fma_f64 v[22:23], v[60:61], v[54:55], v[16:17]
	v_fma_f64 v[14:15], -v[52:53], v[56:57], v[14:15]
	v_fma_f64 v[12:13], v[50:51], v[56:57], v[12:13]
	v_fma_f64 v[16:17], -v[60:61], v[56:57], v[18:19]
	v_fma_f64 v[18:19], v[58:59], v[56:57], v[22:23]
                                        ; implicit-def: $vgpr22_vgpr23
	s_cbranch_scc1 .LBB276_19
; %bb.21:                               ;   in Loop: Header=BB276_20 Depth=2
	v_add_nc_u32_e32 v20, 3, v20
	v_add_nc_u32_e32 v22, 3, v32
	v_mov_b32_e32 v23, v21
	s_add_i32 s3, s3, 4
	s_mov_b32 s6, 0
	v_lshlrev_b64 v[24:25], 4, v[20:21]
	v_add_nc_u32_e32 v20, 14, v32
	v_lshlrev_b64 v[22:23], 4, v[22:23]
	v_lshlrev_b64 v[26:27], 4, v[20:21]
	v_add_co_u32 v22, vcc_lo, s12, v22
	v_add_co_ci_u32_e64 v23, null, s13, v23, vcc_lo
	v_add_co_u32 v28, vcc_lo, s14, v24
	v_add_co_ci_u32_e64 v29, null, s15, v25, vcc_lo
	;; [unrolled: 2-line block ×3, first 2 shown]
	global_load_dwordx4 v[22:25], v[22:23], off
	global_load_dwordx4 v[26:29], v[28:29], off
	;; [unrolled: 1-line block ×3, first 2 shown]
	s_waitcnt vmcnt(1)
	v_fma_f64 v[38:39], v[22:23], v[26:27], v[14:15]
	v_fma_f64 v[40:41], v[24:25], v[26:27], v[12:13]
	s_waitcnt vmcnt(0)
	v_fma_f64 v[42:43], v[34:35], v[26:27], v[16:17]
	v_fma_f64 v[44:45], v[36:37], v[26:27], v[18:19]
	v_fma_f64 v[24:25], -v[24:25], v[28:29], v[38:39]
	v_fma_f64 v[22:23], v[22:23], v[28:29], v[40:41]
	v_fma_f64 v[26:27], -v[36:37], v[28:29], v[42:43]
	v_fma_f64 v[28:29], v[34:35], v[28:29], v[44:45]
	s_branch .LBB276_19
.LBB276_22:
	s_or_b32 exec_lo, exec_lo, s0
.LBB276_23:
	s_or_b32 exec_lo, exec_lo, s1
.LBB276_24:
	v_mbcnt_lo_u32_b32 v26, -1, 0
	v_xor_b32_e32 v10, 16, v26
	v_cmp_gt_i32_e32 vcc_lo, 32, v10
	v_cndmask_b32_e32 v10, v26, v10, vcc_lo
	v_lshlrev_b32_e32 v25, 2, v10
	ds_bpermute_b32 v10, v25, v14
	ds_bpermute_b32 v11, v25, v15
	;; [unrolled: 1-line block ×8, first 2 shown]
	s_waitcnt lgkmcnt(6)
	v_add_f64 v[10:11], v[14:15], v[10:11]
	s_waitcnt lgkmcnt(4)
	v_add_f64 v[12:13], v[12:13], v[20:21]
	v_xor_b32_e32 v20, 8, v26
	s_waitcnt lgkmcnt(2)
	v_add_f64 v[14:15], v[16:17], v[22:23]
	s_waitcnt lgkmcnt(0)
	v_add_f64 v[16:17], v[18:19], v[24:25]
	v_cmp_gt_i32_e32 vcc_lo, 32, v20
	v_cndmask_b32_e32 v18, v26, v20, vcc_lo
	v_lshlrev_b32_e32 v25, 2, v18
	ds_bpermute_b32 v18, v25, v10
	ds_bpermute_b32 v19, v25, v11
	;; [unrolled: 1-line block ×8, first 2 shown]
	s_waitcnt lgkmcnt(6)
	v_add_f64 v[10:11], v[10:11], v[18:19]
	v_xor_b32_e32 v18, 4, v26
	s_waitcnt lgkmcnt(4)
	v_add_f64 v[12:13], v[12:13], v[20:21]
	s_waitcnt lgkmcnt(2)
	v_add_f64 v[14:15], v[14:15], v[22:23]
	;; [unrolled: 2-line block ×3, first 2 shown]
	v_cmp_gt_i32_e32 vcc_lo, 32, v18
	v_cndmask_b32_e32 v18, v26, v18, vcc_lo
	v_lshlrev_b32_e32 v25, 2, v18
	ds_bpermute_b32 v18, v25, v10
	ds_bpermute_b32 v19, v25, v11
	;; [unrolled: 1-line block ×8, first 2 shown]
	s_waitcnt lgkmcnt(6)
	v_add_f64 v[10:11], v[10:11], v[18:19]
	s_waitcnt lgkmcnt(4)
	v_add_f64 v[12:13], v[12:13], v[20:21]
	;; [unrolled: 2-line block ×4, first 2 shown]
	v_xor_b32_e32 v16, 2, v26
	v_cmp_gt_i32_e32 vcc_lo, 32, v16
	v_cndmask_b32_e32 v16, v26, v16, vcc_lo
	v_lshlrev_b32_e32 v25, 2, v16
	ds_bpermute_b32 v16, v25, v10
	ds_bpermute_b32 v17, v25, v11
	;; [unrolled: 1-line block ×8, first 2 shown]
	s_waitcnt lgkmcnt(6)
	v_add_f64 v[10:11], v[10:11], v[16:17]
	s_waitcnt lgkmcnt(4)
	v_add_f64 v[16:17], v[12:13], v[20:21]
	s_waitcnt lgkmcnt(2)
	v_add_f64 v[12:13], v[14:15], v[22:23]
	s_waitcnt lgkmcnt(0)
	v_add_f64 v[14:15], v[18:19], v[24:25]
	v_xor_b32_e32 v18, 1, v26
	v_cmp_gt_i32_e32 vcc_lo, 32, v18
	v_cndmask_b32_e32 v18, v26, v18, vcc_lo
	v_cmp_eq_u32_e32 vcc_lo, 31, v0
	v_lshlrev_b32_e32 v21, 2, v18
	ds_bpermute_b32 v24, v21, v10
	ds_bpermute_b32 v25, v21, v11
	;; [unrolled: 1-line block ×8, first 2 shown]
	s_and_b32 exec_lo, exec_lo, vcc_lo
	s_cbranch_execz .LBB276_29
; %bb.25:
	v_cmp_eq_f64_e32 vcc_lo, 0, v[5:6]
	v_cmp_eq_f64_e64 s0, 0, v[7:8]
	s_waitcnt lgkmcnt(6)
	v_add_f64 v[10:11], v[10:11], v[24:25]
	s_waitcnt lgkmcnt(4)
	v_add_f64 v[16:17], v[16:17], v[22:23]
	;; [unrolled: 2-line block ×4, first 2 shown]
	s_load_dwordx2 s[2:3], s[4:5], 0x48
	s_and_b32 s0, vcc_lo, s0
	s_and_saveexec_b32 s1, s0
	s_xor_b32 s0, exec_lo, s1
	s_cbranch_execz .LBB276_27
; %bb.26:
	v_mul_f64 v[5:6], v[16:17], -v[3:4]
	v_mul_f64 v[7:8], v[1:2], v[16:17]
	v_mul_f64 v[16:17], v[14:15], -v[3:4]
	v_mul_f64 v[14:15], v[1:2], v[14:15]
	v_lshlrev_b32_e32 v9, 1, v9
	v_fma_f64 v[5:6], v[1:2], v[10:11], v[5:6]
	v_fma_f64 v[7:8], v[3:4], v[10:11], v[7:8]
	v_fma_f64 v[0:1], v[1:2], v[12:13], v[16:17]
	v_fma_f64 v[2:3], v[3:4], v[12:13], v[14:15]
	v_ashrrev_i32_e32 v10, 31, v9
                                        ; implicit-def: $vgpr16_vgpr17
                                        ; implicit-def: $vgpr12_vgpr13
                                        ; implicit-def: $vgpr14_vgpr15
	v_lshlrev_b64 v[9:10], 4, v[9:10]
	s_waitcnt lgkmcnt(0)
	v_add_co_u32 v9, vcc_lo, s2, v9
	v_add_co_ci_u32_e64 v10, null, s3, v10, vcc_lo
	global_store_dwordx4 v[9:10], v[5:8], off
	global_store_dwordx4 v[9:10], v[0:3], off offset:16
                                        ; implicit-def: $vgpr9
                                        ; implicit-def: $vgpr10_vgpr11
                                        ; implicit-def: $vgpr7_vgpr8
                                        ; implicit-def: $vgpr3_vgpr4
.LBB276_27:
	s_andn2_saveexec_b32 s0, s0
	s_cbranch_execz .LBB276_29
; %bb.28:
	v_lshlrev_b32_e32 v18, 1, v9
	v_mul_f64 v[28:29], v[16:17], -v[3:4]
	v_mul_f64 v[16:17], v[1:2], v[16:17]
	v_mul_f64 v[30:31], v[14:15], -v[3:4]
	v_mul_f64 v[14:15], v[1:2], v[14:15]
	v_ashrrev_i32_e32 v19, 31, v18
	v_lshlrev_b64 v[18:19], 4, v[18:19]
	s_waitcnt lgkmcnt(0)
	v_add_co_u32 v26, vcc_lo, s2, v18
	v_add_co_ci_u32_e64 v27, null, s3, v19, vcc_lo
	s_clause 0x1
	global_load_dwordx4 v[18:21], v[26:27], off
	global_load_dwordx4 v[22:25], v[26:27], off offset:16
	v_fma_f64 v[28:29], v[1:2], v[10:11], v[28:29]
	v_fma_f64 v[9:10], v[3:4], v[10:11], v[16:17]
	;; [unrolled: 1-line block ×4, first 2 shown]
	s_waitcnt vmcnt(1)
	v_fma_f64 v[11:12], v[5:6], v[18:19], v[28:29]
	v_fma_f64 v[9:10], v[7:8], v[18:19], v[9:10]
	s_waitcnt vmcnt(0)
	v_fma_f64 v[13:14], v[5:6], v[22:23], v[0:1]
	v_fma_f64 v[15:16], v[7:8], v[22:23], v[2:3]
	v_fma_f64 v[0:1], -v[7:8], v[20:21], v[11:12]
	v_fma_f64 v[2:3], v[5:6], v[20:21], v[9:10]
	v_fma_f64 v[7:8], -v[7:8], v[24:25], v[13:14]
	v_fma_f64 v[9:10], v[5:6], v[24:25], v[15:16]
	global_store_dwordx4 v[26:27], v[0:3], off
	global_store_dwordx4 v[26:27], v[7:10], off offset:16
.LBB276_29:
	s_endpgm
	.section	.rodata,"a",@progbits
	.p2align	6, 0x0
	.amdhsa_kernel _ZN9rocsparseL19gebsrmvn_2xn_kernelILj128ELj11ELj32E21rocsparse_complex_numIdEEEvi20rocsparse_direction_NS_24const_host_device_scalarIT2_EEPKiS8_PKS5_SA_S6_PS5_21rocsparse_index_base_b
		.amdhsa_group_segment_fixed_size 0
		.amdhsa_private_segment_fixed_size 0
		.amdhsa_kernarg_size 88
		.amdhsa_user_sgpr_count 6
		.amdhsa_user_sgpr_private_segment_buffer 1
		.amdhsa_user_sgpr_dispatch_ptr 0
		.amdhsa_user_sgpr_queue_ptr 0
		.amdhsa_user_sgpr_kernarg_segment_ptr 1
		.amdhsa_user_sgpr_dispatch_id 0
		.amdhsa_user_sgpr_flat_scratch_init 0
		.amdhsa_user_sgpr_private_segment_size 0
		.amdhsa_wavefront_size32 1
		.amdhsa_uses_dynamic_stack 0
		.amdhsa_system_sgpr_private_segment_wavefront_offset 0
		.amdhsa_system_sgpr_workgroup_id_x 1
		.amdhsa_system_sgpr_workgroup_id_y 0
		.amdhsa_system_sgpr_workgroup_id_z 0
		.amdhsa_system_sgpr_workgroup_info 0
		.amdhsa_system_vgpr_workitem_id 0
		.amdhsa_next_free_vgpr 64
		.amdhsa_next_free_sgpr 16
		.amdhsa_reserve_vcc 1
		.amdhsa_reserve_flat_scratch 0
		.amdhsa_float_round_mode_32 0
		.amdhsa_float_round_mode_16_64 0
		.amdhsa_float_denorm_mode_32 3
		.amdhsa_float_denorm_mode_16_64 3
		.amdhsa_dx10_clamp 1
		.amdhsa_ieee_mode 1
		.amdhsa_fp16_overflow 0
		.amdhsa_workgroup_processor_mode 1
		.amdhsa_memory_ordered 1
		.amdhsa_forward_progress 1
		.amdhsa_shared_vgpr_count 0
		.amdhsa_exception_fp_ieee_invalid_op 0
		.amdhsa_exception_fp_denorm_src 0
		.amdhsa_exception_fp_ieee_div_zero 0
		.amdhsa_exception_fp_ieee_overflow 0
		.amdhsa_exception_fp_ieee_underflow 0
		.amdhsa_exception_fp_ieee_inexact 0
		.amdhsa_exception_int_div_zero 0
	.end_amdhsa_kernel
	.section	.text._ZN9rocsparseL19gebsrmvn_2xn_kernelILj128ELj11ELj32E21rocsparse_complex_numIdEEEvi20rocsparse_direction_NS_24const_host_device_scalarIT2_EEPKiS8_PKS5_SA_S6_PS5_21rocsparse_index_base_b,"axG",@progbits,_ZN9rocsparseL19gebsrmvn_2xn_kernelILj128ELj11ELj32E21rocsparse_complex_numIdEEEvi20rocsparse_direction_NS_24const_host_device_scalarIT2_EEPKiS8_PKS5_SA_S6_PS5_21rocsparse_index_base_b,comdat
.Lfunc_end276:
	.size	_ZN9rocsparseL19gebsrmvn_2xn_kernelILj128ELj11ELj32E21rocsparse_complex_numIdEEEvi20rocsparse_direction_NS_24const_host_device_scalarIT2_EEPKiS8_PKS5_SA_S6_PS5_21rocsparse_index_base_b, .Lfunc_end276-_ZN9rocsparseL19gebsrmvn_2xn_kernelILj128ELj11ELj32E21rocsparse_complex_numIdEEEvi20rocsparse_direction_NS_24const_host_device_scalarIT2_EEPKiS8_PKS5_SA_S6_PS5_21rocsparse_index_base_b
                                        ; -- End function
	.set _ZN9rocsparseL19gebsrmvn_2xn_kernelILj128ELj11ELj32E21rocsparse_complex_numIdEEEvi20rocsparse_direction_NS_24const_host_device_scalarIT2_EEPKiS8_PKS5_SA_S6_PS5_21rocsparse_index_base_b.num_vgpr, 64
	.set _ZN9rocsparseL19gebsrmvn_2xn_kernelILj128ELj11ELj32E21rocsparse_complex_numIdEEEvi20rocsparse_direction_NS_24const_host_device_scalarIT2_EEPKiS8_PKS5_SA_S6_PS5_21rocsparse_index_base_b.num_agpr, 0
	.set _ZN9rocsparseL19gebsrmvn_2xn_kernelILj128ELj11ELj32E21rocsparse_complex_numIdEEEvi20rocsparse_direction_NS_24const_host_device_scalarIT2_EEPKiS8_PKS5_SA_S6_PS5_21rocsparse_index_base_b.numbered_sgpr, 16
	.set _ZN9rocsparseL19gebsrmvn_2xn_kernelILj128ELj11ELj32E21rocsparse_complex_numIdEEEvi20rocsparse_direction_NS_24const_host_device_scalarIT2_EEPKiS8_PKS5_SA_S6_PS5_21rocsparse_index_base_b.num_named_barrier, 0
	.set _ZN9rocsparseL19gebsrmvn_2xn_kernelILj128ELj11ELj32E21rocsparse_complex_numIdEEEvi20rocsparse_direction_NS_24const_host_device_scalarIT2_EEPKiS8_PKS5_SA_S6_PS5_21rocsparse_index_base_b.private_seg_size, 0
	.set _ZN9rocsparseL19gebsrmvn_2xn_kernelILj128ELj11ELj32E21rocsparse_complex_numIdEEEvi20rocsparse_direction_NS_24const_host_device_scalarIT2_EEPKiS8_PKS5_SA_S6_PS5_21rocsparse_index_base_b.uses_vcc, 1
	.set _ZN9rocsparseL19gebsrmvn_2xn_kernelILj128ELj11ELj32E21rocsparse_complex_numIdEEEvi20rocsparse_direction_NS_24const_host_device_scalarIT2_EEPKiS8_PKS5_SA_S6_PS5_21rocsparse_index_base_b.uses_flat_scratch, 0
	.set _ZN9rocsparseL19gebsrmvn_2xn_kernelILj128ELj11ELj32E21rocsparse_complex_numIdEEEvi20rocsparse_direction_NS_24const_host_device_scalarIT2_EEPKiS8_PKS5_SA_S6_PS5_21rocsparse_index_base_b.has_dyn_sized_stack, 0
	.set _ZN9rocsparseL19gebsrmvn_2xn_kernelILj128ELj11ELj32E21rocsparse_complex_numIdEEEvi20rocsparse_direction_NS_24const_host_device_scalarIT2_EEPKiS8_PKS5_SA_S6_PS5_21rocsparse_index_base_b.has_recursion, 0
	.set _ZN9rocsparseL19gebsrmvn_2xn_kernelILj128ELj11ELj32E21rocsparse_complex_numIdEEEvi20rocsparse_direction_NS_24const_host_device_scalarIT2_EEPKiS8_PKS5_SA_S6_PS5_21rocsparse_index_base_b.has_indirect_call, 0
	.section	.AMDGPU.csdata,"",@progbits
; Kernel info:
; codeLenInByte = 3216
; TotalNumSgprs: 18
; NumVgprs: 64
; ScratchSize: 0
; MemoryBound: 0
; FloatMode: 240
; IeeeMode: 1
; LDSByteSize: 0 bytes/workgroup (compile time only)
; SGPRBlocks: 0
; VGPRBlocks: 7
; NumSGPRsForWavesPerEU: 18
; NumVGPRsForWavesPerEU: 64
; Occupancy: 16
; WaveLimiterHint : 1
; COMPUTE_PGM_RSRC2:SCRATCH_EN: 0
; COMPUTE_PGM_RSRC2:USER_SGPR: 6
; COMPUTE_PGM_RSRC2:TRAP_HANDLER: 0
; COMPUTE_PGM_RSRC2:TGID_X_EN: 1
; COMPUTE_PGM_RSRC2:TGID_Y_EN: 0
; COMPUTE_PGM_RSRC2:TGID_Z_EN: 0
; COMPUTE_PGM_RSRC2:TIDIG_COMP_CNT: 0
	.section	.text._ZN9rocsparseL19gebsrmvn_2xn_kernelILj128ELj11ELj64E21rocsparse_complex_numIdEEEvi20rocsparse_direction_NS_24const_host_device_scalarIT2_EEPKiS8_PKS5_SA_S6_PS5_21rocsparse_index_base_b,"axG",@progbits,_ZN9rocsparseL19gebsrmvn_2xn_kernelILj128ELj11ELj64E21rocsparse_complex_numIdEEEvi20rocsparse_direction_NS_24const_host_device_scalarIT2_EEPKiS8_PKS5_SA_S6_PS5_21rocsparse_index_base_b,comdat
	.globl	_ZN9rocsparseL19gebsrmvn_2xn_kernelILj128ELj11ELj64E21rocsparse_complex_numIdEEEvi20rocsparse_direction_NS_24const_host_device_scalarIT2_EEPKiS8_PKS5_SA_S6_PS5_21rocsparse_index_base_b ; -- Begin function _ZN9rocsparseL19gebsrmvn_2xn_kernelILj128ELj11ELj64E21rocsparse_complex_numIdEEEvi20rocsparse_direction_NS_24const_host_device_scalarIT2_EEPKiS8_PKS5_SA_S6_PS5_21rocsparse_index_base_b
	.p2align	8
	.type	_ZN9rocsparseL19gebsrmvn_2xn_kernelILj128ELj11ELj64E21rocsparse_complex_numIdEEEvi20rocsparse_direction_NS_24const_host_device_scalarIT2_EEPKiS8_PKS5_SA_S6_PS5_21rocsparse_index_base_b,@function
_ZN9rocsparseL19gebsrmvn_2xn_kernelILj128ELj11ELj64E21rocsparse_complex_numIdEEEvi20rocsparse_direction_NS_24const_host_device_scalarIT2_EEPKiS8_PKS5_SA_S6_PS5_21rocsparse_index_base_b: ; @_ZN9rocsparseL19gebsrmvn_2xn_kernelILj128ELj11ELj64E21rocsparse_complex_numIdEEEvi20rocsparse_direction_NS_24const_host_device_scalarIT2_EEPKiS8_PKS5_SA_S6_PS5_21rocsparse_index_base_b
; %bb.0:
	s_clause 0x1
	s_load_dwordx2 s[2:3], s[4:5], 0x50
	s_load_dwordx2 s[0:1], s[4:5], 0x8
	s_add_u32 s7, s4, 8
	s_addc_u32 s10, s5, 0
	s_add_u32 s11, s4, 56
	s_addc_u32 s12, s5, 0
	s_load_dwordx2 s[8:9], s[4:5], 0x38
	s_waitcnt lgkmcnt(0)
	s_bitcmp1_b32 s3, 0
	s_cselect_b32 s0, s7, s0
	s_cselect_b32 s1, s10, s1
	v_mov_b32_e32 v1, s0
	v_mov_b32_e32 v2, s1
	s_cselect_b32 s0, s11, s8
	s_cselect_b32 s1, s12, s9
	v_mov_b32_e32 v5, s0
	v_mov_b32_e32 v6, s1
	flat_load_dwordx4 v[1:4], v[1:2]
	flat_load_dwordx4 v[5:8], v[5:6]
	s_waitcnt vmcnt(1) lgkmcnt(1)
	v_cmp_eq_f64_e32 vcc_lo, 0, v[1:2]
	v_cmp_eq_f64_e64 s0, 0, v[3:4]
	s_and_b32 s3, vcc_lo, s0
	s_mov_b32 s0, -1
	s_and_saveexec_b32 s1, s3
	s_cbranch_execz .LBB277_2
; %bb.1:
	s_waitcnt vmcnt(0) lgkmcnt(0)
	v_cmp_neq_f64_e32 vcc_lo, 1.0, v[5:6]
	v_cmp_neq_f64_e64 s0, 0, v[7:8]
	s_or_b32 s0, vcc_lo, s0
	s_orn2_b32 s0, s0, exec_lo
.LBB277_2:
	s_or_b32 exec_lo, exec_lo, s1
	s_and_saveexec_b32 s1, s0
	s_cbranch_execz .LBB277_29
; %bb.3:
	s_load_dwordx2 s[0:1], s[4:5], 0x0
	v_lshrrev_b32_e32 v9, 6, v0
	v_lshl_or_b32 v9, s6, 1, v9
	s_waitcnt lgkmcnt(0)
	v_cmp_gt_i32_e32 vcc_lo, s0, v9
	s_and_b32 exec_lo, exec_lo, vcc_lo
	s_cbranch_execz .LBB277_29
; %bb.4:
	s_load_dwordx8 s[8:15], s[4:5], 0x18
	v_ashrrev_i32_e32 v10, 31, v9
	v_and_b32_e32 v0, 63, v0
	s_cmp_lg_u32 s1, 0
	v_lshlrev_b64 v[10:11], 2, v[9:10]
	s_waitcnt lgkmcnt(0)
	v_add_co_u32 v10, vcc_lo, s8, v10
	v_add_co_ci_u32_e64 v11, null, s9, v11, vcc_lo
	global_load_dwordx2 v[11:12], v[10:11], off
	s_waitcnt vmcnt(0)
	v_subrev_nc_u32_e32 v10, s2, v11
	v_subrev_nc_u32_e32 v33, s2, v12
	v_add_nc_u32_e32 v10, v10, v0
	v_cmp_lt_i32_e64 s0, v10, v33
	s_cbranch_scc0 .LBB277_12
; %bb.5:
	v_mov_b32_e32 v12, 0
	v_mov_b32_e32 v14, 0
	;; [unrolled: 1-line block ×8, first 2 shown]
	s_and_saveexec_b32 s1, s0
	s_cbranch_execz .LBB277_14
; %bb.6:
	v_mul_lo_u32 v14, v11, 22
	v_mul_lo_u32 v34, v10, 22
	s_mul_i32 s3, s2, 22
	v_mov_b32_e32 v12, 0
	v_mov_b32_e32 v16, 0
	;; [unrolled: 1-line block ×5, first 2 shown]
	v_mad_u32_u24 v20, v0, 22, v14
	v_mov_b32_e32 v14, 0
	v_mov_b32_e32 v15, 0
	;; [unrolled: 1-line block ×4, first 2 shown]
	v_subrev_nc_u32_e32 v35, s3, v20
	v_mov_b32_e32 v22, v10
	s_mov_b32 s3, 0
	s_branch .LBB277_8
.LBB277_7:                              ;   in Loop: Header=BB277_8 Depth=1
	v_add_nc_u32_e32 v22, 64, v22
	v_add_nc_u32_e32 v34, 0x580, v34
	;; [unrolled: 1-line block ×3, first 2 shown]
	v_cmp_ge_i32_e32 vcc_lo, v22, v33
	s_or_b32 s3, vcc_lo, s3
	s_andn2_b32 exec_lo, exec_lo, s3
	s_cbranch_execz .LBB277_13
.LBB277_8:                              ; =>This Loop Header: Depth=1
                                        ;     Child Loop BB277_10 Depth 2
	v_ashrrev_i32_e32 v23, 31, v22
	v_mov_b32_e32 v26, v13
	v_mov_b32_e32 v28, v15
	;; [unrolled: 1-line block ×4, first 2 shown]
	v_lshlrev_b64 v[23:24], 2, v[22:23]
	v_mov_b32_e32 v25, v12
	v_mov_b32_e32 v27, v14
	;; [unrolled: 1-line block ×4, first 2 shown]
	s_mov_b32 s6, 0
	v_add_co_u32 v23, vcc_lo, s10, v23
	v_add_co_ci_u32_e64 v24, null, s11, v24, vcc_lo
	global_load_dword v20, v[23:24], off
	s_waitcnt vmcnt(0)
	v_subrev_nc_u32_e32 v20, s2, v20
	v_mul_lo_u32 v23, v20, 11
	s_branch .LBB277_10
.LBB277_9:                              ;   in Loop: Header=BB277_8 Depth=1
                                        ; implicit-def: $vgpr31_vgpr32
                                        ; implicit-def: $vgpr29_vgpr30
                                        ; implicit-def: $vgpr27_vgpr28
                                        ; implicit-def: $vgpr25_vgpr26
                                        ; implicit-def: $sgpr6
                                        ; implicit-def: $vgpr23
	s_branch .LBB277_7
.LBB277_10:                             ;   Parent Loop BB277_8 Depth=1
                                        ; =>  This Inner Loop Header: Depth=2
	v_mov_b32_e32 v24, v21
	v_add_nc_u32_e32 v20, s6, v35
	s_cmp_eq_u32 s6, 16
	v_lshlrev_b64 v[12:13], 4, v[23:24]
	v_lshlrev_b64 v[14:15], 4, v[20:21]
	v_add_nc_u32_e32 v24, s6, v34
	v_add_co_u32 v12, vcc_lo, s14, v12
	v_add_co_ci_u32_e64 v13, null, s15, v13, vcc_lo
	v_add_co_u32 v36, vcc_lo, s12, v14
	v_add_co_ci_u32_e64 v37, null, s13, v15, vcc_lo
	global_load_dwordx4 v[12:15], v[12:13], off
	s_clause 0x1
	global_load_dwordx4 v[16:19], v[36:37], off
	global_load_dwordx4 v[36:39], v[36:37], off offset:16
	v_add_nc_u32_e32 v20, 2, v24
	v_lshlrev_b64 v[40:41], 4, v[20:21]
	v_add_nc_u32_e32 v20, 1, v23
	v_lshlrev_b64 v[42:43], 4, v[20:21]
	v_add_nc_u32_e32 v20, 4, v24
	v_add_co_u32 v42, vcc_lo, s14, v42
	v_add_co_ci_u32_e64 v43, null, s15, v43, vcc_lo
	v_add_co_u32 v48, vcc_lo, s12, v40
	v_add_co_ci_u32_e64 v49, null, s13, v41, vcc_lo
	global_load_dwordx4 v[40:43], v[42:43], off
	s_clause 0x1
	global_load_dwordx4 v[44:47], v[48:49], off
	global_load_dwordx4 v[48:51], v[48:49], off offset:16
	v_lshlrev_b64 v[52:53], 4, v[20:21]
	v_add_nc_u32_e32 v20, 2, v23
	v_lshlrev_b64 v[54:55], 4, v[20:21]
	v_add_co_u32 v54, vcc_lo, s14, v54
	v_add_co_ci_u32_e64 v55, null, s15, v55, vcc_lo
	v_add_co_u32 v60, vcc_lo, s12, v52
	v_add_co_ci_u32_e64 v61, null, s13, v53, vcc_lo
	global_load_dwordx4 v[52:55], v[54:55], off
	s_clause 0x1
	global_load_dwordx4 v[56:59], v[60:61], off
	global_load_dwordx4 v[60:63], v[60:61], off offset:16
	s_waitcnt vmcnt(7)
	v_fma_f64 v[27:28], v[16:17], v[12:13], v[27:28]
	v_fma_f64 v[25:26], v[18:19], v[12:13], v[25:26]
	s_waitcnt vmcnt(6)
	v_fma_f64 v[29:30], v[36:37], v[12:13], v[29:30]
	v_fma_f64 v[12:13], v[38:39], v[12:13], v[31:32]
	v_fma_f64 v[18:19], -v[18:19], v[14:15], v[27:28]
	v_fma_f64 v[16:17], v[16:17], v[14:15], v[25:26]
	v_fma_f64 v[25:26], -v[38:39], v[14:15], v[29:30]
	v_fma_f64 v[12:13], v[36:37], v[14:15], v[12:13]
	s_waitcnt vmcnt(4)
	v_fma_f64 v[14:15], v[44:45], v[40:41], v[18:19]
	v_fma_f64 v[16:17], v[46:47], v[40:41], v[16:17]
	s_waitcnt vmcnt(3)
	v_fma_f64 v[18:19], v[48:49], v[40:41], v[25:26]
	v_fma_f64 v[12:13], v[50:51], v[40:41], v[12:13]
	v_fma_f64 v[14:15], -v[46:47], v[42:43], v[14:15]
	v_fma_f64 v[16:17], v[44:45], v[42:43], v[16:17]
	v_fma_f64 v[18:19], -v[50:51], v[42:43], v[18:19]
	v_fma_f64 v[12:13], v[48:49], v[42:43], v[12:13]
	;; [unrolled: 10-line block ×3, first 2 shown]
	s_cbranch_scc1 .LBB277_9
; %bb.11:                               ;   in Loop: Header=BB277_10 Depth=2
	v_add_nc_u32_e32 v20, 6, v24
	s_add_i32 s6, s6, 8
	v_lshlrev_b64 v[24:25], 4, v[20:21]
	v_add_nc_u32_e32 v20, 3, v23
	v_add_nc_u32_e32 v23, 4, v23
	v_lshlrev_b64 v[26:27], 4, v[20:21]
	v_add_co_u32 v26, vcc_lo, s14, v26
	v_add_co_ci_u32_e64 v27, null, s15, v27, vcc_lo
	v_add_co_u32 v36, vcc_lo, s12, v24
	v_add_co_ci_u32_e64 v37, null, s13, v25, vcc_lo
	global_load_dwordx4 v[29:32], v[26:27], off
	s_clause 0x1
	global_load_dwordx4 v[24:27], v[36:37], off
	global_load_dwordx4 v[36:39], v[36:37], off offset:16
	s_waitcnt vmcnt(1)
	v_fma_f64 v[40:41], v[24:25], v[29:30], v[14:15]
	v_fma_f64 v[42:43], v[26:27], v[29:30], v[12:13]
	s_waitcnt vmcnt(0)
	v_fma_f64 v[44:45], v[36:37], v[29:30], v[16:17]
	v_fma_f64 v[46:47], v[38:39], v[29:30], v[18:19]
	v_fma_f64 v[27:28], -v[26:27], v[31:32], v[40:41]
	v_fma_f64 v[25:26], v[24:25], v[31:32], v[42:43]
	v_fma_f64 v[29:30], -v[38:39], v[31:32], v[44:45]
	v_fma_f64 v[31:32], v[36:37], v[31:32], v[46:47]
	s_cbranch_execnz .LBB277_10
	s_branch .LBB277_7
.LBB277_12:
                                        ; implicit-def: $vgpr12_vgpr13
                                        ; implicit-def: $vgpr14_vgpr15
                                        ; implicit-def: $vgpr16_vgpr17
                                        ; implicit-def: $vgpr18_vgpr19
	s_branch .LBB277_15
.LBB277_13:
	s_or_b32 exec_lo, exec_lo, s3
.LBB277_14:
	s_or_b32 exec_lo, exec_lo, s1
	s_cbranch_execnz .LBB277_24
.LBB277_15:
	v_mov_b32_e32 v12, 0
	v_mov_b32_e32 v14, 0
	;; [unrolled: 1-line block ×8, first 2 shown]
	s_and_saveexec_b32 s1, s0
	s_cbranch_execz .LBB277_23
; %bb.16:
	v_mul_lo_u32 v11, v11, 22
	v_mul_lo_u32 v30, v10, 22
	s_mul_i32 s0, s2, 22
	v_mov_b32_e32 v12, 0
	v_mov_b32_e32 v14, 0
	v_mov_b32_e32 v16, 0
	v_mov_b32_e32 v18, 0
	v_mov_b32_e32 v13, 0
	v_mad_u32_u24 v11, v0, 22, v11
	v_mov_b32_e32 v15, 0
	v_mov_b32_e32 v17, 0
	;; [unrolled: 1-line block ×4, first 2 shown]
	v_subrev_nc_u32_e32 v31, s0, v11
	s_mov_b32 s0, 0
	s_branch .LBB277_18
.LBB277_17:                             ;   in Loop: Header=BB277_18 Depth=1
	v_add_nc_u32_e32 v10, 64, v10
	v_add_nc_u32_e32 v30, 0x580, v30
	;; [unrolled: 1-line block ×3, first 2 shown]
	v_cmp_ge_i32_e32 vcc_lo, v10, v33
	s_or_b32 s0, vcc_lo, s0
	s_andn2_b32 exec_lo, exec_lo, s0
	s_cbranch_execz .LBB277_22
.LBB277_18:                             ; =>This Loop Header: Depth=1
                                        ;     Child Loop BB277_20 Depth 2
	v_ashrrev_i32_e32 v11, 31, v10
	v_mov_b32_e32 v25, v15
	v_mov_b32_e32 v27, v17
	;; [unrolled: 1-line block ×4, first 2 shown]
	v_lshlrev_b64 v[22:23], 2, v[10:11]
	v_mov_b32_e32 v26, v16
	v_mov_b32_e32 v28, v18
	s_mov_b32 s3, 0
	v_add_co_u32 v22, vcc_lo, s10, v22
	v_add_co_ci_u32_e64 v23, null, s11, v23, vcc_lo
	global_load_dword v11, v[22:23], off
	v_mov_b32_e32 v23, v13
	v_mov_b32_e32 v22, v12
	s_waitcnt vmcnt(0)
	v_subrev_nc_u32_e32 v11, s2, v11
	v_mul_lo_u32 v11, v11, 11
	s_branch .LBB277_20
.LBB277_19:                             ;   in Loop: Header=BB277_20 Depth=2
	s_andn2_b32 vcc_lo, exec_lo, s6
	s_cbranch_vccz .LBB277_17
.LBB277_20:                             ;   Parent Loop BB277_18 Depth=1
                                        ; =>  This Inner Loop Header: Depth=2
	v_add_nc_u32_e32 v20, s3, v31
	v_add_nc_u32_e32 v32, s3, v30
	v_mov_b32_e32 v13, v21
	v_mov_b32_e32 v41, v21
	;; [unrolled: 1-line block ×3, first 2 shown]
	v_lshlrev_b64 v[14:15], 4, v[20:21]
	v_add_nc_u32_e32 v20, s3, v11
	v_add_nc_u32_e32 v12, 11, v32
	v_add_nc_u32_e32 v42, 12, v32
	v_mov_b32_e32 v51, v21
	v_add_nc_u32_e32 v50, 2, v32
	v_lshlrev_b64 v[16:17], 4, v[20:21]
	v_lshlrev_b64 v[12:13], 4, v[12:13]
	v_add_co_u32 v38, vcc_lo, s12, v14
	v_add_co_ci_u32_e64 v39, null, s13, v15, vcc_lo
	v_add_co_u32 v16, vcc_lo, s14, v16
	v_add_co_ci_u32_e64 v17, null, s15, v17, vcc_lo
	;; [unrolled: 2-line block ×3, first 2 shown]
	global_load_dwordx4 v[12:15], v[38:39], off
	global_load_dwordx4 v[16:19], v[16:17], off
	;; [unrolled: 1-line block ×3, first 2 shown]
	v_add_nc_u32_e32 v40, 1, v20
	v_lshlrev_b64 v[42:43], 4, v[42:43]
	v_mov_b32_e32 v53, v21
	v_add_nc_u32_e32 v52, 2, v20
	v_lshlrev_b64 v[50:51], 4, v[50:51]
	v_lshlrev_b64 v[40:41], 4, v[40:41]
	s_cmp_eq_u32 s3, 8
	s_mov_b32 s6, -1
	v_lshlrev_b64 v[52:53], 4, v[52:53]
	v_add_co_u32 v44, vcc_lo, s14, v40
	v_add_co_ci_u32_e64 v45, null, s15, v41, vcc_lo
	v_add_co_u32 v58, vcc_lo, s12, v42
	v_add_co_ci_u32_e64 v59, null, s13, v43, vcc_lo
	global_load_dwordx4 v[38:41], v[38:39], off offset:16
	global_load_dwordx4 v[42:45], v[44:45], off
	global_load_dwordx4 v[46:49], v[58:59], off
	v_add_co_u32 v50, vcc_lo, s12, v50
	v_add_co_ci_u32_e64 v51, null, s13, v51, vcc_lo
	v_add_co_u32 v54, vcc_lo, s14, v52
	v_add_co_ci_u32_e64 v55, null, s15, v53, vcc_lo
	global_load_dwordx4 v[50:53], v[50:51], off
	global_load_dwordx4 v[54:57], v[54:55], off
	global_load_dwordx4 v[58:61], v[58:59], off offset:16
	s_waitcnt vmcnt(7)
	v_fma_f64 v[24:25], v[12:13], v[16:17], v[24:25]
	v_fma_f64 v[22:23], v[14:15], v[16:17], v[22:23]
	s_waitcnt vmcnt(6)
	v_fma_f64 v[26:27], v[34:35], v[16:17], v[26:27]
	v_fma_f64 v[16:17], v[36:37], v[16:17], v[28:29]
                                        ; implicit-def: $vgpr28_vgpr29
	v_fma_f64 v[14:15], -v[14:15], v[18:19], v[24:25]
	v_fma_f64 v[12:13], v[12:13], v[18:19], v[22:23]
	v_fma_f64 v[22:23], -v[36:37], v[18:19], v[26:27]
	v_fma_f64 v[16:17], v[34:35], v[18:19], v[16:17]
                                        ; implicit-def: $vgpr26_vgpr27
                                        ; implicit-def: $vgpr24_vgpr25
	s_waitcnt vmcnt(4)
	v_fma_f64 v[14:15], v[38:39], v[42:43], v[14:15]
	v_fma_f64 v[12:13], v[40:41], v[42:43], v[12:13]
	s_waitcnt vmcnt(3)
	v_fma_f64 v[18:19], v[46:47], v[42:43], v[22:23]
	v_fma_f64 v[16:17], v[48:49], v[42:43], v[16:17]
	v_fma_f64 v[14:15], -v[40:41], v[44:45], v[14:15]
	v_fma_f64 v[12:13], v[38:39], v[44:45], v[12:13]
	v_fma_f64 v[18:19], -v[48:49], v[44:45], v[18:19]
	v_fma_f64 v[16:17], v[46:47], v[44:45], v[16:17]
	s_waitcnt vmcnt(1)
	v_fma_f64 v[14:15], v[50:51], v[54:55], v[14:15]
	v_fma_f64 v[12:13], v[52:53], v[54:55], v[12:13]
	s_waitcnt vmcnt(0)
	v_fma_f64 v[18:19], v[58:59], v[54:55], v[18:19]
	v_fma_f64 v[22:23], v[60:61], v[54:55], v[16:17]
	v_fma_f64 v[14:15], -v[52:53], v[56:57], v[14:15]
	v_fma_f64 v[12:13], v[50:51], v[56:57], v[12:13]
	v_fma_f64 v[16:17], -v[60:61], v[56:57], v[18:19]
	v_fma_f64 v[18:19], v[58:59], v[56:57], v[22:23]
                                        ; implicit-def: $vgpr22_vgpr23
	s_cbranch_scc1 .LBB277_19
; %bb.21:                               ;   in Loop: Header=BB277_20 Depth=2
	v_add_nc_u32_e32 v20, 3, v20
	v_add_nc_u32_e32 v22, 3, v32
	v_mov_b32_e32 v23, v21
	s_add_i32 s3, s3, 4
	s_mov_b32 s6, 0
	v_lshlrev_b64 v[24:25], 4, v[20:21]
	v_add_nc_u32_e32 v20, 14, v32
	v_lshlrev_b64 v[22:23], 4, v[22:23]
	v_lshlrev_b64 v[26:27], 4, v[20:21]
	v_add_co_u32 v22, vcc_lo, s12, v22
	v_add_co_ci_u32_e64 v23, null, s13, v23, vcc_lo
	v_add_co_u32 v28, vcc_lo, s14, v24
	v_add_co_ci_u32_e64 v29, null, s15, v25, vcc_lo
	;; [unrolled: 2-line block ×3, first 2 shown]
	global_load_dwordx4 v[22:25], v[22:23], off
	global_load_dwordx4 v[26:29], v[28:29], off
	;; [unrolled: 1-line block ×3, first 2 shown]
	s_waitcnt vmcnt(1)
	v_fma_f64 v[38:39], v[22:23], v[26:27], v[14:15]
	v_fma_f64 v[40:41], v[24:25], v[26:27], v[12:13]
	s_waitcnt vmcnt(0)
	v_fma_f64 v[42:43], v[34:35], v[26:27], v[16:17]
	v_fma_f64 v[44:45], v[36:37], v[26:27], v[18:19]
	v_fma_f64 v[24:25], -v[24:25], v[28:29], v[38:39]
	v_fma_f64 v[22:23], v[22:23], v[28:29], v[40:41]
	v_fma_f64 v[26:27], -v[36:37], v[28:29], v[42:43]
	v_fma_f64 v[28:29], v[34:35], v[28:29], v[44:45]
	s_branch .LBB277_19
.LBB277_22:
	s_or_b32 exec_lo, exec_lo, s0
.LBB277_23:
	s_or_b32 exec_lo, exec_lo, s1
.LBB277_24:
	v_mbcnt_lo_u32_b32 v26, -1, 0
	v_or_b32_e32 v10, 32, v26
	v_cmp_gt_i32_e32 vcc_lo, 32, v10
	v_cndmask_b32_e32 v10, v26, v10, vcc_lo
	v_lshlrev_b32_e32 v25, 2, v10
	ds_bpermute_b32 v10, v25, v14
	ds_bpermute_b32 v11, v25, v15
	;; [unrolled: 1-line block ×8, first 2 shown]
	s_waitcnt lgkmcnt(6)
	v_add_f64 v[10:11], v[14:15], v[10:11]
	s_waitcnt lgkmcnt(4)
	v_add_f64 v[12:13], v[12:13], v[20:21]
	v_xor_b32_e32 v20, 16, v26
	s_waitcnt lgkmcnt(2)
	v_add_f64 v[14:15], v[16:17], v[22:23]
	s_waitcnt lgkmcnt(0)
	v_add_f64 v[16:17], v[18:19], v[24:25]
	v_cmp_gt_i32_e32 vcc_lo, 32, v20
	v_cndmask_b32_e32 v18, v26, v20, vcc_lo
	v_lshlrev_b32_e32 v25, 2, v18
	ds_bpermute_b32 v18, v25, v10
	ds_bpermute_b32 v19, v25, v11
	;; [unrolled: 1-line block ×8, first 2 shown]
	s_waitcnt lgkmcnt(6)
	v_add_f64 v[10:11], v[10:11], v[18:19]
	v_xor_b32_e32 v18, 8, v26
	s_waitcnt lgkmcnt(4)
	v_add_f64 v[12:13], v[12:13], v[20:21]
	s_waitcnt lgkmcnt(2)
	v_add_f64 v[14:15], v[14:15], v[22:23]
	;; [unrolled: 2-line block ×3, first 2 shown]
	v_cmp_gt_i32_e32 vcc_lo, 32, v18
	v_cndmask_b32_e32 v18, v26, v18, vcc_lo
	v_lshlrev_b32_e32 v25, 2, v18
	ds_bpermute_b32 v18, v25, v10
	ds_bpermute_b32 v19, v25, v11
	;; [unrolled: 1-line block ×8, first 2 shown]
	s_waitcnt lgkmcnt(6)
	v_add_f64 v[10:11], v[10:11], v[18:19]
	v_xor_b32_e32 v18, 4, v26
	s_waitcnt lgkmcnt(4)
	v_add_f64 v[12:13], v[12:13], v[20:21]
	s_waitcnt lgkmcnt(2)
	v_add_f64 v[14:15], v[14:15], v[22:23]
	;; [unrolled: 2-line block ×3, first 2 shown]
	v_cmp_gt_i32_e32 vcc_lo, 32, v18
	v_cndmask_b32_e32 v18, v26, v18, vcc_lo
	v_lshlrev_b32_e32 v25, 2, v18
	ds_bpermute_b32 v18, v25, v10
	ds_bpermute_b32 v19, v25, v11
	;; [unrolled: 1-line block ×8, first 2 shown]
	s_waitcnt lgkmcnt(6)
	v_add_f64 v[10:11], v[10:11], v[18:19]
	s_waitcnt lgkmcnt(4)
	v_add_f64 v[12:13], v[12:13], v[20:21]
	;; [unrolled: 2-line block ×4, first 2 shown]
	v_xor_b32_e32 v16, 2, v26
	v_cmp_gt_i32_e32 vcc_lo, 32, v16
	v_cndmask_b32_e32 v16, v26, v16, vcc_lo
	v_lshlrev_b32_e32 v25, 2, v16
	ds_bpermute_b32 v16, v25, v10
	ds_bpermute_b32 v17, v25, v11
	;; [unrolled: 1-line block ×8, first 2 shown]
	s_waitcnt lgkmcnt(6)
	v_add_f64 v[10:11], v[10:11], v[16:17]
	s_waitcnt lgkmcnt(4)
	v_add_f64 v[16:17], v[12:13], v[20:21]
	;; [unrolled: 2-line block ×4, first 2 shown]
	v_xor_b32_e32 v18, 1, v26
	v_cmp_gt_i32_e32 vcc_lo, 32, v18
	v_cndmask_b32_e32 v18, v26, v18, vcc_lo
	v_cmp_eq_u32_e32 vcc_lo, 63, v0
	v_lshlrev_b32_e32 v21, 2, v18
	ds_bpermute_b32 v24, v21, v10
	ds_bpermute_b32 v25, v21, v11
	;; [unrolled: 1-line block ×8, first 2 shown]
	s_and_b32 exec_lo, exec_lo, vcc_lo
	s_cbranch_execz .LBB277_29
; %bb.25:
	v_cmp_eq_f64_e32 vcc_lo, 0, v[5:6]
	v_cmp_eq_f64_e64 s0, 0, v[7:8]
	s_waitcnt lgkmcnt(6)
	v_add_f64 v[10:11], v[10:11], v[24:25]
	s_waitcnt lgkmcnt(4)
	v_add_f64 v[16:17], v[16:17], v[22:23]
	;; [unrolled: 2-line block ×4, first 2 shown]
	s_load_dwordx2 s[2:3], s[4:5], 0x48
	s_and_b32 s0, vcc_lo, s0
	s_and_saveexec_b32 s1, s0
	s_xor_b32 s0, exec_lo, s1
	s_cbranch_execz .LBB277_27
; %bb.26:
	v_mul_f64 v[5:6], v[16:17], -v[3:4]
	v_mul_f64 v[7:8], v[1:2], v[16:17]
	v_mul_f64 v[16:17], v[14:15], -v[3:4]
	v_mul_f64 v[14:15], v[1:2], v[14:15]
	v_lshlrev_b32_e32 v9, 1, v9
	v_fma_f64 v[5:6], v[1:2], v[10:11], v[5:6]
	v_fma_f64 v[7:8], v[3:4], v[10:11], v[7:8]
	;; [unrolled: 1-line block ×4, first 2 shown]
	v_ashrrev_i32_e32 v10, 31, v9
                                        ; implicit-def: $vgpr16_vgpr17
                                        ; implicit-def: $vgpr12_vgpr13
                                        ; implicit-def: $vgpr14_vgpr15
	v_lshlrev_b64 v[9:10], 4, v[9:10]
	s_waitcnt lgkmcnt(0)
	v_add_co_u32 v9, vcc_lo, s2, v9
	v_add_co_ci_u32_e64 v10, null, s3, v10, vcc_lo
	global_store_dwordx4 v[9:10], v[5:8], off
	global_store_dwordx4 v[9:10], v[0:3], off offset:16
                                        ; implicit-def: $vgpr9
                                        ; implicit-def: $vgpr10_vgpr11
                                        ; implicit-def: $vgpr7_vgpr8
                                        ; implicit-def: $vgpr3_vgpr4
.LBB277_27:
	s_andn2_saveexec_b32 s0, s0
	s_cbranch_execz .LBB277_29
; %bb.28:
	v_lshlrev_b32_e32 v18, 1, v9
	v_mul_f64 v[28:29], v[16:17], -v[3:4]
	v_mul_f64 v[16:17], v[1:2], v[16:17]
	v_mul_f64 v[30:31], v[14:15], -v[3:4]
	v_mul_f64 v[14:15], v[1:2], v[14:15]
	v_ashrrev_i32_e32 v19, 31, v18
	v_lshlrev_b64 v[18:19], 4, v[18:19]
	s_waitcnt lgkmcnt(0)
	v_add_co_u32 v26, vcc_lo, s2, v18
	v_add_co_ci_u32_e64 v27, null, s3, v19, vcc_lo
	s_clause 0x1
	global_load_dwordx4 v[18:21], v[26:27], off
	global_load_dwordx4 v[22:25], v[26:27], off offset:16
	v_fma_f64 v[28:29], v[1:2], v[10:11], v[28:29]
	v_fma_f64 v[9:10], v[3:4], v[10:11], v[16:17]
	;; [unrolled: 1-line block ×4, first 2 shown]
	s_waitcnt vmcnt(1)
	v_fma_f64 v[11:12], v[5:6], v[18:19], v[28:29]
	v_fma_f64 v[9:10], v[7:8], v[18:19], v[9:10]
	s_waitcnt vmcnt(0)
	v_fma_f64 v[13:14], v[5:6], v[22:23], v[0:1]
	v_fma_f64 v[15:16], v[7:8], v[22:23], v[2:3]
	v_fma_f64 v[0:1], -v[7:8], v[20:21], v[11:12]
	v_fma_f64 v[2:3], v[5:6], v[20:21], v[9:10]
	v_fma_f64 v[7:8], -v[7:8], v[24:25], v[13:14]
	v_fma_f64 v[9:10], v[5:6], v[24:25], v[15:16]
	global_store_dwordx4 v[26:27], v[0:3], off
	global_store_dwordx4 v[26:27], v[7:10], off offset:16
.LBB277_29:
	s_endpgm
	.section	.rodata,"a",@progbits
	.p2align	6, 0x0
	.amdhsa_kernel _ZN9rocsparseL19gebsrmvn_2xn_kernelILj128ELj11ELj64E21rocsparse_complex_numIdEEEvi20rocsparse_direction_NS_24const_host_device_scalarIT2_EEPKiS8_PKS5_SA_S6_PS5_21rocsparse_index_base_b
		.amdhsa_group_segment_fixed_size 0
		.amdhsa_private_segment_fixed_size 0
		.amdhsa_kernarg_size 88
		.amdhsa_user_sgpr_count 6
		.amdhsa_user_sgpr_private_segment_buffer 1
		.amdhsa_user_sgpr_dispatch_ptr 0
		.amdhsa_user_sgpr_queue_ptr 0
		.amdhsa_user_sgpr_kernarg_segment_ptr 1
		.amdhsa_user_sgpr_dispatch_id 0
		.amdhsa_user_sgpr_flat_scratch_init 0
		.amdhsa_user_sgpr_private_segment_size 0
		.amdhsa_wavefront_size32 1
		.amdhsa_uses_dynamic_stack 0
		.amdhsa_system_sgpr_private_segment_wavefront_offset 0
		.amdhsa_system_sgpr_workgroup_id_x 1
		.amdhsa_system_sgpr_workgroup_id_y 0
		.amdhsa_system_sgpr_workgroup_id_z 0
		.amdhsa_system_sgpr_workgroup_info 0
		.amdhsa_system_vgpr_workitem_id 0
		.amdhsa_next_free_vgpr 64
		.amdhsa_next_free_sgpr 16
		.amdhsa_reserve_vcc 1
		.amdhsa_reserve_flat_scratch 0
		.amdhsa_float_round_mode_32 0
		.amdhsa_float_round_mode_16_64 0
		.amdhsa_float_denorm_mode_32 3
		.amdhsa_float_denorm_mode_16_64 3
		.amdhsa_dx10_clamp 1
		.amdhsa_ieee_mode 1
		.amdhsa_fp16_overflow 0
		.amdhsa_workgroup_processor_mode 1
		.amdhsa_memory_ordered 1
		.amdhsa_forward_progress 1
		.amdhsa_shared_vgpr_count 0
		.amdhsa_exception_fp_ieee_invalid_op 0
		.amdhsa_exception_fp_denorm_src 0
		.amdhsa_exception_fp_ieee_div_zero 0
		.amdhsa_exception_fp_ieee_overflow 0
		.amdhsa_exception_fp_ieee_underflow 0
		.amdhsa_exception_fp_ieee_inexact 0
		.amdhsa_exception_int_div_zero 0
	.end_amdhsa_kernel
	.section	.text._ZN9rocsparseL19gebsrmvn_2xn_kernelILj128ELj11ELj64E21rocsparse_complex_numIdEEEvi20rocsparse_direction_NS_24const_host_device_scalarIT2_EEPKiS8_PKS5_SA_S6_PS5_21rocsparse_index_base_b,"axG",@progbits,_ZN9rocsparseL19gebsrmvn_2xn_kernelILj128ELj11ELj64E21rocsparse_complex_numIdEEEvi20rocsparse_direction_NS_24const_host_device_scalarIT2_EEPKiS8_PKS5_SA_S6_PS5_21rocsparse_index_base_b,comdat
.Lfunc_end277:
	.size	_ZN9rocsparseL19gebsrmvn_2xn_kernelILj128ELj11ELj64E21rocsparse_complex_numIdEEEvi20rocsparse_direction_NS_24const_host_device_scalarIT2_EEPKiS8_PKS5_SA_S6_PS5_21rocsparse_index_base_b, .Lfunc_end277-_ZN9rocsparseL19gebsrmvn_2xn_kernelILj128ELj11ELj64E21rocsparse_complex_numIdEEEvi20rocsparse_direction_NS_24const_host_device_scalarIT2_EEPKiS8_PKS5_SA_S6_PS5_21rocsparse_index_base_b
                                        ; -- End function
	.set _ZN9rocsparseL19gebsrmvn_2xn_kernelILj128ELj11ELj64E21rocsparse_complex_numIdEEEvi20rocsparse_direction_NS_24const_host_device_scalarIT2_EEPKiS8_PKS5_SA_S6_PS5_21rocsparse_index_base_b.num_vgpr, 64
	.set _ZN9rocsparseL19gebsrmvn_2xn_kernelILj128ELj11ELj64E21rocsparse_complex_numIdEEEvi20rocsparse_direction_NS_24const_host_device_scalarIT2_EEPKiS8_PKS5_SA_S6_PS5_21rocsparse_index_base_b.num_agpr, 0
	.set _ZN9rocsparseL19gebsrmvn_2xn_kernelILj128ELj11ELj64E21rocsparse_complex_numIdEEEvi20rocsparse_direction_NS_24const_host_device_scalarIT2_EEPKiS8_PKS5_SA_S6_PS5_21rocsparse_index_base_b.numbered_sgpr, 16
	.set _ZN9rocsparseL19gebsrmvn_2xn_kernelILj128ELj11ELj64E21rocsparse_complex_numIdEEEvi20rocsparse_direction_NS_24const_host_device_scalarIT2_EEPKiS8_PKS5_SA_S6_PS5_21rocsparse_index_base_b.num_named_barrier, 0
	.set _ZN9rocsparseL19gebsrmvn_2xn_kernelILj128ELj11ELj64E21rocsparse_complex_numIdEEEvi20rocsparse_direction_NS_24const_host_device_scalarIT2_EEPKiS8_PKS5_SA_S6_PS5_21rocsparse_index_base_b.private_seg_size, 0
	.set _ZN9rocsparseL19gebsrmvn_2xn_kernelILj128ELj11ELj64E21rocsparse_complex_numIdEEEvi20rocsparse_direction_NS_24const_host_device_scalarIT2_EEPKiS8_PKS5_SA_S6_PS5_21rocsparse_index_base_b.uses_vcc, 1
	.set _ZN9rocsparseL19gebsrmvn_2xn_kernelILj128ELj11ELj64E21rocsparse_complex_numIdEEEvi20rocsparse_direction_NS_24const_host_device_scalarIT2_EEPKiS8_PKS5_SA_S6_PS5_21rocsparse_index_base_b.uses_flat_scratch, 0
	.set _ZN9rocsparseL19gebsrmvn_2xn_kernelILj128ELj11ELj64E21rocsparse_complex_numIdEEEvi20rocsparse_direction_NS_24const_host_device_scalarIT2_EEPKiS8_PKS5_SA_S6_PS5_21rocsparse_index_base_b.has_dyn_sized_stack, 0
	.set _ZN9rocsparseL19gebsrmvn_2xn_kernelILj128ELj11ELj64E21rocsparse_complex_numIdEEEvi20rocsparse_direction_NS_24const_host_device_scalarIT2_EEPKiS8_PKS5_SA_S6_PS5_21rocsparse_index_base_b.has_recursion, 0
	.set _ZN9rocsparseL19gebsrmvn_2xn_kernelILj128ELj11ELj64E21rocsparse_complex_numIdEEEvi20rocsparse_direction_NS_24const_host_device_scalarIT2_EEPKiS8_PKS5_SA_S6_PS5_21rocsparse_index_base_b.has_indirect_call, 0
	.section	.AMDGPU.csdata,"",@progbits
; Kernel info:
; codeLenInByte = 3344
; TotalNumSgprs: 18
; NumVgprs: 64
; ScratchSize: 0
; MemoryBound: 0
; FloatMode: 240
; IeeeMode: 1
; LDSByteSize: 0 bytes/workgroup (compile time only)
; SGPRBlocks: 0
; VGPRBlocks: 7
; NumSGPRsForWavesPerEU: 18
; NumVGPRsForWavesPerEU: 64
; Occupancy: 16
; WaveLimiterHint : 1
; COMPUTE_PGM_RSRC2:SCRATCH_EN: 0
; COMPUTE_PGM_RSRC2:USER_SGPR: 6
; COMPUTE_PGM_RSRC2:TRAP_HANDLER: 0
; COMPUTE_PGM_RSRC2:TGID_X_EN: 1
; COMPUTE_PGM_RSRC2:TGID_Y_EN: 0
; COMPUTE_PGM_RSRC2:TGID_Z_EN: 0
; COMPUTE_PGM_RSRC2:TIDIG_COMP_CNT: 0
	.section	.text._ZN9rocsparseL19gebsrmvn_2xn_kernelILj128ELj12ELj4E21rocsparse_complex_numIdEEEvi20rocsparse_direction_NS_24const_host_device_scalarIT2_EEPKiS8_PKS5_SA_S6_PS5_21rocsparse_index_base_b,"axG",@progbits,_ZN9rocsparseL19gebsrmvn_2xn_kernelILj128ELj12ELj4E21rocsparse_complex_numIdEEEvi20rocsparse_direction_NS_24const_host_device_scalarIT2_EEPKiS8_PKS5_SA_S6_PS5_21rocsparse_index_base_b,comdat
	.globl	_ZN9rocsparseL19gebsrmvn_2xn_kernelILj128ELj12ELj4E21rocsparse_complex_numIdEEEvi20rocsparse_direction_NS_24const_host_device_scalarIT2_EEPKiS8_PKS5_SA_S6_PS5_21rocsparse_index_base_b ; -- Begin function _ZN9rocsparseL19gebsrmvn_2xn_kernelILj128ELj12ELj4E21rocsparse_complex_numIdEEEvi20rocsparse_direction_NS_24const_host_device_scalarIT2_EEPKiS8_PKS5_SA_S6_PS5_21rocsparse_index_base_b
	.p2align	8
	.type	_ZN9rocsparseL19gebsrmvn_2xn_kernelILj128ELj12ELj4E21rocsparse_complex_numIdEEEvi20rocsparse_direction_NS_24const_host_device_scalarIT2_EEPKiS8_PKS5_SA_S6_PS5_21rocsparse_index_base_b,@function
_ZN9rocsparseL19gebsrmvn_2xn_kernelILj128ELj12ELj4E21rocsparse_complex_numIdEEEvi20rocsparse_direction_NS_24const_host_device_scalarIT2_EEPKiS8_PKS5_SA_S6_PS5_21rocsparse_index_base_b: ; @_ZN9rocsparseL19gebsrmvn_2xn_kernelILj128ELj12ELj4E21rocsparse_complex_numIdEEEvi20rocsparse_direction_NS_24const_host_device_scalarIT2_EEPKiS8_PKS5_SA_S6_PS5_21rocsparse_index_base_b
; %bb.0:
	s_clause 0x1
	s_load_dwordx2 s[2:3], s[4:5], 0x50
	s_load_dwordx2 s[0:1], s[4:5], 0x8
	s_add_u32 s7, s4, 8
	s_addc_u32 s10, s5, 0
	s_add_u32 s11, s4, 56
	s_addc_u32 s12, s5, 0
	s_load_dwordx2 s[8:9], s[4:5], 0x38
	s_waitcnt lgkmcnt(0)
	s_bitcmp1_b32 s3, 0
	s_cselect_b32 s0, s7, s0
	s_cselect_b32 s1, s10, s1
	v_mov_b32_e32 v1, s0
	v_mov_b32_e32 v2, s1
	s_cselect_b32 s0, s11, s8
	s_cselect_b32 s1, s12, s9
	v_mov_b32_e32 v5, s0
	v_mov_b32_e32 v6, s1
	flat_load_dwordx4 v[1:4], v[1:2]
	flat_load_dwordx4 v[5:8], v[5:6]
	s_waitcnt vmcnt(1) lgkmcnt(1)
	v_cmp_eq_f64_e32 vcc_lo, 0, v[1:2]
	v_cmp_eq_f64_e64 s0, 0, v[3:4]
	s_and_b32 s3, vcc_lo, s0
	s_mov_b32 s0, -1
	s_and_saveexec_b32 s1, s3
	s_cbranch_execz .LBB278_2
; %bb.1:
	s_waitcnt vmcnt(0) lgkmcnt(0)
	v_cmp_neq_f64_e32 vcc_lo, 1.0, v[5:6]
	v_cmp_neq_f64_e64 s0, 0, v[7:8]
	s_or_b32 s0, vcc_lo, s0
	s_orn2_b32 s0, s0, exec_lo
.LBB278_2:
	s_or_b32 exec_lo, exec_lo, s1
	s_and_saveexec_b32 s1, s0
	s_cbranch_execz .LBB278_25
; %bb.3:
	s_load_dwordx2 s[0:1], s[4:5], 0x0
	v_lshrrev_b32_e32 v9, 2, v0
	v_lshl_or_b32 v9, s6, 5, v9
	s_waitcnt lgkmcnt(0)
	v_cmp_gt_i32_e32 vcc_lo, s0, v9
	s_and_b32 exec_lo, exec_lo, vcc_lo
	s_cbranch_execz .LBB278_25
; %bb.4:
	s_load_dwordx8 s[8:15], s[4:5], 0x18
	v_ashrrev_i32_e32 v10, 31, v9
	v_and_b32_e32 v0, 3, v0
	s_cmp_lg_u32 s1, 0
	v_lshlrev_b64 v[10:11], 2, v[9:10]
	s_waitcnt lgkmcnt(0)
	v_add_co_u32 v10, vcc_lo, s8, v10
	v_add_co_ci_u32_e64 v11, null, s9, v11, vcc_lo
	global_load_dwordx2 v[11:12], v[10:11], off
	s_waitcnt vmcnt(0)
	v_subrev_nc_u32_e32 v10, s2, v11
	v_subrev_nc_u32_e32 v25, s2, v12
	v_add_nc_u32_e32 v10, v10, v0
	v_cmp_lt_i32_e64 s0, v10, v25
	s_cbranch_scc0 .LBB278_12
; %bb.5:
	v_mov_b32_e32 v12, 0
	v_mov_b32_e32 v14, 0
	v_mov_b32_e32 v16, 0
	v_mov_b32_e32 v18, 0
	v_mov_b32_e32 v13, 0
	v_mov_b32_e32 v15, 0
	v_mov_b32_e32 v17, 0
	v_mov_b32_e32 v19, 0
	s_and_saveexec_b32 s1, s0
	s_cbranch_execz .LBB278_11
; %bb.6:
	v_mul_lo_u32 v14, v11, 24
	v_mul_lo_u32 v26, v10, 24
	s_mul_i32 s3, s2, 24
	v_mov_b32_e32 v12, 0
	v_mov_b32_e32 v16, 0
	;; [unrolled: 1-line block ×5, first 2 shown]
	v_mad_u32_u24 v20, v0, 24, v14
	v_mov_b32_e32 v14, 0
	v_mov_b32_e32 v15, 0
	;; [unrolled: 1-line block ×4, first 2 shown]
	v_subrev_nc_u32_e32 v27, s3, v20
	v_mov_b32_e32 v22, v10
	s_mov_b32 s3, 0
.LBB278_7:                              ; =>This Loop Header: Depth=1
                                        ;     Child Loop BB278_8 Depth 2
	v_ashrrev_i32_e32 v23, 31, v22
	s_mov_b32 s6, 0
	v_lshlrev_b64 v[23:24], 2, v[22:23]
	v_add_co_u32 v23, vcc_lo, s10, v23
	v_add_co_ci_u32_e64 v24, null, s11, v24, vcc_lo
	global_load_dword v20, v[23:24], off
	s_waitcnt vmcnt(0)
	v_subrev_nc_u32_e32 v20, s2, v20
	v_mul_lo_u32 v23, v20, 12
.LBB278_8:                              ;   Parent Loop BB278_7 Depth=1
                                        ; =>  This Inner Loop Header: Depth=2
	v_mov_b32_e32 v24, v21
	v_add_nc_u32_e32 v20, s6, v27
	v_lshlrev_b64 v[28:29], 4, v[23:24]
	v_lshlrev_b64 v[30:31], 4, v[20:21]
	v_add3_u32 v20, v26, s6, 4
	v_add_nc_u32_e32 v23, 4, v23
	s_add_i32 s6, s6, 8
	s_cmp_eq_u32 s6, 24
	v_add_co_u32 v56, vcc_lo, s14, v28
	v_add_co_ci_u32_e64 v57, null, s15, v29, vcc_lo
	v_add_co_u32 v48, vcc_lo, s12, v30
	v_add_co_ci_u32_e64 v49, null, s13, v31, vcc_lo
	global_load_dwordx4 v[28:31], v[56:57], off
	s_clause 0x1
	global_load_dwordx4 v[32:35], v[48:49], off
	global_load_dwordx4 v[36:39], v[48:49], off offset:16
	global_load_dwordx4 v[40:43], v[56:57], off offset:16
	s_clause 0x1
	global_load_dwordx4 v[44:47], v[48:49], off offset:32
	global_load_dwordx4 v[48:51], v[48:49], off offset:48
	v_lshlrev_b64 v[52:53], 4, v[20:21]
	v_add_co_u32 v72, vcc_lo, s12, v52
	v_add_co_ci_u32_e64 v73, null, s13, v53, vcc_lo
	s_clause 0x1
	global_load_dwordx4 v[52:55], v[56:57], off offset:48
	global_load_dwordx4 v[56:59], v[56:57], off offset:32
	s_clause 0x3
	global_load_dwordx4 v[60:63], v[72:73], off
	global_load_dwordx4 v[64:67], v[72:73], off offset:16
	global_load_dwordx4 v[68:71], v[72:73], off offset:32
	;; [unrolled: 1-line block ×3, first 2 shown]
	s_waitcnt vmcnt(10)
	v_fma_f64 v[14:15], v[32:33], v[28:29], v[14:15]
	v_fma_f64 v[12:13], v[34:35], v[28:29], v[12:13]
	s_waitcnt vmcnt(9)
	v_fma_f64 v[16:17], v[36:37], v[28:29], v[16:17]
	v_fma_f64 v[18:19], v[38:39], v[28:29], v[18:19]
	v_fma_f64 v[14:15], -v[34:35], v[30:31], v[14:15]
	v_fma_f64 v[12:13], v[32:33], v[30:31], v[12:13]
	v_fma_f64 v[16:17], -v[38:39], v[30:31], v[16:17]
	v_fma_f64 v[18:19], v[36:37], v[30:31], v[18:19]
	s_waitcnt vmcnt(7)
	v_fma_f64 v[14:15], v[44:45], v[40:41], v[14:15]
	v_fma_f64 v[12:13], v[46:47], v[40:41], v[12:13]
	s_waitcnt vmcnt(6)
	v_fma_f64 v[16:17], v[48:49], v[40:41], v[16:17]
	v_fma_f64 v[18:19], v[50:51], v[40:41], v[18:19]
	v_fma_f64 v[14:15], -v[46:47], v[42:43], v[14:15]
	v_fma_f64 v[12:13], v[44:45], v[42:43], v[12:13]
	v_fma_f64 v[16:17], -v[50:51], v[42:43], v[16:17]
	v_fma_f64 v[18:19], v[48:49], v[42:43], v[18:19]
	;; [unrolled: 10-line block ×4, first 2 shown]
	s_cbranch_scc0 .LBB278_8
; %bb.9:                                ;   in Loop: Header=BB278_7 Depth=1
	v_add_nc_u32_e32 v22, 4, v22
	v_add_nc_u32_e32 v26, 0x60, v26
	;; [unrolled: 1-line block ×3, first 2 shown]
	v_cmp_ge_i32_e32 vcc_lo, v22, v25
	s_or_b32 s3, vcc_lo, s3
	s_andn2_b32 exec_lo, exec_lo, s3
	s_cbranch_execnz .LBB278_7
; %bb.10:
	s_or_b32 exec_lo, exec_lo, s3
.LBB278_11:
	s_or_b32 exec_lo, exec_lo, s1
	s_cbranch_execz .LBB278_13
	s_branch .LBB278_20
.LBB278_12:
                                        ; implicit-def: $vgpr12_vgpr13
                                        ; implicit-def: $vgpr14_vgpr15
                                        ; implicit-def: $vgpr16_vgpr17
                                        ; implicit-def: $vgpr18_vgpr19
.LBB278_13:
	v_mov_b32_e32 v12, 0
	v_mov_b32_e32 v14, 0
	v_mov_b32_e32 v16, 0
	v_mov_b32_e32 v18, 0
	v_mov_b32_e32 v13, 0
	v_mov_b32_e32 v15, 0
	v_mov_b32_e32 v17, 0
	v_mov_b32_e32 v19, 0
	s_and_saveexec_b32 s1, s0
	s_cbranch_execz .LBB278_19
; %bb.14:
	v_mul_lo_u32 v11, v11, 24
	v_mul_lo_u32 v22, v10, 24
	s_mul_i32 s0, s2, 24
	v_mov_b32_e32 v12, 0
	v_mov_b32_e32 v14, 0
	;; [unrolled: 1-line block ×5, first 2 shown]
	v_mad_u32_u24 v11, v0, 24, v11
	v_mov_b32_e32 v15, 0
	v_mov_b32_e32 v17, 0
	;; [unrolled: 1-line block ×4, first 2 shown]
	v_subrev_nc_u32_e32 v23, s0, v11
	s_mov_b32 s0, 0
.LBB278_15:                             ; =>This Loop Header: Depth=1
                                        ;     Child Loop BB278_16 Depth 2
	v_ashrrev_i32_e32 v11, 31, v10
	s_mov_b32 s3, 0
	v_lshlrev_b64 v[26:27], 2, v[10:11]
	v_add_co_u32 v26, vcc_lo, s10, v26
	v_add_co_ci_u32_e64 v27, null, s11, v27, vcc_lo
	global_load_dword v11, v[26:27], off
	s_waitcnt vmcnt(0)
	v_subrev_nc_u32_e32 v11, s2, v11
	v_mul_lo_u32 v11, v11, 12
.LBB278_16:                             ;   Parent Loop BB278_15 Depth=1
                                        ; =>  This Inner Loop Header: Depth=2
	v_add_nc_u32_e32 v20, s3, v23
	v_lshlrev_b64 v[26:27], 4, v[20:21]
	v_add_nc_u32_e32 v20, s3, v11
	v_lshlrev_b64 v[28:29], 4, v[20:21]
	v_add3_u32 v20, v22, s3, 12
	v_add_co_u32 v62, vcc_lo, s12, v26
	v_add_co_ci_u32_e64 v63, null, s13, v27, vcc_lo
	v_lshlrev_b64 v[26:27], 4, v[20:21]
	v_add_co_u32 v66, vcc_lo, s14, v28
	v_add_co_ci_u32_e64 v67, null, s15, v29, vcc_lo
	s_add_i32 s3, s3, 4
	v_add_co_u32 v70, vcc_lo, s12, v26
	v_add_co_ci_u32_e64 v71, null, s13, v27, vcc_lo
	global_load_dwordx4 v[26:29], v[62:63], off
	global_load_dwordx4 v[30:33], v[66:67], off
	s_clause 0x1
	global_load_dwordx4 v[34:37], v[70:71], off
	global_load_dwordx4 v[38:41], v[62:63], off offset:16
	global_load_dwordx4 v[42:45], v[66:67], off offset:16
	s_clause 0x1
	global_load_dwordx4 v[46:49], v[70:71], off offset:16
	global_load_dwordx4 v[50:53], v[62:63], off offset:32
	;; [unrolled: 1-line block ×3, first 2 shown]
	s_clause 0x1
	global_load_dwordx4 v[58:61], v[70:71], off offset:32
	global_load_dwordx4 v[62:65], v[62:63], off offset:48
	;; [unrolled: 1-line block ×4, first 2 shown]
	s_cmp_eq_u32 s3, 12
	s_waitcnt vmcnt(10)
	v_fma_f64 v[14:15], v[26:27], v[30:31], v[14:15]
	v_fma_f64 v[12:13], v[28:29], v[30:31], v[12:13]
	s_waitcnt vmcnt(9)
	v_fma_f64 v[16:17], v[34:35], v[30:31], v[16:17]
	v_fma_f64 v[18:19], v[36:37], v[30:31], v[18:19]
	v_fma_f64 v[14:15], -v[28:29], v[32:33], v[14:15]
	v_fma_f64 v[12:13], v[26:27], v[32:33], v[12:13]
	v_fma_f64 v[16:17], -v[36:37], v[32:33], v[16:17]
	v_fma_f64 v[18:19], v[34:35], v[32:33], v[18:19]
	s_waitcnt vmcnt(7)
	v_fma_f64 v[14:15], v[38:39], v[42:43], v[14:15]
	v_fma_f64 v[12:13], v[40:41], v[42:43], v[12:13]
	s_waitcnt vmcnt(6)
	v_fma_f64 v[16:17], v[46:47], v[42:43], v[16:17]
	v_fma_f64 v[18:19], v[48:49], v[42:43], v[18:19]
	v_fma_f64 v[14:15], -v[40:41], v[44:45], v[14:15]
	v_fma_f64 v[12:13], v[38:39], v[44:45], v[12:13]
	v_fma_f64 v[16:17], -v[48:49], v[44:45], v[16:17]
	v_fma_f64 v[18:19], v[46:47], v[44:45], v[18:19]
	s_waitcnt vmcnt(4)
	v_fma_f64 v[14:15], v[50:51], v[54:55], v[14:15]
	v_fma_f64 v[12:13], v[52:53], v[54:55], v[12:13]
	s_waitcnt vmcnt(3)
	v_fma_f64 v[16:17], v[58:59], v[54:55], v[16:17]
	v_fma_f64 v[18:19], v[60:61], v[54:55], v[18:19]
	v_fma_f64 v[14:15], -v[52:53], v[56:57], v[14:15]
	v_fma_f64 v[12:13], v[50:51], v[56:57], v[12:13]
	v_fma_f64 v[16:17], -v[60:61], v[56:57], v[16:17]
	v_fma_f64 v[18:19], v[58:59], v[56:57], v[18:19]
	s_waitcnt vmcnt(1)
	v_fma_f64 v[14:15], v[62:63], v[66:67], v[14:15]
	v_fma_f64 v[12:13], v[64:65], v[66:67], v[12:13]
	s_waitcnt vmcnt(0)
	v_fma_f64 v[16:17], v[70:71], v[66:67], v[16:17]
	v_fma_f64 v[18:19], v[72:73], v[66:67], v[18:19]
	v_fma_f64 v[14:15], -v[64:65], v[68:69], v[14:15]
	v_fma_f64 v[12:13], v[62:63], v[68:69], v[12:13]
	v_fma_f64 v[16:17], -v[72:73], v[68:69], v[16:17]
	v_fma_f64 v[18:19], v[70:71], v[68:69], v[18:19]
	s_cbranch_scc0 .LBB278_16
; %bb.17:                               ;   in Loop: Header=BB278_15 Depth=1
	v_add_nc_u32_e32 v10, 4, v10
	v_add_nc_u32_e32 v22, 0x60, v22
	;; [unrolled: 1-line block ×3, first 2 shown]
	v_cmp_ge_i32_e32 vcc_lo, v10, v25
	s_or_b32 s0, vcc_lo, s0
	s_andn2_b32 exec_lo, exec_lo, s0
	s_cbranch_execnz .LBB278_15
; %bb.18:
	s_or_b32 exec_lo, exec_lo, s0
.LBB278_19:
	s_or_b32 exec_lo, exec_lo, s1
.LBB278_20:
	v_mbcnt_lo_u32_b32 v26, -1, 0
	v_xor_b32_e32 v10, 2, v26
	v_cmp_gt_i32_e32 vcc_lo, 32, v10
	v_cndmask_b32_e32 v10, v26, v10, vcc_lo
	v_lshlrev_b32_e32 v25, 2, v10
	ds_bpermute_b32 v10, v25, v14
	ds_bpermute_b32 v11, v25, v15
	;; [unrolled: 1-line block ×8, first 2 shown]
	s_waitcnt lgkmcnt(6)
	v_add_f64 v[10:11], v[14:15], v[10:11]
	s_waitcnt lgkmcnt(4)
	v_add_f64 v[20:21], v[12:13], v[20:21]
	;; [unrolled: 2-line block ×3, first 2 shown]
	v_xor_b32_e32 v16, 1, v26
	s_waitcnt lgkmcnt(0)
	v_add_f64 v[14:15], v[18:19], v[24:25]
	v_cmp_gt_i32_e32 vcc_lo, 32, v16
	v_cndmask_b32_e32 v16, v26, v16, vcc_lo
	v_cmp_eq_u32_e32 vcc_lo, 3, v0
	v_lshlrev_b32_e32 v23, 2, v16
	ds_bpermute_b32 v24, v23, v10
	ds_bpermute_b32 v25, v23, v11
	;; [unrolled: 1-line block ×8, first 2 shown]
	s_and_b32 exec_lo, exec_lo, vcc_lo
	s_cbranch_execz .LBB278_25
; %bb.21:
	v_cmp_eq_f64_e32 vcc_lo, 0, v[5:6]
	v_cmp_eq_f64_e64 s0, 0, v[7:8]
	s_waitcnt lgkmcnt(6)
	v_add_f64 v[10:11], v[10:11], v[24:25]
	s_waitcnt lgkmcnt(4)
	v_add_f64 v[16:17], v[20:21], v[16:17]
	;; [unrolled: 2-line block ×4, first 2 shown]
	s_load_dwordx2 s[2:3], s[4:5], 0x48
	s_and_b32 s0, vcc_lo, s0
	s_and_saveexec_b32 s1, s0
	s_xor_b32 s0, exec_lo, s1
	s_cbranch_execz .LBB278_23
; %bb.22:
	v_mul_f64 v[5:6], v[16:17], -v[3:4]
	v_mul_f64 v[7:8], v[1:2], v[16:17]
	v_mul_f64 v[16:17], v[14:15], -v[3:4]
	v_mul_f64 v[14:15], v[1:2], v[14:15]
	v_lshlrev_b32_e32 v9, 1, v9
	v_fma_f64 v[5:6], v[1:2], v[10:11], v[5:6]
	v_fma_f64 v[7:8], v[3:4], v[10:11], v[7:8]
	;; [unrolled: 1-line block ×4, first 2 shown]
	v_ashrrev_i32_e32 v10, 31, v9
                                        ; implicit-def: $vgpr16_vgpr17
                                        ; implicit-def: $vgpr12_vgpr13
                                        ; implicit-def: $vgpr14_vgpr15
	v_lshlrev_b64 v[9:10], 4, v[9:10]
	s_waitcnt lgkmcnt(0)
	v_add_co_u32 v9, vcc_lo, s2, v9
	v_add_co_ci_u32_e64 v10, null, s3, v10, vcc_lo
	global_store_dwordx4 v[9:10], v[5:8], off
	global_store_dwordx4 v[9:10], v[0:3], off offset:16
                                        ; implicit-def: $vgpr9
                                        ; implicit-def: $vgpr10_vgpr11
                                        ; implicit-def: $vgpr7_vgpr8
                                        ; implicit-def: $vgpr3_vgpr4
.LBB278_23:
	s_andn2_saveexec_b32 s0, s0
	s_cbranch_execz .LBB278_25
; %bb.24:
	v_lshlrev_b32_e32 v18, 1, v9
	v_mul_f64 v[28:29], v[16:17], -v[3:4]
	v_mul_f64 v[16:17], v[1:2], v[16:17]
	v_mul_f64 v[30:31], v[14:15], -v[3:4]
	v_mul_f64 v[14:15], v[1:2], v[14:15]
	v_ashrrev_i32_e32 v19, 31, v18
	v_lshlrev_b64 v[18:19], 4, v[18:19]
	s_waitcnt lgkmcnt(0)
	v_add_co_u32 v26, vcc_lo, s2, v18
	v_add_co_ci_u32_e64 v27, null, s3, v19, vcc_lo
	s_clause 0x1
	global_load_dwordx4 v[18:21], v[26:27], off
	global_load_dwordx4 v[22:25], v[26:27], off offset:16
	v_fma_f64 v[28:29], v[1:2], v[10:11], v[28:29]
	v_fma_f64 v[9:10], v[3:4], v[10:11], v[16:17]
	;; [unrolled: 1-line block ×4, first 2 shown]
	s_waitcnt vmcnt(1)
	v_fma_f64 v[11:12], v[5:6], v[18:19], v[28:29]
	v_fma_f64 v[9:10], v[7:8], v[18:19], v[9:10]
	s_waitcnt vmcnt(0)
	v_fma_f64 v[13:14], v[5:6], v[22:23], v[0:1]
	v_fma_f64 v[15:16], v[7:8], v[22:23], v[2:3]
	v_fma_f64 v[0:1], -v[7:8], v[20:21], v[11:12]
	v_fma_f64 v[2:3], v[5:6], v[20:21], v[9:10]
	v_fma_f64 v[7:8], -v[7:8], v[24:25], v[13:14]
	v_fma_f64 v[9:10], v[5:6], v[24:25], v[15:16]
	global_store_dwordx4 v[26:27], v[0:3], off
	global_store_dwordx4 v[26:27], v[7:10], off offset:16
.LBB278_25:
	s_endpgm
	.section	.rodata,"a",@progbits
	.p2align	6, 0x0
	.amdhsa_kernel _ZN9rocsparseL19gebsrmvn_2xn_kernelILj128ELj12ELj4E21rocsparse_complex_numIdEEEvi20rocsparse_direction_NS_24const_host_device_scalarIT2_EEPKiS8_PKS5_SA_S6_PS5_21rocsparse_index_base_b
		.amdhsa_group_segment_fixed_size 0
		.amdhsa_private_segment_fixed_size 0
		.amdhsa_kernarg_size 88
		.amdhsa_user_sgpr_count 6
		.amdhsa_user_sgpr_private_segment_buffer 1
		.amdhsa_user_sgpr_dispatch_ptr 0
		.amdhsa_user_sgpr_queue_ptr 0
		.amdhsa_user_sgpr_kernarg_segment_ptr 1
		.amdhsa_user_sgpr_dispatch_id 0
		.amdhsa_user_sgpr_flat_scratch_init 0
		.amdhsa_user_sgpr_private_segment_size 0
		.amdhsa_wavefront_size32 1
		.amdhsa_uses_dynamic_stack 0
		.amdhsa_system_sgpr_private_segment_wavefront_offset 0
		.amdhsa_system_sgpr_workgroup_id_x 1
		.amdhsa_system_sgpr_workgroup_id_y 0
		.amdhsa_system_sgpr_workgroup_id_z 0
		.amdhsa_system_sgpr_workgroup_info 0
		.amdhsa_system_vgpr_workitem_id 0
		.amdhsa_next_free_vgpr 76
		.amdhsa_next_free_sgpr 16
		.amdhsa_reserve_vcc 1
		.amdhsa_reserve_flat_scratch 0
		.amdhsa_float_round_mode_32 0
		.amdhsa_float_round_mode_16_64 0
		.amdhsa_float_denorm_mode_32 3
		.amdhsa_float_denorm_mode_16_64 3
		.amdhsa_dx10_clamp 1
		.amdhsa_ieee_mode 1
		.amdhsa_fp16_overflow 0
		.amdhsa_workgroup_processor_mode 1
		.amdhsa_memory_ordered 1
		.amdhsa_forward_progress 1
		.amdhsa_shared_vgpr_count 0
		.amdhsa_exception_fp_ieee_invalid_op 0
		.amdhsa_exception_fp_denorm_src 0
		.amdhsa_exception_fp_ieee_div_zero 0
		.amdhsa_exception_fp_ieee_overflow 0
		.amdhsa_exception_fp_ieee_underflow 0
		.amdhsa_exception_fp_ieee_inexact 0
		.amdhsa_exception_int_div_zero 0
	.end_amdhsa_kernel
	.section	.text._ZN9rocsparseL19gebsrmvn_2xn_kernelILj128ELj12ELj4E21rocsparse_complex_numIdEEEvi20rocsparse_direction_NS_24const_host_device_scalarIT2_EEPKiS8_PKS5_SA_S6_PS5_21rocsparse_index_base_b,"axG",@progbits,_ZN9rocsparseL19gebsrmvn_2xn_kernelILj128ELj12ELj4E21rocsparse_complex_numIdEEEvi20rocsparse_direction_NS_24const_host_device_scalarIT2_EEPKiS8_PKS5_SA_S6_PS5_21rocsparse_index_base_b,comdat
.Lfunc_end278:
	.size	_ZN9rocsparseL19gebsrmvn_2xn_kernelILj128ELj12ELj4E21rocsparse_complex_numIdEEEvi20rocsparse_direction_NS_24const_host_device_scalarIT2_EEPKiS8_PKS5_SA_S6_PS5_21rocsparse_index_base_b, .Lfunc_end278-_ZN9rocsparseL19gebsrmvn_2xn_kernelILj128ELj12ELj4E21rocsparse_complex_numIdEEEvi20rocsparse_direction_NS_24const_host_device_scalarIT2_EEPKiS8_PKS5_SA_S6_PS5_21rocsparse_index_base_b
                                        ; -- End function
	.set _ZN9rocsparseL19gebsrmvn_2xn_kernelILj128ELj12ELj4E21rocsparse_complex_numIdEEEvi20rocsparse_direction_NS_24const_host_device_scalarIT2_EEPKiS8_PKS5_SA_S6_PS5_21rocsparse_index_base_b.num_vgpr, 76
	.set _ZN9rocsparseL19gebsrmvn_2xn_kernelILj128ELj12ELj4E21rocsparse_complex_numIdEEEvi20rocsparse_direction_NS_24const_host_device_scalarIT2_EEPKiS8_PKS5_SA_S6_PS5_21rocsparse_index_base_b.num_agpr, 0
	.set _ZN9rocsparseL19gebsrmvn_2xn_kernelILj128ELj12ELj4E21rocsparse_complex_numIdEEEvi20rocsparse_direction_NS_24const_host_device_scalarIT2_EEPKiS8_PKS5_SA_S6_PS5_21rocsparse_index_base_b.numbered_sgpr, 16
	.set _ZN9rocsparseL19gebsrmvn_2xn_kernelILj128ELj12ELj4E21rocsparse_complex_numIdEEEvi20rocsparse_direction_NS_24const_host_device_scalarIT2_EEPKiS8_PKS5_SA_S6_PS5_21rocsparse_index_base_b.num_named_barrier, 0
	.set _ZN9rocsparseL19gebsrmvn_2xn_kernelILj128ELj12ELj4E21rocsparse_complex_numIdEEEvi20rocsparse_direction_NS_24const_host_device_scalarIT2_EEPKiS8_PKS5_SA_S6_PS5_21rocsparse_index_base_b.private_seg_size, 0
	.set _ZN9rocsparseL19gebsrmvn_2xn_kernelILj128ELj12ELj4E21rocsparse_complex_numIdEEEvi20rocsparse_direction_NS_24const_host_device_scalarIT2_EEPKiS8_PKS5_SA_S6_PS5_21rocsparse_index_base_b.uses_vcc, 1
	.set _ZN9rocsparseL19gebsrmvn_2xn_kernelILj128ELj12ELj4E21rocsparse_complex_numIdEEEvi20rocsparse_direction_NS_24const_host_device_scalarIT2_EEPKiS8_PKS5_SA_S6_PS5_21rocsparse_index_base_b.uses_flat_scratch, 0
	.set _ZN9rocsparseL19gebsrmvn_2xn_kernelILj128ELj12ELj4E21rocsparse_complex_numIdEEEvi20rocsparse_direction_NS_24const_host_device_scalarIT2_EEPKiS8_PKS5_SA_S6_PS5_21rocsparse_index_base_b.has_dyn_sized_stack, 0
	.set _ZN9rocsparseL19gebsrmvn_2xn_kernelILj128ELj12ELj4E21rocsparse_complex_numIdEEEvi20rocsparse_direction_NS_24const_host_device_scalarIT2_EEPKiS8_PKS5_SA_S6_PS5_21rocsparse_index_base_b.has_recursion, 0
	.set _ZN9rocsparseL19gebsrmvn_2xn_kernelILj128ELj12ELj4E21rocsparse_complex_numIdEEEvi20rocsparse_direction_NS_24const_host_device_scalarIT2_EEPKiS8_PKS5_SA_S6_PS5_21rocsparse_index_base_b.has_indirect_call, 0
	.section	.AMDGPU.csdata,"",@progbits
; Kernel info:
; codeLenInByte = 2372
; TotalNumSgprs: 18
; NumVgprs: 76
; ScratchSize: 0
; MemoryBound: 1
; FloatMode: 240
; IeeeMode: 1
; LDSByteSize: 0 bytes/workgroup (compile time only)
; SGPRBlocks: 0
; VGPRBlocks: 9
; NumSGPRsForWavesPerEU: 18
; NumVGPRsForWavesPerEU: 76
; Occupancy: 12
; WaveLimiterHint : 1
; COMPUTE_PGM_RSRC2:SCRATCH_EN: 0
; COMPUTE_PGM_RSRC2:USER_SGPR: 6
; COMPUTE_PGM_RSRC2:TRAP_HANDLER: 0
; COMPUTE_PGM_RSRC2:TGID_X_EN: 1
; COMPUTE_PGM_RSRC2:TGID_Y_EN: 0
; COMPUTE_PGM_RSRC2:TGID_Z_EN: 0
; COMPUTE_PGM_RSRC2:TIDIG_COMP_CNT: 0
	.section	.text._ZN9rocsparseL19gebsrmvn_2xn_kernelILj128ELj12ELj8E21rocsparse_complex_numIdEEEvi20rocsparse_direction_NS_24const_host_device_scalarIT2_EEPKiS8_PKS5_SA_S6_PS5_21rocsparse_index_base_b,"axG",@progbits,_ZN9rocsparseL19gebsrmvn_2xn_kernelILj128ELj12ELj8E21rocsparse_complex_numIdEEEvi20rocsparse_direction_NS_24const_host_device_scalarIT2_EEPKiS8_PKS5_SA_S6_PS5_21rocsparse_index_base_b,comdat
	.globl	_ZN9rocsparseL19gebsrmvn_2xn_kernelILj128ELj12ELj8E21rocsparse_complex_numIdEEEvi20rocsparse_direction_NS_24const_host_device_scalarIT2_EEPKiS8_PKS5_SA_S6_PS5_21rocsparse_index_base_b ; -- Begin function _ZN9rocsparseL19gebsrmvn_2xn_kernelILj128ELj12ELj8E21rocsparse_complex_numIdEEEvi20rocsparse_direction_NS_24const_host_device_scalarIT2_EEPKiS8_PKS5_SA_S6_PS5_21rocsparse_index_base_b
	.p2align	8
	.type	_ZN9rocsparseL19gebsrmvn_2xn_kernelILj128ELj12ELj8E21rocsparse_complex_numIdEEEvi20rocsparse_direction_NS_24const_host_device_scalarIT2_EEPKiS8_PKS5_SA_S6_PS5_21rocsparse_index_base_b,@function
_ZN9rocsparseL19gebsrmvn_2xn_kernelILj128ELj12ELj8E21rocsparse_complex_numIdEEEvi20rocsparse_direction_NS_24const_host_device_scalarIT2_EEPKiS8_PKS5_SA_S6_PS5_21rocsparse_index_base_b: ; @_ZN9rocsparseL19gebsrmvn_2xn_kernelILj128ELj12ELj8E21rocsparse_complex_numIdEEEvi20rocsparse_direction_NS_24const_host_device_scalarIT2_EEPKiS8_PKS5_SA_S6_PS5_21rocsparse_index_base_b
; %bb.0:
	s_clause 0x1
	s_load_dwordx2 s[2:3], s[4:5], 0x50
	s_load_dwordx2 s[0:1], s[4:5], 0x8
	s_add_u32 s7, s4, 8
	s_addc_u32 s10, s5, 0
	s_add_u32 s11, s4, 56
	s_addc_u32 s12, s5, 0
	s_load_dwordx2 s[8:9], s[4:5], 0x38
	s_waitcnt lgkmcnt(0)
	s_bitcmp1_b32 s3, 0
	s_cselect_b32 s0, s7, s0
	s_cselect_b32 s1, s10, s1
	v_mov_b32_e32 v1, s0
	v_mov_b32_e32 v2, s1
	s_cselect_b32 s0, s11, s8
	s_cselect_b32 s1, s12, s9
	v_mov_b32_e32 v5, s0
	v_mov_b32_e32 v6, s1
	flat_load_dwordx4 v[1:4], v[1:2]
	flat_load_dwordx4 v[5:8], v[5:6]
	s_waitcnt vmcnt(1) lgkmcnt(1)
	v_cmp_eq_f64_e32 vcc_lo, 0, v[1:2]
	v_cmp_eq_f64_e64 s0, 0, v[3:4]
	s_and_b32 s3, vcc_lo, s0
	s_mov_b32 s0, -1
	s_and_saveexec_b32 s1, s3
	s_cbranch_execz .LBB279_2
; %bb.1:
	s_waitcnt vmcnt(0) lgkmcnt(0)
	v_cmp_neq_f64_e32 vcc_lo, 1.0, v[5:6]
	v_cmp_neq_f64_e64 s0, 0, v[7:8]
	s_or_b32 s0, vcc_lo, s0
	s_orn2_b32 s0, s0, exec_lo
.LBB279_2:
	s_or_b32 exec_lo, exec_lo, s1
	s_and_saveexec_b32 s1, s0
	s_cbranch_execz .LBB279_25
; %bb.3:
	s_load_dwordx2 s[0:1], s[4:5], 0x0
	v_lshrrev_b32_e32 v9, 3, v0
	v_lshl_or_b32 v9, s6, 4, v9
	s_waitcnt lgkmcnt(0)
	v_cmp_gt_i32_e32 vcc_lo, s0, v9
	s_and_b32 exec_lo, exec_lo, vcc_lo
	s_cbranch_execz .LBB279_25
; %bb.4:
	s_load_dwordx8 s[8:15], s[4:5], 0x18
	v_ashrrev_i32_e32 v10, 31, v9
	v_and_b32_e32 v0, 7, v0
	s_cmp_lg_u32 s1, 0
	v_lshlrev_b64 v[10:11], 2, v[9:10]
	s_waitcnt lgkmcnt(0)
	v_add_co_u32 v10, vcc_lo, s8, v10
	v_add_co_ci_u32_e64 v11, null, s9, v11, vcc_lo
	global_load_dwordx2 v[11:12], v[10:11], off
	s_waitcnt vmcnt(0)
	v_subrev_nc_u32_e32 v10, s2, v11
	v_subrev_nc_u32_e32 v25, s2, v12
	v_add_nc_u32_e32 v10, v10, v0
	v_cmp_lt_i32_e64 s0, v10, v25
	s_cbranch_scc0 .LBB279_12
; %bb.5:
	v_mov_b32_e32 v12, 0
	v_mov_b32_e32 v14, 0
	;; [unrolled: 1-line block ×8, first 2 shown]
	s_and_saveexec_b32 s1, s0
	s_cbranch_execz .LBB279_11
; %bb.6:
	v_mul_lo_u32 v14, v11, 24
	v_mul_lo_u32 v26, v10, 24
	s_mul_i32 s3, s2, 24
	v_mov_b32_e32 v12, 0
	v_mov_b32_e32 v16, 0
	;; [unrolled: 1-line block ×5, first 2 shown]
	v_mad_u32_u24 v20, v0, 24, v14
	v_mov_b32_e32 v14, 0
	v_mov_b32_e32 v15, 0
	;; [unrolled: 1-line block ×4, first 2 shown]
	v_subrev_nc_u32_e32 v27, s3, v20
	v_mov_b32_e32 v22, v10
	s_mov_b32 s3, 0
.LBB279_7:                              ; =>This Loop Header: Depth=1
                                        ;     Child Loop BB279_8 Depth 2
	v_ashrrev_i32_e32 v23, 31, v22
	s_mov_b32 s6, 0
	v_lshlrev_b64 v[23:24], 2, v[22:23]
	v_add_co_u32 v23, vcc_lo, s10, v23
	v_add_co_ci_u32_e64 v24, null, s11, v24, vcc_lo
	global_load_dword v20, v[23:24], off
	s_waitcnt vmcnt(0)
	v_subrev_nc_u32_e32 v20, s2, v20
	v_mul_lo_u32 v23, v20, 12
.LBB279_8:                              ;   Parent Loop BB279_7 Depth=1
                                        ; =>  This Inner Loop Header: Depth=2
	v_mov_b32_e32 v24, v21
	v_add_nc_u32_e32 v20, s6, v27
	v_lshlrev_b64 v[28:29], 4, v[23:24]
	v_lshlrev_b64 v[30:31], 4, v[20:21]
	v_add3_u32 v20, v26, s6, 4
	v_add_nc_u32_e32 v23, 4, v23
	s_add_i32 s6, s6, 8
	s_cmp_eq_u32 s6, 24
	v_add_co_u32 v56, vcc_lo, s14, v28
	v_add_co_ci_u32_e64 v57, null, s15, v29, vcc_lo
	v_add_co_u32 v48, vcc_lo, s12, v30
	v_add_co_ci_u32_e64 v49, null, s13, v31, vcc_lo
	global_load_dwordx4 v[28:31], v[56:57], off
	s_clause 0x1
	global_load_dwordx4 v[32:35], v[48:49], off
	global_load_dwordx4 v[36:39], v[48:49], off offset:16
	global_load_dwordx4 v[40:43], v[56:57], off offset:16
	s_clause 0x1
	global_load_dwordx4 v[44:47], v[48:49], off offset:32
	global_load_dwordx4 v[48:51], v[48:49], off offset:48
	v_lshlrev_b64 v[52:53], 4, v[20:21]
	v_add_co_u32 v72, vcc_lo, s12, v52
	v_add_co_ci_u32_e64 v73, null, s13, v53, vcc_lo
	s_clause 0x1
	global_load_dwordx4 v[52:55], v[56:57], off offset:48
	global_load_dwordx4 v[56:59], v[56:57], off offset:32
	s_clause 0x3
	global_load_dwordx4 v[60:63], v[72:73], off
	global_load_dwordx4 v[64:67], v[72:73], off offset:16
	global_load_dwordx4 v[68:71], v[72:73], off offset:32
	global_load_dwordx4 v[72:75], v[72:73], off offset:48
	s_waitcnt vmcnt(10)
	v_fma_f64 v[14:15], v[32:33], v[28:29], v[14:15]
	v_fma_f64 v[12:13], v[34:35], v[28:29], v[12:13]
	s_waitcnt vmcnt(9)
	v_fma_f64 v[16:17], v[36:37], v[28:29], v[16:17]
	v_fma_f64 v[18:19], v[38:39], v[28:29], v[18:19]
	v_fma_f64 v[14:15], -v[34:35], v[30:31], v[14:15]
	v_fma_f64 v[12:13], v[32:33], v[30:31], v[12:13]
	v_fma_f64 v[16:17], -v[38:39], v[30:31], v[16:17]
	v_fma_f64 v[18:19], v[36:37], v[30:31], v[18:19]
	s_waitcnt vmcnt(7)
	v_fma_f64 v[14:15], v[44:45], v[40:41], v[14:15]
	v_fma_f64 v[12:13], v[46:47], v[40:41], v[12:13]
	s_waitcnt vmcnt(6)
	v_fma_f64 v[16:17], v[48:49], v[40:41], v[16:17]
	v_fma_f64 v[18:19], v[50:51], v[40:41], v[18:19]
	v_fma_f64 v[14:15], -v[46:47], v[42:43], v[14:15]
	v_fma_f64 v[12:13], v[44:45], v[42:43], v[12:13]
	v_fma_f64 v[16:17], -v[50:51], v[42:43], v[16:17]
	v_fma_f64 v[18:19], v[48:49], v[42:43], v[18:19]
	;; [unrolled: 10-line block ×4, first 2 shown]
	s_cbranch_scc0 .LBB279_8
; %bb.9:                                ;   in Loop: Header=BB279_7 Depth=1
	v_add_nc_u32_e32 v22, 8, v22
	v_add_nc_u32_e32 v26, 0xc0, v26
	;; [unrolled: 1-line block ×3, first 2 shown]
	v_cmp_ge_i32_e32 vcc_lo, v22, v25
	s_or_b32 s3, vcc_lo, s3
	s_andn2_b32 exec_lo, exec_lo, s3
	s_cbranch_execnz .LBB279_7
; %bb.10:
	s_or_b32 exec_lo, exec_lo, s3
.LBB279_11:
	s_or_b32 exec_lo, exec_lo, s1
	s_cbranch_execz .LBB279_13
	s_branch .LBB279_20
.LBB279_12:
                                        ; implicit-def: $vgpr12_vgpr13
                                        ; implicit-def: $vgpr14_vgpr15
                                        ; implicit-def: $vgpr16_vgpr17
                                        ; implicit-def: $vgpr18_vgpr19
.LBB279_13:
	v_mov_b32_e32 v12, 0
	v_mov_b32_e32 v14, 0
	;; [unrolled: 1-line block ×8, first 2 shown]
	s_and_saveexec_b32 s1, s0
	s_cbranch_execz .LBB279_19
; %bb.14:
	v_mul_lo_u32 v11, v11, 24
	v_mul_lo_u32 v22, v10, 24
	s_mul_i32 s0, s2, 24
	v_mov_b32_e32 v12, 0
	v_mov_b32_e32 v14, 0
	;; [unrolled: 1-line block ×5, first 2 shown]
	v_mad_u32_u24 v11, v0, 24, v11
	v_mov_b32_e32 v15, 0
	v_mov_b32_e32 v17, 0
	;; [unrolled: 1-line block ×4, first 2 shown]
	v_subrev_nc_u32_e32 v23, s0, v11
	s_mov_b32 s0, 0
.LBB279_15:                             ; =>This Loop Header: Depth=1
                                        ;     Child Loop BB279_16 Depth 2
	v_ashrrev_i32_e32 v11, 31, v10
	s_mov_b32 s3, 0
	v_lshlrev_b64 v[26:27], 2, v[10:11]
	v_add_co_u32 v26, vcc_lo, s10, v26
	v_add_co_ci_u32_e64 v27, null, s11, v27, vcc_lo
	global_load_dword v11, v[26:27], off
	s_waitcnt vmcnt(0)
	v_subrev_nc_u32_e32 v11, s2, v11
	v_mul_lo_u32 v11, v11, 12
.LBB279_16:                             ;   Parent Loop BB279_15 Depth=1
                                        ; =>  This Inner Loop Header: Depth=2
	v_add_nc_u32_e32 v20, s3, v23
	v_lshlrev_b64 v[26:27], 4, v[20:21]
	v_add_nc_u32_e32 v20, s3, v11
	v_lshlrev_b64 v[28:29], 4, v[20:21]
	v_add3_u32 v20, v22, s3, 12
	v_add_co_u32 v62, vcc_lo, s12, v26
	v_add_co_ci_u32_e64 v63, null, s13, v27, vcc_lo
	v_lshlrev_b64 v[26:27], 4, v[20:21]
	v_add_co_u32 v66, vcc_lo, s14, v28
	v_add_co_ci_u32_e64 v67, null, s15, v29, vcc_lo
	s_add_i32 s3, s3, 4
	v_add_co_u32 v70, vcc_lo, s12, v26
	v_add_co_ci_u32_e64 v71, null, s13, v27, vcc_lo
	global_load_dwordx4 v[26:29], v[62:63], off
	global_load_dwordx4 v[30:33], v[66:67], off
	s_clause 0x1
	global_load_dwordx4 v[34:37], v[70:71], off
	global_load_dwordx4 v[38:41], v[62:63], off offset:16
	global_load_dwordx4 v[42:45], v[66:67], off offset:16
	s_clause 0x1
	global_load_dwordx4 v[46:49], v[70:71], off offset:16
	global_load_dwordx4 v[50:53], v[62:63], off offset:32
	;; [unrolled: 1-line block ×3, first 2 shown]
	s_clause 0x1
	global_load_dwordx4 v[58:61], v[70:71], off offset:32
	global_load_dwordx4 v[62:65], v[62:63], off offset:48
	;; [unrolled: 1-line block ×4, first 2 shown]
	s_cmp_eq_u32 s3, 12
	s_waitcnt vmcnt(10)
	v_fma_f64 v[14:15], v[26:27], v[30:31], v[14:15]
	v_fma_f64 v[12:13], v[28:29], v[30:31], v[12:13]
	s_waitcnt vmcnt(9)
	v_fma_f64 v[16:17], v[34:35], v[30:31], v[16:17]
	v_fma_f64 v[18:19], v[36:37], v[30:31], v[18:19]
	v_fma_f64 v[14:15], -v[28:29], v[32:33], v[14:15]
	v_fma_f64 v[12:13], v[26:27], v[32:33], v[12:13]
	v_fma_f64 v[16:17], -v[36:37], v[32:33], v[16:17]
	v_fma_f64 v[18:19], v[34:35], v[32:33], v[18:19]
	s_waitcnt vmcnt(7)
	v_fma_f64 v[14:15], v[38:39], v[42:43], v[14:15]
	v_fma_f64 v[12:13], v[40:41], v[42:43], v[12:13]
	s_waitcnt vmcnt(6)
	v_fma_f64 v[16:17], v[46:47], v[42:43], v[16:17]
	v_fma_f64 v[18:19], v[48:49], v[42:43], v[18:19]
	v_fma_f64 v[14:15], -v[40:41], v[44:45], v[14:15]
	v_fma_f64 v[12:13], v[38:39], v[44:45], v[12:13]
	v_fma_f64 v[16:17], -v[48:49], v[44:45], v[16:17]
	v_fma_f64 v[18:19], v[46:47], v[44:45], v[18:19]
	;; [unrolled: 10-line block ×4, first 2 shown]
	s_cbranch_scc0 .LBB279_16
; %bb.17:                               ;   in Loop: Header=BB279_15 Depth=1
	v_add_nc_u32_e32 v10, 8, v10
	v_add_nc_u32_e32 v22, 0xc0, v22
	;; [unrolled: 1-line block ×3, first 2 shown]
	v_cmp_ge_i32_e32 vcc_lo, v10, v25
	s_or_b32 s0, vcc_lo, s0
	s_andn2_b32 exec_lo, exec_lo, s0
	s_cbranch_execnz .LBB279_15
; %bb.18:
	s_or_b32 exec_lo, exec_lo, s0
.LBB279_19:
	s_or_b32 exec_lo, exec_lo, s1
.LBB279_20:
	v_mbcnt_lo_u32_b32 v26, -1, 0
	v_xor_b32_e32 v10, 4, v26
	v_cmp_gt_i32_e32 vcc_lo, 32, v10
	v_cndmask_b32_e32 v10, v26, v10, vcc_lo
	v_lshlrev_b32_e32 v25, 2, v10
	ds_bpermute_b32 v10, v25, v14
	ds_bpermute_b32 v11, v25, v15
	;; [unrolled: 1-line block ×8, first 2 shown]
	s_waitcnt lgkmcnt(6)
	v_add_f64 v[10:11], v[14:15], v[10:11]
	s_waitcnt lgkmcnt(4)
	v_add_f64 v[12:13], v[12:13], v[20:21]
	;; [unrolled: 2-line block ×3, first 2 shown]
	v_xor_b32_e32 v16, 2, v26
	s_waitcnt lgkmcnt(0)
	v_add_f64 v[18:19], v[18:19], v[24:25]
	v_cmp_gt_i32_e32 vcc_lo, 32, v16
	v_cndmask_b32_e32 v16, v26, v16, vcc_lo
	v_lshlrev_b32_e32 v25, 2, v16
	ds_bpermute_b32 v16, v25, v10
	ds_bpermute_b32 v17, v25, v11
	;; [unrolled: 1-line block ×8, first 2 shown]
	s_waitcnt lgkmcnt(6)
	v_add_f64 v[10:11], v[10:11], v[16:17]
	s_waitcnt lgkmcnt(4)
	v_add_f64 v[16:17], v[12:13], v[20:21]
	;; [unrolled: 2-line block ×4, first 2 shown]
	v_xor_b32_e32 v18, 1, v26
	v_cmp_gt_i32_e32 vcc_lo, 32, v18
	v_cndmask_b32_e32 v18, v26, v18, vcc_lo
	v_cmp_eq_u32_e32 vcc_lo, 7, v0
	v_lshlrev_b32_e32 v21, 2, v18
	ds_bpermute_b32 v24, v21, v10
	ds_bpermute_b32 v25, v21, v11
	ds_bpermute_b32 v22, v21, v16
	ds_bpermute_b32 v23, v21, v17
	ds_bpermute_b32 v18, v21, v12
	ds_bpermute_b32 v19, v21, v13
	ds_bpermute_b32 v20, v21, v14
	ds_bpermute_b32 v21, v21, v15
	s_and_b32 exec_lo, exec_lo, vcc_lo
	s_cbranch_execz .LBB279_25
; %bb.21:
	v_cmp_eq_f64_e32 vcc_lo, 0, v[5:6]
	v_cmp_eq_f64_e64 s0, 0, v[7:8]
	s_waitcnt lgkmcnt(6)
	v_add_f64 v[10:11], v[10:11], v[24:25]
	s_waitcnt lgkmcnt(4)
	v_add_f64 v[16:17], v[16:17], v[22:23]
	;; [unrolled: 2-line block ×4, first 2 shown]
	s_load_dwordx2 s[2:3], s[4:5], 0x48
	s_and_b32 s0, vcc_lo, s0
	s_and_saveexec_b32 s1, s0
	s_xor_b32 s0, exec_lo, s1
	s_cbranch_execz .LBB279_23
; %bb.22:
	v_mul_f64 v[5:6], v[16:17], -v[3:4]
	v_mul_f64 v[7:8], v[1:2], v[16:17]
	v_mul_f64 v[16:17], v[14:15], -v[3:4]
	v_mul_f64 v[14:15], v[1:2], v[14:15]
	v_lshlrev_b32_e32 v9, 1, v9
	v_fma_f64 v[5:6], v[1:2], v[10:11], v[5:6]
	v_fma_f64 v[7:8], v[3:4], v[10:11], v[7:8]
	;; [unrolled: 1-line block ×4, first 2 shown]
	v_ashrrev_i32_e32 v10, 31, v9
                                        ; implicit-def: $vgpr16_vgpr17
                                        ; implicit-def: $vgpr12_vgpr13
                                        ; implicit-def: $vgpr14_vgpr15
	v_lshlrev_b64 v[9:10], 4, v[9:10]
	s_waitcnt lgkmcnt(0)
	v_add_co_u32 v9, vcc_lo, s2, v9
	v_add_co_ci_u32_e64 v10, null, s3, v10, vcc_lo
	global_store_dwordx4 v[9:10], v[5:8], off
	global_store_dwordx4 v[9:10], v[0:3], off offset:16
                                        ; implicit-def: $vgpr9
                                        ; implicit-def: $vgpr10_vgpr11
                                        ; implicit-def: $vgpr7_vgpr8
                                        ; implicit-def: $vgpr3_vgpr4
.LBB279_23:
	s_andn2_saveexec_b32 s0, s0
	s_cbranch_execz .LBB279_25
; %bb.24:
	v_lshlrev_b32_e32 v18, 1, v9
	v_mul_f64 v[28:29], v[16:17], -v[3:4]
	v_mul_f64 v[16:17], v[1:2], v[16:17]
	v_mul_f64 v[30:31], v[14:15], -v[3:4]
	v_mul_f64 v[14:15], v[1:2], v[14:15]
	v_ashrrev_i32_e32 v19, 31, v18
	v_lshlrev_b64 v[18:19], 4, v[18:19]
	s_waitcnt lgkmcnt(0)
	v_add_co_u32 v26, vcc_lo, s2, v18
	v_add_co_ci_u32_e64 v27, null, s3, v19, vcc_lo
	s_clause 0x1
	global_load_dwordx4 v[18:21], v[26:27], off
	global_load_dwordx4 v[22:25], v[26:27], off offset:16
	v_fma_f64 v[28:29], v[1:2], v[10:11], v[28:29]
	v_fma_f64 v[9:10], v[3:4], v[10:11], v[16:17]
	;; [unrolled: 1-line block ×4, first 2 shown]
	s_waitcnt vmcnt(1)
	v_fma_f64 v[11:12], v[5:6], v[18:19], v[28:29]
	v_fma_f64 v[9:10], v[7:8], v[18:19], v[9:10]
	s_waitcnt vmcnt(0)
	v_fma_f64 v[13:14], v[5:6], v[22:23], v[0:1]
	v_fma_f64 v[15:16], v[7:8], v[22:23], v[2:3]
	v_fma_f64 v[0:1], -v[7:8], v[20:21], v[11:12]
	v_fma_f64 v[2:3], v[5:6], v[20:21], v[9:10]
	v_fma_f64 v[7:8], -v[7:8], v[24:25], v[13:14]
	v_fma_f64 v[9:10], v[5:6], v[24:25], v[15:16]
	global_store_dwordx4 v[26:27], v[0:3], off
	global_store_dwordx4 v[26:27], v[7:10], off offset:16
.LBB279_25:
	s_endpgm
	.section	.rodata,"a",@progbits
	.p2align	6, 0x0
	.amdhsa_kernel _ZN9rocsparseL19gebsrmvn_2xn_kernelILj128ELj12ELj8E21rocsparse_complex_numIdEEEvi20rocsparse_direction_NS_24const_host_device_scalarIT2_EEPKiS8_PKS5_SA_S6_PS5_21rocsparse_index_base_b
		.amdhsa_group_segment_fixed_size 0
		.amdhsa_private_segment_fixed_size 0
		.amdhsa_kernarg_size 88
		.amdhsa_user_sgpr_count 6
		.amdhsa_user_sgpr_private_segment_buffer 1
		.amdhsa_user_sgpr_dispatch_ptr 0
		.amdhsa_user_sgpr_queue_ptr 0
		.amdhsa_user_sgpr_kernarg_segment_ptr 1
		.amdhsa_user_sgpr_dispatch_id 0
		.amdhsa_user_sgpr_flat_scratch_init 0
		.amdhsa_user_sgpr_private_segment_size 0
		.amdhsa_wavefront_size32 1
		.amdhsa_uses_dynamic_stack 0
		.amdhsa_system_sgpr_private_segment_wavefront_offset 0
		.amdhsa_system_sgpr_workgroup_id_x 1
		.amdhsa_system_sgpr_workgroup_id_y 0
		.amdhsa_system_sgpr_workgroup_id_z 0
		.amdhsa_system_sgpr_workgroup_info 0
		.amdhsa_system_vgpr_workitem_id 0
		.amdhsa_next_free_vgpr 76
		.amdhsa_next_free_sgpr 16
		.amdhsa_reserve_vcc 1
		.amdhsa_reserve_flat_scratch 0
		.amdhsa_float_round_mode_32 0
		.amdhsa_float_round_mode_16_64 0
		.amdhsa_float_denorm_mode_32 3
		.amdhsa_float_denorm_mode_16_64 3
		.amdhsa_dx10_clamp 1
		.amdhsa_ieee_mode 1
		.amdhsa_fp16_overflow 0
		.amdhsa_workgroup_processor_mode 1
		.amdhsa_memory_ordered 1
		.amdhsa_forward_progress 1
		.amdhsa_shared_vgpr_count 0
		.amdhsa_exception_fp_ieee_invalid_op 0
		.amdhsa_exception_fp_denorm_src 0
		.amdhsa_exception_fp_ieee_div_zero 0
		.amdhsa_exception_fp_ieee_overflow 0
		.amdhsa_exception_fp_ieee_underflow 0
		.amdhsa_exception_fp_ieee_inexact 0
		.amdhsa_exception_int_div_zero 0
	.end_amdhsa_kernel
	.section	.text._ZN9rocsparseL19gebsrmvn_2xn_kernelILj128ELj12ELj8E21rocsparse_complex_numIdEEEvi20rocsparse_direction_NS_24const_host_device_scalarIT2_EEPKiS8_PKS5_SA_S6_PS5_21rocsparse_index_base_b,"axG",@progbits,_ZN9rocsparseL19gebsrmvn_2xn_kernelILj128ELj12ELj8E21rocsparse_complex_numIdEEEvi20rocsparse_direction_NS_24const_host_device_scalarIT2_EEPKiS8_PKS5_SA_S6_PS5_21rocsparse_index_base_b,comdat
.Lfunc_end279:
	.size	_ZN9rocsparseL19gebsrmvn_2xn_kernelILj128ELj12ELj8E21rocsparse_complex_numIdEEEvi20rocsparse_direction_NS_24const_host_device_scalarIT2_EEPKiS8_PKS5_SA_S6_PS5_21rocsparse_index_base_b, .Lfunc_end279-_ZN9rocsparseL19gebsrmvn_2xn_kernelILj128ELj12ELj8E21rocsparse_complex_numIdEEEvi20rocsparse_direction_NS_24const_host_device_scalarIT2_EEPKiS8_PKS5_SA_S6_PS5_21rocsparse_index_base_b
                                        ; -- End function
	.set _ZN9rocsparseL19gebsrmvn_2xn_kernelILj128ELj12ELj8E21rocsparse_complex_numIdEEEvi20rocsparse_direction_NS_24const_host_device_scalarIT2_EEPKiS8_PKS5_SA_S6_PS5_21rocsparse_index_base_b.num_vgpr, 76
	.set _ZN9rocsparseL19gebsrmvn_2xn_kernelILj128ELj12ELj8E21rocsparse_complex_numIdEEEvi20rocsparse_direction_NS_24const_host_device_scalarIT2_EEPKiS8_PKS5_SA_S6_PS5_21rocsparse_index_base_b.num_agpr, 0
	.set _ZN9rocsparseL19gebsrmvn_2xn_kernelILj128ELj12ELj8E21rocsparse_complex_numIdEEEvi20rocsparse_direction_NS_24const_host_device_scalarIT2_EEPKiS8_PKS5_SA_S6_PS5_21rocsparse_index_base_b.numbered_sgpr, 16
	.set _ZN9rocsparseL19gebsrmvn_2xn_kernelILj128ELj12ELj8E21rocsparse_complex_numIdEEEvi20rocsparse_direction_NS_24const_host_device_scalarIT2_EEPKiS8_PKS5_SA_S6_PS5_21rocsparse_index_base_b.num_named_barrier, 0
	.set _ZN9rocsparseL19gebsrmvn_2xn_kernelILj128ELj12ELj8E21rocsparse_complex_numIdEEEvi20rocsparse_direction_NS_24const_host_device_scalarIT2_EEPKiS8_PKS5_SA_S6_PS5_21rocsparse_index_base_b.private_seg_size, 0
	.set _ZN9rocsparseL19gebsrmvn_2xn_kernelILj128ELj12ELj8E21rocsparse_complex_numIdEEEvi20rocsparse_direction_NS_24const_host_device_scalarIT2_EEPKiS8_PKS5_SA_S6_PS5_21rocsparse_index_base_b.uses_vcc, 1
	.set _ZN9rocsparseL19gebsrmvn_2xn_kernelILj128ELj12ELj8E21rocsparse_complex_numIdEEEvi20rocsparse_direction_NS_24const_host_device_scalarIT2_EEPKiS8_PKS5_SA_S6_PS5_21rocsparse_index_base_b.uses_flat_scratch, 0
	.set _ZN9rocsparseL19gebsrmvn_2xn_kernelILj128ELj12ELj8E21rocsparse_complex_numIdEEEvi20rocsparse_direction_NS_24const_host_device_scalarIT2_EEPKiS8_PKS5_SA_S6_PS5_21rocsparse_index_base_b.has_dyn_sized_stack, 0
	.set _ZN9rocsparseL19gebsrmvn_2xn_kernelILj128ELj12ELj8E21rocsparse_complex_numIdEEEvi20rocsparse_direction_NS_24const_host_device_scalarIT2_EEPKiS8_PKS5_SA_S6_PS5_21rocsparse_index_base_b.has_recursion, 0
	.set _ZN9rocsparseL19gebsrmvn_2xn_kernelILj128ELj12ELj8E21rocsparse_complex_numIdEEEvi20rocsparse_direction_NS_24const_host_device_scalarIT2_EEPKiS8_PKS5_SA_S6_PS5_21rocsparse_index_base_b.has_indirect_call, 0
	.section	.AMDGPU.csdata,"",@progbits
; Kernel info:
; codeLenInByte = 2500
; TotalNumSgprs: 18
; NumVgprs: 76
; ScratchSize: 0
; MemoryBound: 1
; FloatMode: 240
; IeeeMode: 1
; LDSByteSize: 0 bytes/workgroup (compile time only)
; SGPRBlocks: 0
; VGPRBlocks: 9
; NumSGPRsForWavesPerEU: 18
; NumVGPRsForWavesPerEU: 76
; Occupancy: 12
; WaveLimiterHint : 1
; COMPUTE_PGM_RSRC2:SCRATCH_EN: 0
; COMPUTE_PGM_RSRC2:USER_SGPR: 6
; COMPUTE_PGM_RSRC2:TRAP_HANDLER: 0
; COMPUTE_PGM_RSRC2:TGID_X_EN: 1
; COMPUTE_PGM_RSRC2:TGID_Y_EN: 0
; COMPUTE_PGM_RSRC2:TGID_Z_EN: 0
; COMPUTE_PGM_RSRC2:TIDIG_COMP_CNT: 0
	.section	.text._ZN9rocsparseL19gebsrmvn_2xn_kernelILj128ELj12ELj16E21rocsparse_complex_numIdEEEvi20rocsparse_direction_NS_24const_host_device_scalarIT2_EEPKiS8_PKS5_SA_S6_PS5_21rocsparse_index_base_b,"axG",@progbits,_ZN9rocsparseL19gebsrmvn_2xn_kernelILj128ELj12ELj16E21rocsparse_complex_numIdEEEvi20rocsparse_direction_NS_24const_host_device_scalarIT2_EEPKiS8_PKS5_SA_S6_PS5_21rocsparse_index_base_b,comdat
	.globl	_ZN9rocsparseL19gebsrmvn_2xn_kernelILj128ELj12ELj16E21rocsparse_complex_numIdEEEvi20rocsparse_direction_NS_24const_host_device_scalarIT2_EEPKiS8_PKS5_SA_S6_PS5_21rocsparse_index_base_b ; -- Begin function _ZN9rocsparseL19gebsrmvn_2xn_kernelILj128ELj12ELj16E21rocsparse_complex_numIdEEEvi20rocsparse_direction_NS_24const_host_device_scalarIT2_EEPKiS8_PKS5_SA_S6_PS5_21rocsparse_index_base_b
	.p2align	8
	.type	_ZN9rocsparseL19gebsrmvn_2xn_kernelILj128ELj12ELj16E21rocsparse_complex_numIdEEEvi20rocsparse_direction_NS_24const_host_device_scalarIT2_EEPKiS8_PKS5_SA_S6_PS5_21rocsparse_index_base_b,@function
_ZN9rocsparseL19gebsrmvn_2xn_kernelILj128ELj12ELj16E21rocsparse_complex_numIdEEEvi20rocsparse_direction_NS_24const_host_device_scalarIT2_EEPKiS8_PKS5_SA_S6_PS5_21rocsparse_index_base_b: ; @_ZN9rocsparseL19gebsrmvn_2xn_kernelILj128ELj12ELj16E21rocsparse_complex_numIdEEEvi20rocsparse_direction_NS_24const_host_device_scalarIT2_EEPKiS8_PKS5_SA_S6_PS5_21rocsparse_index_base_b
; %bb.0:
	s_clause 0x1
	s_load_dwordx2 s[2:3], s[4:5], 0x50
	s_load_dwordx2 s[0:1], s[4:5], 0x8
	s_add_u32 s7, s4, 8
	s_addc_u32 s10, s5, 0
	s_add_u32 s11, s4, 56
	s_addc_u32 s12, s5, 0
	s_load_dwordx2 s[8:9], s[4:5], 0x38
	s_waitcnt lgkmcnt(0)
	s_bitcmp1_b32 s3, 0
	s_cselect_b32 s0, s7, s0
	s_cselect_b32 s1, s10, s1
	v_mov_b32_e32 v1, s0
	v_mov_b32_e32 v2, s1
	s_cselect_b32 s0, s11, s8
	s_cselect_b32 s1, s12, s9
	v_mov_b32_e32 v5, s0
	v_mov_b32_e32 v6, s1
	flat_load_dwordx4 v[1:4], v[1:2]
	flat_load_dwordx4 v[5:8], v[5:6]
	s_waitcnt vmcnt(1) lgkmcnt(1)
	v_cmp_eq_f64_e32 vcc_lo, 0, v[1:2]
	v_cmp_eq_f64_e64 s0, 0, v[3:4]
	s_and_b32 s3, vcc_lo, s0
	s_mov_b32 s0, -1
	s_and_saveexec_b32 s1, s3
	s_cbranch_execz .LBB280_2
; %bb.1:
	s_waitcnt vmcnt(0) lgkmcnt(0)
	v_cmp_neq_f64_e32 vcc_lo, 1.0, v[5:6]
	v_cmp_neq_f64_e64 s0, 0, v[7:8]
	s_or_b32 s0, vcc_lo, s0
	s_orn2_b32 s0, s0, exec_lo
.LBB280_2:
	s_or_b32 exec_lo, exec_lo, s1
	s_and_saveexec_b32 s1, s0
	s_cbranch_execz .LBB280_25
; %bb.3:
	s_load_dwordx2 s[0:1], s[4:5], 0x0
	v_lshrrev_b32_e32 v9, 4, v0
	v_lshl_or_b32 v9, s6, 3, v9
	s_waitcnt lgkmcnt(0)
	v_cmp_gt_i32_e32 vcc_lo, s0, v9
	s_and_b32 exec_lo, exec_lo, vcc_lo
	s_cbranch_execz .LBB280_25
; %bb.4:
	s_load_dwordx8 s[8:15], s[4:5], 0x18
	v_ashrrev_i32_e32 v10, 31, v9
	v_and_b32_e32 v0, 15, v0
	s_cmp_lg_u32 s1, 0
	v_lshlrev_b64 v[10:11], 2, v[9:10]
	s_waitcnt lgkmcnt(0)
	v_add_co_u32 v10, vcc_lo, s8, v10
	v_add_co_ci_u32_e64 v11, null, s9, v11, vcc_lo
	global_load_dwordx2 v[11:12], v[10:11], off
	s_waitcnt vmcnt(0)
	v_subrev_nc_u32_e32 v10, s2, v11
	v_subrev_nc_u32_e32 v25, s2, v12
	v_add_nc_u32_e32 v10, v10, v0
	v_cmp_lt_i32_e64 s0, v10, v25
	s_cbranch_scc0 .LBB280_12
; %bb.5:
	v_mov_b32_e32 v12, 0
	v_mov_b32_e32 v14, 0
	v_mov_b32_e32 v16, 0
	v_mov_b32_e32 v18, 0
	v_mov_b32_e32 v13, 0
	v_mov_b32_e32 v15, 0
	v_mov_b32_e32 v17, 0
	v_mov_b32_e32 v19, 0
	s_and_saveexec_b32 s1, s0
	s_cbranch_execz .LBB280_11
; %bb.6:
	v_mul_lo_u32 v14, v11, 24
	v_mul_lo_u32 v26, v10, 24
	s_mul_i32 s3, s2, 24
	v_mov_b32_e32 v12, 0
	v_mov_b32_e32 v16, 0
	;; [unrolled: 1-line block ×5, first 2 shown]
	v_mad_u32_u24 v20, v0, 24, v14
	v_mov_b32_e32 v14, 0
	v_mov_b32_e32 v15, 0
	;; [unrolled: 1-line block ×4, first 2 shown]
	v_subrev_nc_u32_e32 v27, s3, v20
	v_mov_b32_e32 v22, v10
	s_mov_b32 s3, 0
.LBB280_7:                              ; =>This Loop Header: Depth=1
                                        ;     Child Loop BB280_8 Depth 2
	v_ashrrev_i32_e32 v23, 31, v22
	s_mov_b32 s6, 0
	v_lshlrev_b64 v[23:24], 2, v[22:23]
	v_add_co_u32 v23, vcc_lo, s10, v23
	v_add_co_ci_u32_e64 v24, null, s11, v24, vcc_lo
	global_load_dword v20, v[23:24], off
	s_waitcnt vmcnt(0)
	v_subrev_nc_u32_e32 v20, s2, v20
	v_mul_lo_u32 v23, v20, 12
.LBB280_8:                              ;   Parent Loop BB280_7 Depth=1
                                        ; =>  This Inner Loop Header: Depth=2
	v_mov_b32_e32 v24, v21
	v_add_nc_u32_e32 v20, s6, v27
	v_lshlrev_b64 v[28:29], 4, v[23:24]
	v_lshlrev_b64 v[30:31], 4, v[20:21]
	v_add3_u32 v20, v26, s6, 4
	v_add_nc_u32_e32 v23, 4, v23
	s_add_i32 s6, s6, 8
	s_cmp_eq_u32 s6, 24
	v_add_co_u32 v56, vcc_lo, s14, v28
	v_add_co_ci_u32_e64 v57, null, s15, v29, vcc_lo
	v_add_co_u32 v48, vcc_lo, s12, v30
	v_add_co_ci_u32_e64 v49, null, s13, v31, vcc_lo
	global_load_dwordx4 v[28:31], v[56:57], off
	s_clause 0x1
	global_load_dwordx4 v[32:35], v[48:49], off
	global_load_dwordx4 v[36:39], v[48:49], off offset:16
	global_load_dwordx4 v[40:43], v[56:57], off offset:16
	s_clause 0x1
	global_load_dwordx4 v[44:47], v[48:49], off offset:32
	global_load_dwordx4 v[48:51], v[48:49], off offset:48
	v_lshlrev_b64 v[52:53], 4, v[20:21]
	v_add_co_u32 v72, vcc_lo, s12, v52
	v_add_co_ci_u32_e64 v73, null, s13, v53, vcc_lo
	s_clause 0x1
	global_load_dwordx4 v[52:55], v[56:57], off offset:48
	global_load_dwordx4 v[56:59], v[56:57], off offset:32
	s_clause 0x3
	global_load_dwordx4 v[60:63], v[72:73], off
	global_load_dwordx4 v[64:67], v[72:73], off offset:16
	global_load_dwordx4 v[68:71], v[72:73], off offset:32
	;; [unrolled: 1-line block ×3, first 2 shown]
	s_waitcnt vmcnt(10)
	v_fma_f64 v[14:15], v[32:33], v[28:29], v[14:15]
	v_fma_f64 v[12:13], v[34:35], v[28:29], v[12:13]
	s_waitcnt vmcnt(9)
	v_fma_f64 v[16:17], v[36:37], v[28:29], v[16:17]
	v_fma_f64 v[18:19], v[38:39], v[28:29], v[18:19]
	v_fma_f64 v[14:15], -v[34:35], v[30:31], v[14:15]
	v_fma_f64 v[12:13], v[32:33], v[30:31], v[12:13]
	v_fma_f64 v[16:17], -v[38:39], v[30:31], v[16:17]
	v_fma_f64 v[18:19], v[36:37], v[30:31], v[18:19]
	s_waitcnt vmcnt(7)
	v_fma_f64 v[14:15], v[44:45], v[40:41], v[14:15]
	v_fma_f64 v[12:13], v[46:47], v[40:41], v[12:13]
	s_waitcnt vmcnt(6)
	v_fma_f64 v[16:17], v[48:49], v[40:41], v[16:17]
	v_fma_f64 v[18:19], v[50:51], v[40:41], v[18:19]
	v_fma_f64 v[14:15], -v[46:47], v[42:43], v[14:15]
	v_fma_f64 v[12:13], v[44:45], v[42:43], v[12:13]
	v_fma_f64 v[16:17], -v[50:51], v[42:43], v[16:17]
	v_fma_f64 v[18:19], v[48:49], v[42:43], v[18:19]
	;; [unrolled: 10-line block ×4, first 2 shown]
	s_cbranch_scc0 .LBB280_8
; %bb.9:                                ;   in Loop: Header=BB280_7 Depth=1
	v_add_nc_u32_e32 v22, 16, v22
	v_add_nc_u32_e32 v26, 0x180, v26
	v_add_nc_u32_e32 v27, 0x180, v27
	v_cmp_ge_i32_e32 vcc_lo, v22, v25
	s_or_b32 s3, vcc_lo, s3
	s_andn2_b32 exec_lo, exec_lo, s3
	s_cbranch_execnz .LBB280_7
; %bb.10:
	s_or_b32 exec_lo, exec_lo, s3
.LBB280_11:
	s_or_b32 exec_lo, exec_lo, s1
	s_cbranch_execz .LBB280_13
	s_branch .LBB280_20
.LBB280_12:
                                        ; implicit-def: $vgpr12_vgpr13
                                        ; implicit-def: $vgpr14_vgpr15
                                        ; implicit-def: $vgpr16_vgpr17
                                        ; implicit-def: $vgpr18_vgpr19
.LBB280_13:
	v_mov_b32_e32 v12, 0
	v_mov_b32_e32 v14, 0
	;; [unrolled: 1-line block ×8, first 2 shown]
	s_and_saveexec_b32 s1, s0
	s_cbranch_execz .LBB280_19
; %bb.14:
	v_mul_lo_u32 v11, v11, 24
	v_mul_lo_u32 v22, v10, 24
	s_mul_i32 s0, s2, 24
	v_mov_b32_e32 v12, 0
	v_mov_b32_e32 v14, 0
	;; [unrolled: 1-line block ×5, first 2 shown]
	v_mad_u32_u24 v11, v0, 24, v11
	v_mov_b32_e32 v15, 0
	v_mov_b32_e32 v17, 0
	;; [unrolled: 1-line block ×4, first 2 shown]
	v_subrev_nc_u32_e32 v23, s0, v11
	s_mov_b32 s0, 0
.LBB280_15:                             ; =>This Loop Header: Depth=1
                                        ;     Child Loop BB280_16 Depth 2
	v_ashrrev_i32_e32 v11, 31, v10
	s_mov_b32 s3, 0
	v_lshlrev_b64 v[26:27], 2, v[10:11]
	v_add_co_u32 v26, vcc_lo, s10, v26
	v_add_co_ci_u32_e64 v27, null, s11, v27, vcc_lo
	global_load_dword v11, v[26:27], off
	s_waitcnt vmcnt(0)
	v_subrev_nc_u32_e32 v11, s2, v11
	v_mul_lo_u32 v11, v11, 12
.LBB280_16:                             ;   Parent Loop BB280_15 Depth=1
                                        ; =>  This Inner Loop Header: Depth=2
	v_add_nc_u32_e32 v20, s3, v23
	v_lshlrev_b64 v[26:27], 4, v[20:21]
	v_add_nc_u32_e32 v20, s3, v11
	v_lshlrev_b64 v[28:29], 4, v[20:21]
	v_add3_u32 v20, v22, s3, 12
	v_add_co_u32 v62, vcc_lo, s12, v26
	v_add_co_ci_u32_e64 v63, null, s13, v27, vcc_lo
	v_lshlrev_b64 v[26:27], 4, v[20:21]
	v_add_co_u32 v66, vcc_lo, s14, v28
	v_add_co_ci_u32_e64 v67, null, s15, v29, vcc_lo
	s_add_i32 s3, s3, 4
	v_add_co_u32 v70, vcc_lo, s12, v26
	v_add_co_ci_u32_e64 v71, null, s13, v27, vcc_lo
	global_load_dwordx4 v[26:29], v[62:63], off
	global_load_dwordx4 v[30:33], v[66:67], off
	s_clause 0x1
	global_load_dwordx4 v[34:37], v[70:71], off
	global_load_dwordx4 v[38:41], v[62:63], off offset:16
	global_load_dwordx4 v[42:45], v[66:67], off offset:16
	s_clause 0x1
	global_load_dwordx4 v[46:49], v[70:71], off offset:16
	global_load_dwordx4 v[50:53], v[62:63], off offset:32
	;; [unrolled: 1-line block ×3, first 2 shown]
	s_clause 0x1
	global_load_dwordx4 v[58:61], v[70:71], off offset:32
	global_load_dwordx4 v[62:65], v[62:63], off offset:48
	;; [unrolled: 1-line block ×4, first 2 shown]
	s_cmp_eq_u32 s3, 12
	s_waitcnt vmcnt(10)
	v_fma_f64 v[14:15], v[26:27], v[30:31], v[14:15]
	v_fma_f64 v[12:13], v[28:29], v[30:31], v[12:13]
	s_waitcnt vmcnt(9)
	v_fma_f64 v[16:17], v[34:35], v[30:31], v[16:17]
	v_fma_f64 v[18:19], v[36:37], v[30:31], v[18:19]
	v_fma_f64 v[14:15], -v[28:29], v[32:33], v[14:15]
	v_fma_f64 v[12:13], v[26:27], v[32:33], v[12:13]
	v_fma_f64 v[16:17], -v[36:37], v[32:33], v[16:17]
	v_fma_f64 v[18:19], v[34:35], v[32:33], v[18:19]
	s_waitcnt vmcnt(7)
	v_fma_f64 v[14:15], v[38:39], v[42:43], v[14:15]
	v_fma_f64 v[12:13], v[40:41], v[42:43], v[12:13]
	s_waitcnt vmcnt(6)
	v_fma_f64 v[16:17], v[46:47], v[42:43], v[16:17]
	v_fma_f64 v[18:19], v[48:49], v[42:43], v[18:19]
	v_fma_f64 v[14:15], -v[40:41], v[44:45], v[14:15]
	v_fma_f64 v[12:13], v[38:39], v[44:45], v[12:13]
	v_fma_f64 v[16:17], -v[48:49], v[44:45], v[16:17]
	v_fma_f64 v[18:19], v[46:47], v[44:45], v[18:19]
	;; [unrolled: 10-line block ×4, first 2 shown]
	s_cbranch_scc0 .LBB280_16
; %bb.17:                               ;   in Loop: Header=BB280_15 Depth=1
	v_add_nc_u32_e32 v10, 16, v10
	v_add_nc_u32_e32 v22, 0x180, v22
	;; [unrolled: 1-line block ×3, first 2 shown]
	v_cmp_ge_i32_e32 vcc_lo, v10, v25
	s_or_b32 s0, vcc_lo, s0
	s_andn2_b32 exec_lo, exec_lo, s0
	s_cbranch_execnz .LBB280_15
; %bb.18:
	s_or_b32 exec_lo, exec_lo, s0
.LBB280_19:
	s_or_b32 exec_lo, exec_lo, s1
.LBB280_20:
	v_mbcnt_lo_u32_b32 v26, -1, 0
	v_xor_b32_e32 v10, 8, v26
	v_cmp_gt_i32_e32 vcc_lo, 32, v10
	v_cndmask_b32_e32 v10, v26, v10, vcc_lo
	v_lshlrev_b32_e32 v25, 2, v10
	ds_bpermute_b32 v10, v25, v14
	ds_bpermute_b32 v11, v25, v15
	;; [unrolled: 1-line block ×8, first 2 shown]
	s_waitcnt lgkmcnt(6)
	v_add_f64 v[10:11], v[14:15], v[10:11]
	s_waitcnt lgkmcnt(4)
	v_add_f64 v[12:13], v[12:13], v[20:21]
	v_xor_b32_e32 v20, 4, v26
	s_waitcnt lgkmcnt(2)
	v_add_f64 v[14:15], v[16:17], v[22:23]
	s_waitcnt lgkmcnt(0)
	v_add_f64 v[16:17], v[18:19], v[24:25]
	v_cmp_gt_i32_e32 vcc_lo, 32, v20
	v_cndmask_b32_e32 v18, v26, v20, vcc_lo
	v_lshlrev_b32_e32 v25, 2, v18
	ds_bpermute_b32 v18, v25, v10
	ds_bpermute_b32 v19, v25, v11
	;; [unrolled: 1-line block ×8, first 2 shown]
	s_waitcnt lgkmcnt(6)
	v_add_f64 v[10:11], v[10:11], v[18:19]
	s_waitcnt lgkmcnt(4)
	v_add_f64 v[12:13], v[12:13], v[20:21]
	;; [unrolled: 2-line block ×4, first 2 shown]
	v_xor_b32_e32 v16, 2, v26
	v_cmp_gt_i32_e32 vcc_lo, 32, v16
	v_cndmask_b32_e32 v16, v26, v16, vcc_lo
	v_lshlrev_b32_e32 v25, 2, v16
	ds_bpermute_b32 v16, v25, v10
	ds_bpermute_b32 v17, v25, v11
	;; [unrolled: 1-line block ×8, first 2 shown]
	s_waitcnt lgkmcnt(6)
	v_add_f64 v[10:11], v[10:11], v[16:17]
	s_waitcnt lgkmcnt(4)
	v_add_f64 v[16:17], v[12:13], v[20:21]
	;; [unrolled: 2-line block ×4, first 2 shown]
	v_xor_b32_e32 v18, 1, v26
	v_cmp_gt_i32_e32 vcc_lo, 32, v18
	v_cndmask_b32_e32 v18, v26, v18, vcc_lo
	v_cmp_eq_u32_e32 vcc_lo, 15, v0
	v_lshlrev_b32_e32 v21, 2, v18
	ds_bpermute_b32 v24, v21, v10
	ds_bpermute_b32 v25, v21, v11
	;; [unrolled: 1-line block ×8, first 2 shown]
	s_and_b32 exec_lo, exec_lo, vcc_lo
	s_cbranch_execz .LBB280_25
; %bb.21:
	v_cmp_eq_f64_e32 vcc_lo, 0, v[5:6]
	v_cmp_eq_f64_e64 s0, 0, v[7:8]
	s_waitcnt lgkmcnt(6)
	v_add_f64 v[10:11], v[10:11], v[24:25]
	s_waitcnt lgkmcnt(4)
	v_add_f64 v[16:17], v[16:17], v[22:23]
	;; [unrolled: 2-line block ×4, first 2 shown]
	s_load_dwordx2 s[2:3], s[4:5], 0x48
	s_and_b32 s0, vcc_lo, s0
	s_and_saveexec_b32 s1, s0
	s_xor_b32 s0, exec_lo, s1
	s_cbranch_execz .LBB280_23
; %bb.22:
	v_mul_f64 v[5:6], v[16:17], -v[3:4]
	v_mul_f64 v[7:8], v[1:2], v[16:17]
	v_mul_f64 v[16:17], v[14:15], -v[3:4]
	v_mul_f64 v[14:15], v[1:2], v[14:15]
	v_lshlrev_b32_e32 v9, 1, v9
	v_fma_f64 v[5:6], v[1:2], v[10:11], v[5:6]
	v_fma_f64 v[7:8], v[3:4], v[10:11], v[7:8]
	;; [unrolled: 1-line block ×4, first 2 shown]
	v_ashrrev_i32_e32 v10, 31, v9
                                        ; implicit-def: $vgpr16_vgpr17
                                        ; implicit-def: $vgpr12_vgpr13
                                        ; implicit-def: $vgpr14_vgpr15
	v_lshlrev_b64 v[9:10], 4, v[9:10]
	s_waitcnt lgkmcnt(0)
	v_add_co_u32 v9, vcc_lo, s2, v9
	v_add_co_ci_u32_e64 v10, null, s3, v10, vcc_lo
	global_store_dwordx4 v[9:10], v[5:8], off
	global_store_dwordx4 v[9:10], v[0:3], off offset:16
                                        ; implicit-def: $vgpr9
                                        ; implicit-def: $vgpr10_vgpr11
                                        ; implicit-def: $vgpr7_vgpr8
                                        ; implicit-def: $vgpr3_vgpr4
.LBB280_23:
	s_andn2_saveexec_b32 s0, s0
	s_cbranch_execz .LBB280_25
; %bb.24:
	v_lshlrev_b32_e32 v18, 1, v9
	v_mul_f64 v[28:29], v[16:17], -v[3:4]
	v_mul_f64 v[16:17], v[1:2], v[16:17]
	v_mul_f64 v[30:31], v[14:15], -v[3:4]
	v_mul_f64 v[14:15], v[1:2], v[14:15]
	v_ashrrev_i32_e32 v19, 31, v18
	v_lshlrev_b64 v[18:19], 4, v[18:19]
	s_waitcnt lgkmcnt(0)
	v_add_co_u32 v26, vcc_lo, s2, v18
	v_add_co_ci_u32_e64 v27, null, s3, v19, vcc_lo
	s_clause 0x1
	global_load_dwordx4 v[18:21], v[26:27], off
	global_load_dwordx4 v[22:25], v[26:27], off offset:16
	v_fma_f64 v[28:29], v[1:2], v[10:11], v[28:29]
	v_fma_f64 v[9:10], v[3:4], v[10:11], v[16:17]
	;; [unrolled: 1-line block ×4, first 2 shown]
	s_waitcnt vmcnt(1)
	v_fma_f64 v[11:12], v[5:6], v[18:19], v[28:29]
	v_fma_f64 v[9:10], v[7:8], v[18:19], v[9:10]
	s_waitcnt vmcnt(0)
	v_fma_f64 v[13:14], v[5:6], v[22:23], v[0:1]
	v_fma_f64 v[15:16], v[7:8], v[22:23], v[2:3]
	v_fma_f64 v[0:1], -v[7:8], v[20:21], v[11:12]
	v_fma_f64 v[2:3], v[5:6], v[20:21], v[9:10]
	v_fma_f64 v[7:8], -v[7:8], v[24:25], v[13:14]
	v_fma_f64 v[9:10], v[5:6], v[24:25], v[15:16]
	global_store_dwordx4 v[26:27], v[0:3], off
	global_store_dwordx4 v[26:27], v[7:10], off offset:16
.LBB280_25:
	s_endpgm
	.section	.rodata,"a",@progbits
	.p2align	6, 0x0
	.amdhsa_kernel _ZN9rocsparseL19gebsrmvn_2xn_kernelILj128ELj12ELj16E21rocsparse_complex_numIdEEEvi20rocsparse_direction_NS_24const_host_device_scalarIT2_EEPKiS8_PKS5_SA_S6_PS5_21rocsparse_index_base_b
		.amdhsa_group_segment_fixed_size 0
		.amdhsa_private_segment_fixed_size 0
		.amdhsa_kernarg_size 88
		.amdhsa_user_sgpr_count 6
		.amdhsa_user_sgpr_private_segment_buffer 1
		.amdhsa_user_sgpr_dispatch_ptr 0
		.amdhsa_user_sgpr_queue_ptr 0
		.amdhsa_user_sgpr_kernarg_segment_ptr 1
		.amdhsa_user_sgpr_dispatch_id 0
		.amdhsa_user_sgpr_flat_scratch_init 0
		.amdhsa_user_sgpr_private_segment_size 0
		.amdhsa_wavefront_size32 1
		.amdhsa_uses_dynamic_stack 0
		.amdhsa_system_sgpr_private_segment_wavefront_offset 0
		.amdhsa_system_sgpr_workgroup_id_x 1
		.amdhsa_system_sgpr_workgroup_id_y 0
		.amdhsa_system_sgpr_workgroup_id_z 0
		.amdhsa_system_sgpr_workgroup_info 0
		.amdhsa_system_vgpr_workitem_id 0
		.amdhsa_next_free_vgpr 76
		.amdhsa_next_free_sgpr 16
		.amdhsa_reserve_vcc 1
		.amdhsa_reserve_flat_scratch 0
		.amdhsa_float_round_mode_32 0
		.amdhsa_float_round_mode_16_64 0
		.amdhsa_float_denorm_mode_32 3
		.amdhsa_float_denorm_mode_16_64 3
		.amdhsa_dx10_clamp 1
		.amdhsa_ieee_mode 1
		.amdhsa_fp16_overflow 0
		.amdhsa_workgroup_processor_mode 1
		.amdhsa_memory_ordered 1
		.amdhsa_forward_progress 1
		.amdhsa_shared_vgpr_count 0
		.amdhsa_exception_fp_ieee_invalid_op 0
		.amdhsa_exception_fp_denorm_src 0
		.amdhsa_exception_fp_ieee_div_zero 0
		.amdhsa_exception_fp_ieee_overflow 0
		.amdhsa_exception_fp_ieee_underflow 0
		.amdhsa_exception_fp_ieee_inexact 0
		.amdhsa_exception_int_div_zero 0
	.end_amdhsa_kernel
	.section	.text._ZN9rocsparseL19gebsrmvn_2xn_kernelILj128ELj12ELj16E21rocsparse_complex_numIdEEEvi20rocsparse_direction_NS_24const_host_device_scalarIT2_EEPKiS8_PKS5_SA_S6_PS5_21rocsparse_index_base_b,"axG",@progbits,_ZN9rocsparseL19gebsrmvn_2xn_kernelILj128ELj12ELj16E21rocsparse_complex_numIdEEEvi20rocsparse_direction_NS_24const_host_device_scalarIT2_EEPKiS8_PKS5_SA_S6_PS5_21rocsparse_index_base_b,comdat
.Lfunc_end280:
	.size	_ZN9rocsparseL19gebsrmvn_2xn_kernelILj128ELj12ELj16E21rocsparse_complex_numIdEEEvi20rocsparse_direction_NS_24const_host_device_scalarIT2_EEPKiS8_PKS5_SA_S6_PS5_21rocsparse_index_base_b, .Lfunc_end280-_ZN9rocsparseL19gebsrmvn_2xn_kernelILj128ELj12ELj16E21rocsparse_complex_numIdEEEvi20rocsparse_direction_NS_24const_host_device_scalarIT2_EEPKiS8_PKS5_SA_S6_PS5_21rocsparse_index_base_b
                                        ; -- End function
	.set _ZN9rocsparseL19gebsrmvn_2xn_kernelILj128ELj12ELj16E21rocsparse_complex_numIdEEEvi20rocsparse_direction_NS_24const_host_device_scalarIT2_EEPKiS8_PKS5_SA_S6_PS5_21rocsparse_index_base_b.num_vgpr, 76
	.set _ZN9rocsparseL19gebsrmvn_2xn_kernelILj128ELj12ELj16E21rocsparse_complex_numIdEEEvi20rocsparse_direction_NS_24const_host_device_scalarIT2_EEPKiS8_PKS5_SA_S6_PS5_21rocsparse_index_base_b.num_agpr, 0
	.set _ZN9rocsparseL19gebsrmvn_2xn_kernelILj128ELj12ELj16E21rocsparse_complex_numIdEEEvi20rocsparse_direction_NS_24const_host_device_scalarIT2_EEPKiS8_PKS5_SA_S6_PS5_21rocsparse_index_base_b.numbered_sgpr, 16
	.set _ZN9rocsparseL19gebsrmvn_2xn_kernelILj128ELj12ELj16E21rocsparse_complex_numIdEEEvi20rocsparse_direction_NS_24const_host_device_scalarIT2_EEPKiS8_PKS5_SA_S6_PS5_21rocsparse_index_base_b.num_named_barrier, 0
	.set _ZN9rocsparseL19gebsrmvn_2xn_kernelILj128ELj12ELj16E21rocsparse_complex_numIdEEEvi20rocsparse_direction_NS_24const_host_device_scalarIT2_EEPKiS8_PKS5_SA_S6_PS5_21rocsparse_index_base_b.private_seg_size, 0
	.set _ZN9rocsparseL19gebsrmvn_2xn_kernelILj128ELj12ELj16E21rocsparse_complex_numIdEEEvi20rocsparse_direction_NS_24const_host_device_scalarIT2_EEPKiS8_PKS5_SA_S6_PS5_21rocsparse_index_base_b.uses_vcc, 1
	.set _ZN9rocsparseL19gebsrmvn_2xn_kernelILj128ELj12ELj16E21rocsparse_complex_numIdEEEvi20rocsparse_direction_NS_24const_host_device_scalarIT2_EEPKiS8_PKS5_SA_S6_PS5_21rocsparse_index_base_b.uses_flat_scratch, 0
	.set _ZN9rocsparseL19gebsrmvn_2xn_kernelILj128ELj12ELj16E21rocsparse_complex_numIdEEEvi20rocsparse_direction_NS_24const_host_device_scalarIT2_EEPKiS8_PKS5_SA_S6_PS5_21rocsparse_index_base_b.has_dyn_sized_stack, 0
	.set _ZN9rocsparseL19gebsrmvn_2xn_kernelILj128ELj12ELj16E21rocsparse_complex_numIdEEEvi20rocsparse_direction_NS_24const_host_device_scalarIT2_EEPKiS8_PKS5_SA_S6_PS5_21rocsparse_index_base_b.has_recursion, 0
	.set _ZN9rocsparseL19gebsrmvn_2xn_kernelILj128ELj12ELj16E21rocsparse_complex_numIdEEEvi20rocsparse_direction_NS_24const_host_device_scalarIT2_EEPKiS8_PKS5_SA_S6_PS5_21rocsparse_index_base_b.has_indirect_call, 0
	.section	.AMDGPU.csdata,"",@progbits
; Kernel info:
; codeLenInByte = 2628
; TotalNumSgprs: 18
; NumVgprs: 76
; ScratchSize: 0
; MemoryBound: 1
; FloatMode: 240
; IeeeMode: 1
; LDSByteSize: 0 bytes/workgroup (compile time only)
; SGPRBlocks: 0
; VGPRBlocks: 9
; NumSGPRsForWavesPerEU: 18
; NumVGPRsForWavesPerEU: 76
; Occupancy: 12
; WaveLimiterHint : 1
; COMPUTE_PGM_RSRC2:SCRATCH_EN: 0
; COMPUTE_PGM_RSRC2:USER_SGPR: 6
; COMPUTE_PGM_RSRC2:TRAP_HANDLER: 0
; COMPUTE_PGM_RSRC2:TGID_X_EN: 1
; COMPUTE_PGM_RSRC2:TGID_Y_EN: 0
; COMPUTE_PGM_RSRC2:TGID_Z_EN: 0
; COMPUTE_PGM_RSRC2:TIDIG_COMP_CNT: 0
	.section	.text._ZN9rocsparseL19gebsrmvn_2xn_kernelILj128ELj12ELj32E21rocsparse_complex_numIdEEEvi20rocsparse_direction_NS_24const_host_device_scalarIT2_EEPKiS8_PKS5_SA_S6_PS5_21rocsparse_index_base_b,"axG",@progbits,_ZN9rocsparseL19gebsrmvn_2xn_kernelILj128ELj12ELj32E21rocsparse_complex_numIdEEEvi20rocsparse_direction_NS_24const_host_device_scalarIT2_EEPKiS8_PKS5_SA_S6_PS5_21rocsparse_index_base_b,comdat
	.globl	_ZN9rocsparseL19gebsrmvn_2xn_kernelILj128ELj12ELj32E21rocsparse_complex_numIdEEEvi20rocsparse_direction_NS_24const_host_device_scalarIT2_EEPKiS8_PKS5_SA_S6_PS5_21rocsparse_index_base_b ; -- Begin function _ZN9rocsparseL19gebsrmvn_2xn_kernelILj128ELj12ELj32E21rocsparse_complex_numIdEEEvi20rocsparse_direction_NS_24const_host_device_scalarIT2_EEPKiS8_PKS5_SA_S6_PS5_21rocsparse_index_base_b
	.p2align	8
	.type	_ZN9rocsparseL19gebsrmvn_2xn_kernelILj128ELj12ELj32E21rocsparse_complex_numIdEEEvi20rocsparse_direction_NS_24const_host_device_scalarIT2_EEPKiS8_PKS5_SA_S6_PS5_21rocsparse_index_base_b,@function
_ZN9rocsparseL19gebsrmvn_2xn_kernelILj128ELj12ELj32E21rocsparse_complex_numIdEEEvi20rocsparse_direction_NS_24const_host_device_scalarIT2_EEPKiS8_PKS5_SA_S6_PS5_21rocsparse_index_base_b: ; @_ZN9rocsparseL19gebsrmvn_2xn_kernelILj128ELj12ELj32E21rocsparse_complex_numIdEEEvi20rocsparse_direction_NS_24const_host_device_scalarIT2_EEPKiS8_PKS5_SA_S6_PS5_21rocsparse_index_base_b
; %bb.0:
	s_clause 0x1
	s_load_dwordx2 s[2:3], s[4:5], 0x50
	s_load_dwordx2 s[0:1], s[4:5], 0x8
	s_add_u32 s7, s4, 8
	s_addc_u32 s10, s5, 0
	s_add_u32 s11, s4, 56
	s_addc_u32 s12, s5, 0
	s_load_dwordx2 s[8:9], s[4:5], 0x38
	s_waitcnt lgkmcnt(0)
	s_bitcmp1_b32 s3, 0
	s_cselect_b32 s0, s7, s0
	s_cselect_b32 s1, s10, s1
	v_mov_b32_e32 v1, s0
	v_mov_b32_e32 v2, s1
	s_cselect_b32 s0, s11, s8
	s_cselect_b32 s1, s12, s9
	v_mov_b32_e32 v5, s0
	v_mov_b32_e32 v6, s1
	flat_load_dwordx4 v[1:4], v[1:2]
	flat_load_dwordx4 v[5:8], v[5:6]
	s_waitcnt vmcnt(1) lgkmcnt(1)
	v_cmp_eq_f64_e32 vcc_lo, 0, v[1:2]
	v_cmp_eq_f64_e64 s0, 0, v[3:4]
	s_and_b32 s3, vcc_lo, s0
	s_mov_b32 s0, -1
	s_and_saveexec_b32 s1, s3
	s_cbranch_execz .LBB281_2
; %bb.1:
	s_waitcnt vmcnt(0) lgkmcnt(0)
	v_cmp_neq_f64_e32 vcc_lo, 1.0, v[5:6]
	v_cmp_neq_f64_e64 s0, 0, v[7:8]
	s_or_b32 s0, vcc_lo, s0
	s_orn2_b32 s0, s0, exec_lo
.LBB281_2:
	s_or_b32 exec_lo, exec_lo, s1
	s_and_saveexec_b32 s1, s0
	s_cbranch_execz .LBB281_25
; %bb.3:
	s_load_dwordx2 s[0:1], s[4:5], 0x0
	v_lshrrev_b32_e32 v9, 5, v0
	v_lshl_or_b32 v9, s6, 2, v9
	s_waitcnt lgkmcnt(0)
	v_cmp_gt_i32_e32 vcc_lo, s0, v9
	s_and_b32 exec_lo, exec_lo, vcc_lo
	s_cbranch_execz .LBB281_25
; %bb.4:
	s_load_dwordx8 s[8:15], s[4:5], 0x18
	v_ashrrev_i32_e32 v10, 31, v9
	v_and_b32_e32 v0, 31, v0
	s_cmp_lg_u32 s1, 0
	v_lshlrev_b64 v[10:11], 2, v[9:10]
	s_waitcnt lgkmcnt(0)
	v_add_co_u32 v10, vcc_lo, s8, v10
	v_add_co_ci_u32_e64 v11, null, s9, v11, vcc_lo
	global_load_dwordx2 v[13:14], v[10:11], off
	s_waitcnt vmcnt(0)
	v_subrev_nc_u32_e32 v10, s2, v13
	v_subrev_nc_u32_e32 v25, s2, v14
	v_add_nc_u32_e32 v12, v10, v0
	v_cmp_lt_i32_e64 s0, v12, v25
	s_cbranch_scc0 .LBB281_12
; %bb.5:
	v_mov_b32_e32 v10, 0
	v_mov_b32_e32 v14, 0
	;; [unrolled: 1-line block ×8, first 2 shown]
	s_and_saveexec_b32 s1, s0
	s_cbranch_execz .LBB281_11
; %bb.6:
	v_mul_lo_u32 v14, v13, 24
	v_mul_lo_u32 v26, v12, 24
	s_mul_i32 s3, s2, 24
	v_mov_b32_e32 v10, 0
	v_mov_b32_e32 v16, 0
	;; [unrolled: 1-line block ×5, first 2 shown]
	v_mad_u32_u24 v20, v0, 24, v14
	v_mov_b32_e32 v14, 0
	v_mov_b32_e32 v15, 0
	;; [unrolled: 1-line block ×4, first 2 shown]
	v_subrev_nc_u32_e32 v27, s3, v20
	v_mov_b32_e32 v22, v12
	s_mov_b32 s3, 0
.LBB281_7:                              ; =>This Loop Header: Depth=1
                                        ;     Child Loop BB281_8 Depth 2
	v_ashrrev_i32_e32 v23, 31, v22
	s_mov_b32 s6, 0
	v_lshlrev_b64 v[23:24], 2, v[22:23]
	v_add_co_u32 v23, vcc_lo, s10, v23
	v_add_co_ci_u32_e64 v24, null, s11, v24, vcc_lo
	global_load_dword v20, v[23:24], off
	s_waitcnt vmcnt(0)
	v_subrev_nc_u32_e32 v20, s2, v20
	v_mul_lo_u32 v23, v20, 12
.LBB281_8:                              ;   Parent Loop BB281_7 Depth=1
                                        ; =>  This Inner Loop Header: Depth=2
	v_mov_b32_e32 v24, v21
	v_add_nc_u32_e32 v20, s6, v27
	v_lshlrev_b64 v[28:29], 4, v[23:24]
	v_lshlrev_b64 v[30:31], 4, v[20:21]
	v_add3_u32 v20, v26, s6, 4
	v_add_nc_u32_e32 v23, 4, v23
	s_add_i32 s6, s6, 8
	s_cmp_eq_u32 s6, 24
	v_add_co_u32 v56, vcc_lo, s14, v28
	v_add_co_ci_u32_e64 v57, null, s15, v29, vcc_lo
	v_add_co_u32 v48, vcc_lo, s12, v30
	v_add_co_ci_u32_e64 v49, null, s13, v31, vcc_lo
	global_load_dwordx4 v[28:31], v[56:57], off
	s_clause 0x1
	global_load_dwordx4 v[32:35], v[48:49], off
	global_load_dwordx4 v[36:39], v[48:49], off offset:16
	global_load_dwordx4 v[40:43], v[56:57], off offset:16
	s_clause 0x1
	global_load_dwordx4 v[44:47], v[48:49], off offset:32
	global_load_dwordx4 v[48:51], v[48:49], off offset:48
	v_lshlrev_b64 v[52:53], 4, v[20:21]
	v_add_co_u32 v72, vcc_lo, s12, v52
	v_add_co_ci_u32_e64 v73, null, s13, v53, vcc_lo
	s_clause 0x1
	global_load_dwordx4 v[52:55], v[56:57], off offset:48
	global_load_dwordx4 v[56:59], v[56:57], off offset:32
	s_clause 0x3
	global_load_dwordx4 v[60:63], v[72:73], off
	global_load_dwordx4 v[64:67], v[72:73], off offset:16
	global_load_dwordx4 v[68:71], v[72:73], off offset:32
	;; [unrolled: 1-line block ×3, first 2 shown]
	s_waitcnt vmcnt(10)
	v_fma_f64 v[14:15], v[32:33], v[28:29], v[14:15]
	v_fma_f64 v[10:11], v[34:35], v[28:29], v[10:11]
	s_waitcnt vmcnt(9)
	v_fma_f64 v[16:17], v[36:37], v[28:29], v[16:17]
	v_fma_f64 v[18:19], v[38:39], v[28:29], v[18:19]
	v_fma_f64 v[14:15], -v[34:35], v[30:31], v[14:15]
	v_fma_f64 v[10:11], v[32:33], v[30:31], v[10:11]
	v_fma_f64 v[16:17], -v[38:39], v[30:31], v[16:17]
	v_fma_f64 v[18:19], v[36:37], v[30:31], v[18:19]
	s_waitcnt vmcnt(7)
	v_fma_f64 v[14:15], v[44:45], v[40:41], v[14:15]
	v_fma_f64 v[10:11], v[46:47], v[40:41], v[10:11]
	s_waitcnt vmcnt(6)
	v_fma_f64 v[16:17], v[48:49], v[40:41], v[16:17]
	v_fma_f64 v[18:19], v[50:51], v[40:41], v[18:19]
	v_fma_f64 v[14:15], -v[46:47], v[42:43], v[14:15]
	v_fma_f64 v[10:11], v[44:45], v[42:43], v[10:11]
	v_fma_f64 v[16:17], -v[50:51], v[42:43], v[16:17]
	v_fma_f64 v[18:19], v[48:49], v[42:43], v[18:19]
	;; [unrolled: 10-line block ×4, first 2 shown]
	s_cbranch_scc0 .LBB281_8
; %bb.9:                                ;   in Loop: Header=BB281_7 Depth=1
	v_add_nc_u32_e32 v22, 32, v22
	v_add_nc_u32_e32 v26, 0x300, v26
	;; [unrolled: 1-line block ×3, first 2 shown]
	v_cmp_ge_i32_e32 vcc_lo, v22, v25
	s_or_b32 s3, vcc_lo, s3
	s_andn2_b32 exec_lo, exec_lo, s3
	s_cbranch_execnz .LBB281_7
; %bb.10:
	s_or_b32 exec_lo, exec_lo, s3
.LBB281_11:
	s_or_b32 exec_lo, exec_lo, s1
	s_cbranch_execz .LBB281_13
	s_branch .LBB281_20
.LBB281_12:
                                        ; implicit-def: $vgpr10_vgpr11
                                        ; implicit-def: $vgpr14_vgpr15
                                        ; implicit-def: $vgpr16_vgpr17
                                        ; implicit-def: $vgpr18_vgpr19
.LBB281_13:
	v_mov_b32_e32 v10, 0
	v_mov_b32_e32 v14, 0
	;; [unrolled: 1-line block ×8, first 2 shown]
	s_and_saveexec_b32 s1, s0
	s_cbranch_execz .LBB281_19
; %bb.14:
	v_mul_lo_u32 v10, v13, 24
	v_mul_lo_u32 v22, v12, 24
	s_mul_i32 s0, s2, 24
	v_mov_b32_e32 v14, 0
	v_mov_b32_e32 v16, 0
	;; [unrolled: 1-line block ×5, first 2 shown]
	v_mad_u32_u24 v13, v0, 24, v10
	v_mov_b32_e32 v10, 0
	v_mov_b32_e32 v11, 0
	;; [unrolled: 1-line block ×4, first 2 shown]
	v_subrev_nc_u32_e32 v23, s0, v13
	s_mov_b32 s0, 0
.LBB281_15:                             ; =>This Loop Header: Depth=1
                                        ;     Child Loop BB281_16 Depth 2
	v_ashrrev_i32_e32 v13, 31, v12
	s_mov_b32 s3, 0
	v_lshlrev_b64 v[26:27], 2, v[12:13]
	v_add_co_u32 v26, vcc_lo, s10, v26
	v_add_co_ci_u32_e64 v27, null, s11, v27, vcc_lo
	global_load_dword v13, v[26:27], off
	s_waitcnt vmcnt(0)
	v_subrev_nc_u32_e32 v13, s2, v13
	v_mul_lo_u32 v13, v13, 12
.LBB281_16:                             ;   Parent Loop BB281_15 Depth=1
                                        ; =>  This Inner Loop Header: Depth=2
	v_add_nc_u32_e32 v20, s3, v23
	v_lshlrev_b64 v[26:27], 4, v[20:21]
	v_add_nc_u32_e32 v20, s3, v13
	v_lshlrev_b64 v[28:29], 4, v[20:21]
	v_add3_u32 v20, v22, s3, 12
	v_add_co_u32 v62, vcc_lo, s12, v26
	v_add_co_ci_u32_e64 v63, null, s13, v27, vcc_lo
	v_lshlrev_b64 v[26:27], 4, v[20:21]
	v_add_co_u32 v66, vcc_lo, s14, v28
	v_add_co_ci_u32_e64 v67, null, s15, v29, vcc_lo
	s_add_i32 s3, s3, 4
	v_add_co_u32 v70, vcc_lo, s12, v26
	v_add_co_ci_u32_e64 v71, null, s13, v27, vcc_lo
	global_load_dwordx4 v[26:29], v[62:63], off
	global_load_dwordx4 v[30:33], v[66:67], off
	s_clause 0x1
	global_load_dwordx4 v[34:37], v[70:71], off
	global_load_dwordx4 v[38:41], v[62:63], off offset:16
	global_load_dwordx4 v[42:45], v[66:67], off offset:16
	s_clause 0x1
	global_load_dwordx4 v[46:49], v[70:71], off offset:16
	global_load_dwordx4 v[50:53], v[62:63], off offset:32
	;; [unrolled: 1-line block ×3, first 2 shown]
	s_clause 0x1
	global_load_dwordx4 v[58:61], v[70:71], off offset:32
	global_load_dwordx4 v[62:65], v[62:63], off offset:48
	;; [unrolled: 1-line block ×4, first 2 shown]
	s_cmp_eq_u32 s3, 12
	s_waitcnt vmcnt(10)
	v_fma_f64 v[14:15], v[26:27], v[30:31], v[14:15]
	v_fma_f64 v[10:11], v[28:29], v[30:31], v[10:11]
	s_waitcnt vmcnt(9)
	v_fma_f64 v[16:17], v[34:35], v[30:31], v[16:17]
	v_fma_f64 v[18:19], v[36:37], v[30:31], v[18:19]
	v_fma_f64 v[14:15], -v[28:29], v[32:33], v[14:15]
	v_fma_f64 v[10:11], v[26:27], v[32:33], v[10:11]
	v_fma_f64 v[16:17], -v[36:37], v[32:33], v[16:17]
	v_fma_f64 v[18:19], v[34:35], v[32:33], v[18:19]
	s_waitcnt vmcnt(7)
	v_fma_f64 v[14:15], v[38:39], v[42:43], v[14:15]
	v_fma_f64 v[10:11], v[40:41], v[42:43], v[10:11]
	s_waitcnt vmcnt(6)
	v_fma_f64 v[16:17], v[46:47], v[42:43], v[16:17]
	v_fma_f64 v[18:19], v[48:49], v[42:43], v[18:19]
	v_fma_f64 v[14:15], -v[40:41], v[44:45], v[14:15]
	v_fma_f64 v[10:11], v[38:39], v[44:45], v[10:11]
	v_fma_f64 v[16:17], -v[48:49], v[44:45], v[16:17]
	v_fma_f64 v[18:19], v[46:47], v[44:45], v[18:19]
	;; [unrolled: 10-line block ×4, first 2 shown]
	s_cbranch_scc0 .LBB281_16
; %bb.17:                               ;   in Loop: Header=BB281_15 Depth=1
	v_add_nc_u32_e32 v12, 32, v12
	v_add_nc_u32_e32 v22, 0x300, v22
	;; [unrolled: 1-line block ×3, first 2 shown]
	v_cmp_ge_i32_e32 vcc_lo, v12, v25
	s_or_b32 s0, vcc_lo, s0
	s_andn2_b32 exec_lo, exec_lo, s0
	s_cbranch_execnz .LBB281_15
; %bb.18:
	s_or_b32 exec_lo, exec_lo, s0
.LBB281_19:
	s_or_b32 exec_lo, exec_lo, s1
.LBB281_20:
	v_mbcnt_lo_u32_b32 v26, -1, 0
	v_xor_b32_e32 v12, 16, v26
	v_cmp_gt_i32_e32 vcc_lo, 32, v12
	v_cndmask_b32_e32 v12, v26, v12, vcc_lo
	v_lshlrev_b32_e32 v25, 2, v12
	ds_bpermute_b32 v12, v25, v14
	ds_bpermute_b32 v13, v25, v15
	;; [unrolled: 1-line block ×8, first 2 shown]
	s_waitcnt lgkmcnt(6)
	v_add_f64 v[12:13], v[14:15], v[12:13]
	s_waitcnt lgkmcnt(4)
	v_add_f64 v[10:11], v[10:11], v[20:21]
	v_xor_b32_e32 v20, 8, v26
	s_waitcnt lgkmcnt(2)
	v_add_f64 v[14:15], v[16:17], v[22:23]
	s_waitcnt lgkmcnt(0)
	v_add_f64 v[16:17], v[18:19], v[24:25]
	v_cmp_gt_i32_e32 vcc_lo, 32, v20
	v_cndmask_b32_e32 v18, v26, v20, vcc_lo
	v_lshlrev_b32_e32 v25, 2, v18
	ds_bpermute_b32 v18, v25, v12
	ds_bpermute_b32 v19, v25, v13
	ds_bpermute_b32 v20, v25, v10
	ds_bpermute_b32 v21, v25, v11
	ds_bpermute_b32 v22, v25, v14
	ds_bpermute_b32 v23, v25, v15
	ds_bpermute_b32 v24, v25, v16
	ds_bpermute_b32 v25, v25, v17
	s_waitcnt lgkmcnt(6)
	v_add_f64 v[12:13], v[12:13], v[18:19]
	v_xor_b32_e32 v18, 4, v26
	s_waitcnt lgkmcnt(4)
	v_add_f64 v[10:11], v[10:11], v[20:21]
	s_waitcnt lgkmcnt(2)
	v_add_f64 v[14:15], v[14:15], v[22:23]
	;; [unrolled: 2-line block ×3, first 2 shown]
	v_cmp_gt_i32_e32 vcc_lo, 32, v18
	v_cndmask_b32_e32 v18, v26, v18, vcc_lo
	v_lshlrev_b32_e32 v25, 2, v18
	ds_bpermute_b32 v18, v25, v12
	ds_bpermute_b32 v19, v25, v13
	;; [unrolled: 1-line block ×8, first 2 shown]
	s_waitcnt lgkmcnt(6)
	v_add_f64 v[12:13], v[12:13], v[18:19]
	s_waitcnt lgkmcnt(4)
	v_add_f64 v[18:19], v[10:11], v[20:21]
	v_xor_b32_e32 v10, 2, v26
	s_waitcnt lgkmcnt(2)
	v_add_f64 v[14:15], v[14:15], v[22:23]
	s_waitcnt lgkmcnt(0)
	v_add_f64 v[20:21], v[16:17], v[24:25]
	v_cmp_gt_i32_e32 vcc_lo, 32, v10
	v_cndmask_b32_e32 v10, v26, v10, vcc_lo
	v_lshlrev_b32_e32 v25, 2, v10
	ds_bpermute_b32 v10, v25, v12
	ds_bpermute_b32 v11, v25, v13
	ds_bpermute_b32 v16, v25, v18
	ds_bpermute_b32 v17, v25, v19
	ds_bpermute_b32 v22, v25, v14
	ds_bpermute_b32 v23, v25, v15
	ds_bpermute_b32 v24, v25, v20
	ds_bpermute_b32 v25, v25, v21
	s_waitcnt lgkmcnt(6)
	v_add_f64 v[10:11], v[12:13], v[10:11]
	s_waitcnt lgkmcnt(4)
	v_add_f64 v[16:17], v[18:19], v[16:17]
	v_xor_b32_e32 v18, 1, v26
	s_waitcnt lgkmcnt(2)
	v_add_f64 v[12:13], v[14:15], v[22:23]
	s_waitcnt lgkmcnt(0)
	v_add_f64 v[14:15], v[20:21], v[24:25]
	v_cmp_gt_i32_e32 vcc_lo, 32, v18
	v_cndmask_b32_e32 v18, v26, v18, vcc_lo
	v_cmp_eq_u32_e32 vcc_lo, 31, v0
	v_lshlrev_b32_e32 v21, 2, v18
	ds_bpermute_b32 v24, v21, v10
	ds_bpermute_b32 v25, v21, v11
	;; [unrolled: 1-line block ×8, first 2 shown]
	s_and_b32 exec_lo, exec_lo, vcc_lo
	s_cbranch_execz .LBB281_25
; %bb.21:
	v_cmp_eq_f64_e32 vcc_lo, 0, v[5:6]
	v_cmp_eq_f64_e64 s0, 0, v[7:8]
	s_waitcnt lgkmcnt(6)
	v_add_f64 v[10:11], v[10:11], v[24:25]
	s_waitcnt lgkmcnt(4)
	v_add_f64 v[16:17], v[16:17], v[22:23]
	;; [unrolled: 2-line block ×4, first 2 shown]
	s_load_dwordx2 s[2:3], s[4:5], 0x48
	s_and_b32 s0, vcc_lo, s0
	s_and_saveexec_b32 s1, s0
	s_xor_b32 s0, exec_lo, s1
	s_cbranch_execz .LBB281_23
; %bb.22:
	v_mul_f64 v[5:6], v[16:17], -v[3:4]
	v_mul_f64 v[7:8], v[1:2], v[16:17]
	v_mul_f64 v[16:17], v[14:15], -v[3:4]
	v_mul_f64 v[14:15], v[1:2], v[14:15]
	v_lshlrev_b32_e32 v9, 1, v9
	v_fma_f64 v[5:6], v[1:2], v[10:11], v[5:6]
	v_fma_f64 v[7:8], v[3:4], v[10:11], v[7:8]
	;; [unrolled: 1-line block ×4, first 2 shown]
	v_ashrrev_i32_e32 v10, 31, v9
                                        ; implicit-def: $vgpr16_vgpr17
                                        ; implicit-def: $vgpr12_vgpr13
                                        ; implicit-def: $vgpr14_vgpr15
	v_lshlrev_b64 v[9:10], 4, v[9:10]
	s_waitcnt lgkmcnt(0)
	v_add_co_u32 v9, vcc_lo, s2, v9
	v_add_co_ci_u32_e64 v10, null, s3, v10, vcc_lo
	global_store_dwordx4 v[9:10], v[5:8], off
	global_store_dwordx4 v[9:10], v[0:3], off offset:16
                                        ; implicit-def: $vgpr9
                                        ; implicit-def: $vgpr10_vgpr11
                                        ; implicit-def: $vgpr7_vgpr8
                                        ; implicit-def: $vgpr3_vgpr4
.LBB281_23:
	s_andn2_saveexec_b32 s0, s0
	s_cbranch_execz .LBB281_25
; %bb.24:
	v_lshlrev_b32_e32 v18, 1, v9
	v_mul_f64 v[28:29], v[16:17], -v[3:4]
	v_mul_f64 v[16:17], v[1:2], v[16:17]
	v_mul_f64 v[30:31], v[14:15], -v[3:4]
	v_mul_f64 v[14:15], v[1:2], v[14:15]
	v_ashrrev_i32_e32 v19, 31, v18
	v_lshlrev_b64 v[18:19], 4, v[18:19]
	s_waitcnt lgkmcnt(0)
	v_add_co_u32 v26, vcc_lo, s2, v18
	v_add_co_ci_u32_e64 v27, null, s3, v19, vcc_lo
	s_clause 0x1
	global_load_dwordx4 v[18:21], v[26:27], off
	global_load_dwordx4 v[22:25], v[26:27], off offset:16
	v_fma_f64 v[28:29], v[1:2], v[10:11], v[28:29]
	v_fma_f64 v[9:10], v[3:4], v[10:11], v[16:17]
	;; [unrolled: 1-line block ×4, first 2 shown]
	s_waitcnt vmcnt(1)
	v_fma_f64 v[11:12], v[5:6], v[18:19], v[28:29]
	v_fma_f64 v[9:10], v[7:8], v[18:19], v[9:10]
	s_waitcnt vmcnt(0)
	v_fma_f64 v[13:14], v[5:6], v[22:23], v[0:1]
	v_fma_f64 v[15:16], v[7:8], v[22:23], v[2:3]
	v_fma_f64 v[0:1], -v[7:8], v[20:21], v[11:12]
	v_fma_f64 v[2:3], v[5:6], v[20:21], v[9:10]
	v_fma_f64 v[7:8], -v[7:8], v[24:25], v[13:14]
	v_fma_f64 v[9:10], v[5:6], v[24:25], v[15:16]
	global_store_dwordx4 v[26:27], v[0:3], off
	global_store_dwordx4 v[26:27], v[7:10], off offset:16
.LBB281_25:
	s_endpgm
	.section	.rodata,"a",@progbits
	.p2align	6, 0x0
	.amdhsa_kernel _ZN9rocsparseL19gebsrmvn_2xn_kernelILj128ELj12ELj32E21rocsparse_complex_numIdEEEvi20rocsparse_direction_NS_24const_host_device_scalarIT2_EEPKiS8_PKS5_SA_S6_PS5_21rocsparse_index_base_b
		.amdhsa_group_segment_fixed_size 0
		.amdhsa_private_segment_fixed_size 0
		.amdhsa_kernarg_size 88
		.amdhsa_user_sgpr_count 6
		.amdhsa_user_sgpr_private_segment_buffer 1
		.amdhsa_user_sgpr_dispatch_ptr 0
		.amdhsa_user_sgpr_queue_ptr 0
		.amdhsa_user_sgpr_kernarg_segment_ptr 1
		.amdhsa_user_sgpr_dispatch_id 0
		.amdhsa_user_sgpr_flat_scratch_init 0
		.amdhsa_user_sgpr_private_segment_size 0
		.amdhsa_wavefront_size32 1
		.amdhsa_uses_dynamic_stack 0
		.amdhsa_system_sgpr_private_segment_wavefront_offset 0
		.amdhsa_system_sgpr_workgroup_id_x 1
		.amdhsa_system_sgpr_workgroup_id_y 0
		.amdhsa_system_sgpr_workgroup_id_z 0
		.amdhsa_system_sgpr_workgroup_info 0
		.amdhsa_system_vgpr_workitem_id 0
		.amdhsa_next_free_vgpr 76
		.amdhsa_next_free_sgpr 16
		.amdhsa_reserve_vcc 1
		.amdhsa_reserve_flat_scratch 0
		.amdhsa_float_round_mode_32 0
		.amdhsa_float_round_mode_16_64 0
		.amdhsa_float_denorm_mode_32 3
		.amdhsa_float_denorm_mode_16_64 3
		.amdhsa_dx10_clamp 1
		.amdhsa_ieee_mode 1
		.amdhsa_fp16_overflow 0
		.amdhsa_workgroup_processor_mode 1
		.amdhsa_memory_ordered 1
		.amdhsa_forward_progress 1
		.amdhsa_shared_vgpr_count 0
		.amdhsa_exception_fp_ieee_invalid_op 0
		.amdhsa_exception_fp_denorm_src 0
		.amdhsa_exception_fp_ieee_div_zero 0
		.amdhsa_exception_fp_ieee_overflow 0
		.amdhsa_exception_fp_ieee_underflow 0
		.amdhsa_exception_fp_ieee_inexact 0
		.amdhsa_exception_int_div_zero 0
	.end_amdhsa_kernel
	.section	.text._ZN9rocsparseL19gebsrmvn_2xn_kernelILj128ELj12ELj32E21rocsparse_complex_numIdEEEvi20rocsparse_direction_NS_24const_host_device_scalarIT2_EEPKiS8_PKS5_SA_S6_PS5_21rocsparse_index_base_b,"axG",@progbits,_ZN9rocsparseL19gebsrmvn_2xn_kernelILj128ELj12ELj32E21rocsparse_complex_numIdEEEvi20rocsparse_direction_NS_24const_host_device_scalarIT2_EEPKiS8_PKS5_SA_S6_PS5_21rocsparse_index_base_b,comdat
.Lfunc_end281:
	.size	_ZN9rocsparseL19gebsrmvn_2xn_kernelILj128ELj12ELj32E21rocsparse_complex_numIdEEEvi20rocsparse_direction_NS_24const_host_device_scalarIT2_EEPKiS8_PKS5_SA_S6_PS5_21rocsparse_index_base_b, .Lfunc_end281-_ZN9rocsparseL19gebsrmvn_2xn_kernelILj128ELj12ELj32E21rocsparse_complex_numIdEEEvi20rocsparse_direction_NS_24const_host_device_scalarIT2_EEPKiS8_PKS5_SA_S6_PS5_21rocsparse_index_base_b
                                        ; -- End function
	.set _ZN9rocsparseL19gebsrmvn_2xn_kernelILj128ELj12ELj32E21rocsparse_complex_numIdEEEvi20rocsparse_direction_NS_24const_host_device_scalarIT2_EEPKiS8_PKS5_SA_S6_PS5_21rocsparse_index_base_b.num_vgpr, 76
	.set _ZN9rocsparseL19gebsrmvn_2xn_kernelILj128ELj12ELj32E21rocsparse_complex_numIdEEEvi20rocsparse_direction_NS_24const_host_device_scalarIT2_EEPKiS8_PKS5_SA_S6_PS5_21rocsparse_index_base_b.num_agpr, 0
	.set _ZN9rocsparseL19gebsrmvn_2xn_kernelILj128ELj12ELj32E21rocsparse_complex_numIdEEEvi20rocsparse_direction_NS_24const_host_device_scalarIT2_EEPKiS8_PKS5_SA_S6_PS5_21rocsparse_index_base_b.numbered_sgpr, 16
	.set _ZN9rocsparseL19gebsrmvn_2xn_kernelILj128ELj12ELj32E21rocsparse_complex_numIdEEEvi20rocsparse_direction_NS_24const_host_device_scalarIT2_EEPKiS8_PKS5_SA_S6_PS5_21rocsparse_index_base_b.num_named_barrier, 0
	.set _ZN9rocsparseL19gebsrmvn_2xn_kernelILj128ELj12ELj32E21rocsparse_complex_numIdEEEvi20rocsparse_direction_NS_24const_host_device_scalarIT2_EEPKiS8_PKS5_SA_S6_PS5_21rocsparse_index_base_b.private_seg_size, 0
	.set _ZN9rocsparseL19gebsrmvn_2xn_kernelILj128ELj12ELj32E21rocsparse_complex_numIdEEEvi20rocsparse_direction_NS_24const_host_device_scalarIT2_EEPKiS8_PKS5_SA_S6_PS5_21rocsparse_index_base_b.uses_vcc, 1
	.set _ZN9rocsparseL19gebsrmvn_2xn_kernelILj128ELj12ELj32E21rocsparse_complex_numIdEEEvi20rocsparse_direction_NS_24const_host_device_scalarIT2_EEPKiS8_PKS5_SA_S6_PS5_21rocsparse_index_base_b.uses_flat_scratch, 0
	.set _ZN9rocsparseL19gebsrmvn_2xn_kernelILj128ELj12ELj32E21rocsparse_complex_numIdEEEvi20rocsparse_direction_NS_24const_host_device_scalarIT2_EEPKiS8_PKS5_SA_S6_PS5_21rocsparse_index_base_b.has_dyn_sized_stack, 0
	.set _ZN9rocsparseL19gebsrmvn_2xn_kernelILj128ELj12ELj32E21rocsparse_complex_numIdEEEvi20rocsparse_direction_NS_24const_host_device_scalarIT2_EEPKiS8_PKS5_SA_S6_PS5_21rocsparse_index_base_b.has_recursion, 0
	.set _ZN9rocsparseL19gebsrmvn_2xn_kernelILj128ELj12ELj32E21rocsparse_complex_numIdEEEvi20rocsparse_direction_NS_24const_host_device_scalarIT2_EEPKiS8_PKS5_SA_S6_PS5_21rocsparse_index_base_b.has_indirect_call, 0
	.section	.AMDGPU.csdata,"",@progbits
; Kernel info:
; codeLenInByte = 2756
; TotalNumSgprs: 18
; NumVgprs: 76
; ScratchSize: 0
; MemoryBound: 1
; FloatMode: 240
; IeeeMode: 1
; LDSByteSize: 0 bytes/workgroup (compile time only)
; SGPRBlocks: 0
; VGPRBlocks: 9
; NumSGPRsForWavesPerEU: 18
; NumVGPRsForWavesPerEU: 76
; Occupancy: 12
; WaveLimiterHint : 1
; COMPUTE_PGM_RSRC2:SCRATCH_EN: 0
; COMPUTE_PGM_RSRC2:USER_SGPR: 6
; COMPUTE_PGM_RSRC2:TRAP_HANDLER: 0
; COMPUTE_PGM_RSRC2:TGID_X_EN: 1
; COMPUTE_PGM_RSRC2:TGID_Y_EN: 0
; COMPUTE_PGM_RSRC2:TGID_Z_EN: 0
; COMPUTE_PGM_RSRC2:TIDIG_COMP_CNT: 0
	.section	.text._ZN9rocsparseL19gebsrmvn_2xn_kernelILj128ELj12ELj64E21rocsparse_complex_numIdEEEvi20rocsparse_direction_NS_24const_host_device_scalarIT2_EEPKiS8_PKS5_SA_S6_PS5_21rocsparse_index_base_b,"axG",@progbits,_ZN9rocsparseL19gebsrmvn_2xn_kernelILj128ELj12ELj64E21rocsparse_complex_numIdEEEvi20rocsparse_direction_NS_24const_host_device_scalarIT2_EEPKiS8_PKS5_SA_S6_PS5_21rocsparse_index_base_b,comdat
	.globl	_ZN9rocsparseL19gebsrmvn_2xn_kernelILj128ELj12ELj64E21rocsparse_complex_numIdEEEvi20rocsparse_direction_NS_24const_host_device_scalarIT2_EEPKiS8_PKS5_SA_S6_PS5_21rocsparse_index_base_b ; -- Begin function _ZN9rocsparseL19gebsrmvn_2xn_kernelILj128ELj12ELj64E21rocsparse_complex_numIdEEEvi20rocsparse_direction_NS_24const_host_device_scalarIT2_EEPKiS8_PKS5_SA_S6_PS5_21rocsparse_index_base_b
	.p2align	8
	.type	_ZN9rocsparseL19gebsrmvn_2xn_kernelILj128ELj12ELj64E21rocsparse_complex_numIdEEEvi20rocsparse_direction_NS_24const_host_device_scalarIT2_EEPKiS8_PKS5_SA_S6_PS5_21rocsparse_index_base_b,@function
_ZN9rocsparseL19gebsrmvn_2xn_kernelILj128ELj12ELj64E21rocsparse_complex_numIdEEEvi20rocsparse_direction_NS_24const_host_device_scalarIT2_EEPKiS8_PKS5_SA_S6_PS5_21rocsparse_index_base_b: ; @_ZN9rocsparseL19gebsrmvn_2xn_kernelILj128ELj12ELj64E21rocsparse_complex_numIdEEEvi20rocsparse_direction_NS_24const_host_device_scalarIT2_EEPKiS8_PKS5_SA_S6_PS5_21rocsparse_index_base_b
; %bb.0:
	s_clause 0x1
	s_load_dwordx2 s[2:3], s[4:5], 0x50
	s_load_dwordx2 s[0:1], s[4:5], 0x8
	s_add_u32 s7, s4, 8
	s_addc_u32 s10, s5, 0
	s_add_u32 s11, s4, 56
	s_addc_u32 s12, s5, 0
	s_load_dwordx2 s[8:9], s[4:5], 0x38
	s_waitcnt lgkmcnt(0)
	s_bitcmp1_b32 s3, 0
	s_cselect_b32 s0, s7, s0
	s_cselect_b32 s1, s10, s1
	v_mov_b32_e32 v1, s0
	v_mov_b32_e32 v2, s1
	s_cselect_b32 s0, s11, s8
	s_cselect_b32 s1, s12, s9
	v_mov_b32_e32 v5, s0
	v_mov_b32_e32 v6, s1
	flat_load_dwordx4 v[1:4], v[1:2]
	flat_load_dwordx4 v[5:8], v[5:6]
	s_waitcnt vmcnt(1) lgkmcnt(1)
	v_cmp_eq_f64_e32 vcc_lo, 0, v[1:2]
	v_cmp_eq_f64_e64 s0, 0, v[3:4]
	s_and_b32 s3, vcc_lo, s0
	s_mov_b32 s0, -1
	s_and_saveexec_b32 s1, s3
	s_cbranch_execz .LBB282_2
; %bb.1:
	s_waitcnt vmcnt(0) lgkmcnt(0)
	v_cmp_neq_f64_e32 vcc_lo, 1.0, v[5:6]
	v_cmp_neq_f64_e64 s0, 0, v[7:8]
	s_or_b32 s0, vcc_lo, s0
	s_orn2_b32 s0, s0, exec_lo
.LBB282_2:
	s_or_b32 exec_lo, exec_lo, s1
	s_and_saveexec_b32 s1, s0
	s_cbranch_execz .LBB282_25
; %bb.3:
	s_load_dwordx2 s[0:1], s[4:5], 0x0
	v_lshrrev_b32_e32 v9, 6, v0
	v_lshl_or_b32 v9, s6, 1, v9
	s_waitcnt lgkmcnt(0)
	v_cmp_gt_i32_e32 vcc_lo, s0, v9
	s_and_b32 exec_lo, exec_lo, vcc_lo
	s_cbranch_execz .LBB282_25
; %bb.4:
	s_load_dwordx8 s[8:15], s[4:5], 0x18
	v_ashrrev_i32_e32 v10, 31, v9
	v_and_b32_e32 v0, 63, v0
	s_cmp_lg_u32 s1, 0
	v_lshlrev_b64 v[10:11], 2, v[9:10]
	s_waitcnt lgkmcnt(0)
	v_add_co_u32 v10, vcc_lo, s8, v10
	v_add_co_ci_u32_e64 v11, null, s9, v11, vcc_lo
	global_load_dwordx2 v[13:14], v[10:11], off
	s_waitcnt vmcnt(0)
	v_subrev_nc_u32_e32 v10, s2, v13
	v_subrev_nc_u32_e32 v25, s2, v14
	v_add_nc_u32_e32 v12, v10, v0
	v_cmp_lt_i32_e64 s0, v12, v25
	s_cbranch_scc0 .LBB282_12
; %bb.5:
	v_mov_b32_e32 v10, 0
	v_mov_b32_e32 v14, 0
	;; [unrolled: 1-line block ×8, first 2 shown]
	s_and_saveexec_b32 s1, s0
	s_cbranch_execz .LBB282_11
; %bb.6:
	v_mul_lo_u32 v14, v13, 24
	v_mul_lo_u32 v26, v12, 24
	s_mul_i32 s3, s2, 24
	v_mov_b32_e32 v10, 0
	v_mov_b32_e32 v16, 0
	;; [unrolled: 1-line block ×5, first 2 shown]
	v_mad_u32_u24 v20, v0, 24, v14
	v_mov_b32_e32 v14, 0
	v_mov_b32_e32 v15, 0
	;; [unrolled: 1-line block ×4, first 2 shown]
	v_subrev_nc_u32_e32 v27, s3, v20
	v_mov_b32_e32 v22, v12
	s_mov_b32 s3, 0
.LBB282_7:                              ; =>This Loop Header: Depth=1
                                        ;     Child Loop BB282_8 Depth 2
	v_ashrrev_i32_e32 v23, 31, v22
	s_mov_b32 s6, 0
	v_lshlrev_b64 v[23:24], 2, v[22:23]
	v_add_co_u32 v23, vcc_lo, s10, v23
	v_add_co_ci_u32_e64 v24, null, s11, v24, vcc_lo
	global_load_dword v20, v[23:24], off
	s_waitcnt vmcnt(0)
	v_subrev_nc_u32_e32 v20, s2, v20
	v_mul_lo_u32 v23, v20, 12
.LBB282_8:                              ;   Parent Loop BB282_7 Depth=1
                                        ; =>  This Inner Loop Header: Depth=2
	v_mov_b32_e32 v24, v21
	v_add_nc_u32_e32 v20, s6, v27
	v_lshlrev_b64 v[28:29], 4, v[23:24]
	v_lshlrev_b64 v[30:31], 4, v[20:21]
	v_add3_u32 v20, v26, s6, 4
	v_add_nc_u32_e32 v23, 4, v23
	s_add_i32 s6, s6, 8
	s_cmp_eq_u32 s6, 24
	v_add_co_u32 v56, vcc_lo, s14, v28
	v_add_co_ci_u32_e64 v57, null, s15, v29, vcc_lo
	v_add_co_u32 v48, vcc_lo, s12, v30
	v_add_co_ci_u32_e64 v49, null, s13, v31, vcc_lo
	global_load_dwordx4 v[28:31], v[56:57], off
	s_clause 0x1
	global_load_dwordx4 v[32:35], v[48:49], off
	global_load_dwordx4 v[36:39], v[48:49], off offset:16
	global_load_dwordx4 v[40:43], v[56:57], off offset:16
	s_clause 0x1
	global_load_dwordx4 v[44:47], v[48:49], off offset:32
	global_load_dwordx4 v[48:51], v[48:49], off offset:48
	v_lshlrev_b64 v[52:53], 4, v[20:21]
	v_add_co_u32 v72, vcc_lo, s12, v52
	v_add_co_ci_u32_e64 v73, null, s13, v53, vcc_lo
	s_clause 0x1
	global_load_dwordx4 v[52:55], v[56:57], off offset:48
	global_load_dwordx4 v[56:59], v[56:57], off offset:32
	s_clause 0x3
	global_load_dwordx4 v[60:63], v[72:73], off
	global_load_dwordx4 v[64:67], v[72:73], off offset:16
	global_load_dwordx4 v[68:71], v[72:73], off offset:32
	;; [unrolled: 1-line block ×3, first 2 shown]
	s_waitcnt vmcnt(10)
	v_fma_f64 v[14:15], v[32:33], v[28:29], v[14:15]
	v_fma_f64 v[10:11], v[34:35], v[28:29], v[10:11]
	s_waitcnt vmcnt(9)
	v_fma_f64 v[16:17], v[36:37], v[28:29], v[16:17]
	v_fma_f64 v[18:19], v[38:39], v[28:29], v[18:19]
	v_fma_f64 v[14:15], -v[34:35], v[30:31], v[14:15]
	v_fma_f64 v[10:11], v[32:33], v[30:31], v[10:11]
	v_fma_f64 v[16:17], -v[38:39], v[30:31], v[16:17]
	v_fma_f64 v[18:19], v[36:37], v[30:31], v[18:19]
	s_waitcnt vmcnt(7)
	v_fma_f64 v[14:15], v[44:45], v[40:41], v[14:15]
	v_fma_f64 v[10:11], v[46:47], v[40:41], v[10:11]
	s_waitcnt vmcnt(6)
	v_fma_f64 v[16:17], v[48:49], v[40:41], v[16:17]
	v_fma_f64 v[18:19], v[50:51], v[40:41], v[18:19]
	v_fma_f64 v[14:15], -v[46:47], v[42:43], v[14:15]
	v_fma_f64 v[10:11], v[44:45], v[42:43], v[10:11]
	v_fma_f64 v[16:17], -v[50:51], v[42:43], v[16:17]
	v_fma_f64 v[18:19], v[48:49], v[42:43], v[18:19]
	;; [unrolled: 10-line block ×4, first 2 shown]
	s_cbranch_scc0 .LBB282_8
; %bb.9:                                ;   in Loop: Header=BB282_7 Depth=1
	v_add_nc_u32_e32 v22, 64, v22
	v_add_nc_u32_e32 v26, 0x600, v26
	;; [unrolled: 1-line block ×3, first 2 shown]
	v_cmp_ge_i32_e32 vcc_lo, v22, v25
	s_or_b32 s3, vcc_lo, s3
	s_andn2_b32 exec_lo, exec_lo, s3
	s_cbranch_execnz .LBB282_7
; %bb.10:
	s_or_b32 exec_lo, exec_lo, s3
.LBB282_11:
	s_or_b32 exec_lo, exec_lo, s1
	s_cbranch_execz .LBB282_13
	s_branch .LBB282_20
.LBB282_12:
                                        ; implicit-def: $vgpr10_vgpr11
                                        ; implicit-def: $vgpr14_vgpr15
                                        ; implicit-def: $vgpr16_vgpr17
                                        ; implicit-def: $vgpr18_vgpr19
.LBB282_13:
	v_mov_b32_e32 v10, 0
	v_mov_b32_e32 v14, 0
	;; [unrolled: 1-line block ×8, first 2 shown]
	s_and_saveexec_b32 s1, s0
	s_cbranch_execz .LBB282_19
; %bb.14:
	v_mul_lo_u32 v10, v13, 24
	v_mul_lo_u32 v22, v12, 24
	s_mul_i32 s0, s2, 24
	v_mov_b32_e32 v14, 0
	v_mov_b32_e32 v16, 0
	;; [unrolled: 1-line block ×5, first 2 shown]
	v_mad_u32_u24 v13, v0, 24, v10
	v_mov_b32_e32 v10, 0
	v_mov_b32_e32 v11, 0
	;; [unrolled: 1-line block ×4, first 2 shown]
	v_subrev_nc_u32_e32 v23, s0, v13
	s_mov_b32 s0, 0
.LBB282_15:                             ; =>This Loop Header: Depth=1
                                        ;     Child Loop BB282_16 Depth 2
	v_ashrrev_i32_e32 v13, 31, v12
	s_mov_b32 s3, 0
	v_lshlrev_b64 v[26:27], 2, v[12:13]
	v_add_co_u32 v26, vcc_lo, s10, v26
	v_add_co_ci_u32_e64 v27, null, s11, v27, vcc_lo
	global_load_dword v13, v[26:27], off
	s_waitcnt vmcnt(0)
	v_subrev_nc_u32_e32 v13, s2, v13
	v_mul_lo_u32 v13, v13, 12
.LBB282_16:                             ;   Parent Loop BB282_15 Depth=1
                                        ; =>  This Inner Loop Header: Depth=2
	v_add_nc_u32_e32 v20, s3, v23
	v_lshlrev_b64 v[26:27], 4, v[20:21]
	v_add_nc_u32_e32 v20, s3, v13
	v_lshlrev_b64 v[28:29], 4, v[20:21]
	v_add3_u32 v20, v22, s3, 12
	v_add_co_u32 v62, vcc_lo, s12, v26
	v_add_co_ci_u32_e64 v63, null, s13, v27, vcc_lo
	v_lshlrev_b64 v[26:27], 4, v[20:21]
	v_add_co_u32 v66, vcc_lo, s14, v28
	v_add_co_ci_u32_e64 v67, null, s15, v29, vcc_lo
	s_add_i32 s3, s3, 4
	v_add_co_u32 v70, vcc_lo, s12, v26
	v_add_co_ci_u32_e64 v71, null, s13, v27, vcc_lo
	global_load_dwordx4 v[26:29], v[62:63], off
	global_load_dwordx4 v[30:33], v[66:67], off
	s_clause 0x1
	global_load_dwordx4 v[34:37], v[70:71], off
	global_load_dwordx4 v[38:41], v[62:63], off offset:16
	global_load_dwordx4 v[42:45], v[66:67], off offset:16
	s_clause 0x1
	global_load_dwordx4 v[46:49], v[70:71], off offset:16
	global_load_dwordx4 v[50:53], v[62:63], off offset:32
	;; [unrolled: 1-line block ×3, first 2 shown]
	s_clause 0x1
	global_load_dwordx4 v[58:61], v[70:71], off offset:32
	global_load_dwordx4 v[62:65], v[62:63], off offset:48
	global_load_dwordx4 v[66:69], v[66:67], off offset:48
	global_load_dwordx4 v[70:73], v[70:71], off offset:48
	s_cmp_eq_u32 s3, 12
	s_waitcnt vmcnt(10)
	v_fma_f64 v[14:15], v[26:27], v[30:31], v[14:15]
	v_fma_f64 v[10:11], v[28:29], v[30:31], v[10:11]
	s_waitcnt vmcnt(9)
	v_fma_f64 v[16:17], v[34:35], v[30:31], v[16:17]
	v_fma_f64 v[18:19], v[36:37], v[30:31], v[18:19]
	v_fma_f64 v[14:15], -v[28:29], v[32:33], v[14:15]
	v_fma_f64 v[10:11], v[26:27], v[32:33], v[10:11]
	v_fma_f64 v[16:17], -v[36:37], v[32:33], v[16:17]
	v_fma_f64 v[18:19], v[34:35], v[32:33], v[18:19]
	s_waitcnt vmcnt(7)
	v_fma_f64 v[14:15], v[38:39], v[42:43], v[14:15]
	v_fma_f64 v[10:11], v[40:41], v[42:43], v[10:11]
	s_waitcnt vmcnt(6)
	v_fma_f64 v[16:17], v[46:47], v[42:43], v[16:17]
	v_fma_f64 v[18:19], v[48:49], v[42:43], v[18:19]
	v_fma_f64 v[14:15], -v[40:41], v[44:45], v[14:15]
	v_fma_f64 v[10:11], v[38:39], v[44:45], v[10:11]
	v_fma_f64 v[16:17], -v[48:49], v[44:45], v[16:17]
	v_fma_f64 v[18:19], v[46:47], v[44:45], v[18:19]
	;; [unrolled: 10-line block ×4, first 2 shown]
	s_cbranch_scc0 .LBB282_16
; %bb.17:                               ;   in Loop: Header=BB282_15 Depth=1
	v_add_nc_u32_e32 v12, 64, v12
	v_add_nc_u32_e32 v22, 0x600, v22
	;; [unrolled: 1-line block ×3, first 2 shown]
	v_cmp_ge_i32_e32 vcc_lo, v12, v25
	s_or_b32 s0, vcc_lo, s0
	s_andn2_b32 exec_lo, exec_lo, s0
	s_cbranch_execnz .LBB282_15
; %bb.18:
	s_or_b32 exec_lo, exec_lo, s0
.LBB282_19:
	s_or_b32 exec_lo, exec_lo, s1
.LBB282_20:
	v_mbcnt_lo_u32_b32 v26, -1, 0
	v_or_b32_e32 v12, 32, v26
	v_cmp_gt_i32_e32 vcc_lo, 32, v12
	v_cndmask_b32_e32 v12, v26, v12, vcc_lo
	v_lshlrev_b32_e32 v25, 2, v12
	ds_bpermute_b32 v12, v25, v14
	ds_bpermute_b32 v13, v25, v15
	;; [unrolled: 1-line block ×8, first 2 shown]
	s_waitcnt lgkmcnt(6)
	v_add_f64 v[12:13], v[14:15], v[12:13]
	s_waitcnt lgkmcnt(4)
	v_add_f64 v[10:11], v[10:11], v[20:21]
	v_xor_b32_e32 v20, 16, v26
	s_waitcnt lgkmcnt(2)
	v_add_f64 v[14:15], v[16:17], v[22:23]
	s_waitcnt lgkmcnt(0)
	v_add_f64 v[16:17], v[18:19], v[24:25]
	v_cmp_gt_i32_e32 vcc_lo, 32, v20
	v_cndmask_b32_e32 v18, v26, v20, vcc_lo
	v_lshlrev_b32_e32 v25, 2, v18
	ds_bpermute_b32 v18, v25, v12
	ds_bpermute_b32 v19, v25, v13
	;; [unrolled: 1-line block ×8, first 2 shown]
	s_waitcnt lgkmcnt(6)
	v_add_f64 v[12:13], v[12:13], v[18:19]
	v_xor_b32_e32 v18, 8, v26
	s_waitcnt lgkmcnt(4)
	v_add_f64 v[10:11], v[10:11], v[20:21]
	s_waitcnt lgkmcnt(2)
	v_add_f64 v[14:15], v[14:15], v[22:23]
	;; [unrolled: 2-line block ×3, first 2 shown]
	v_cmp_gt_i32_e32 vcc_lo, 32, v18
	v_cndmask_b32_e32 v18, v26, v18, vcc_lo
	v_lshlrev_b32_e32 v25, 2, v18
	ds_bpermute_b32 v18, v25, v12
	ds_bpermute_b32 v19, v25, v13
	;; [unrolled: 1-line block ×8, first 2 shown]
	s_waitcnt lgkmcnt(6)
	v_add_f64 v[12:13], v[12:13], v[18:19]
	v_xor_b32_e32 v18, 4, v26
	s_waitcnt lgkmcnt(4)
	v_add_f64 v[10:11], v[10:11], v[20:21]
	s_waitcnt lgkmcnt(2)
	v_add_f64 v[14:15], v[14:15], v[22:23]
	;; [unrolled: 2-line block ×3, first 2 shown]
	v_cmp_gt_i32_e32 vcc_lo, 32, v18
	v_cndmask_b32_e32 v18, v26, v18, vcc_lo
	v_lshlrev_b32_e32 v25, 2, v18
	ds_bpermute_b32 v18, v25, v12
	ds_bpermute_b32 v19, v25, v13
	;; [unrolled: 1-line block ×8, first 2 shown]
	s_waitcnt lgkmcnt(6)
	v_add_f64 v[12:13], v[12:13], v[18:19]
	s_waitcnt lgkmcnt(4)
	v_add_f64 v[18:19], v[10:11], v[20:21]
	v_xor_b32_e32 v10, 2, v26
	s_waitcnt lgkmcnt(2)
	v_add_f64 v[14:15], v[14:15], v[22:23]
	s_waitcnt lgkmcnt(0)
	v_add_f64 v[20:21], v[16:17], v[24:25]
	v_cmp_gt_i32_e32 vcc_lo, 32, v10
	v_cndmask_b32_e32 v10, v26, v10, vcc_lo
	v_lshlrev_b32_e32 v25, 2, v10
	ds_bpermute_b32 v10, v25, v12
	ds_bpermute_b32 v11, v25, v13
	;; [unrolled: 1-line block ×8, first 2 shown]
	s_waitcnt lgkmcnt(6)
	v_add_f64 v[10:11], v[12:13], v[10:11]
	s_waitcnt lgkmcnt(4)
	v_add_f64 v[16:17], v[18:19], v[16:17]
	v_xor_b32_e32 v18, 1, v26
	s_waitcnt lgkmcnt(2)
	v_add_f64 v[12:13], v[14:15], v[22:23]
	s_waitcnt lgkmcnt(0)
	v_add_f64 v[14:15], v[20:21], v[24:25]
	v_cmp_gt_i32_e32 vcc_lo, 32, v18
	v_cndmask_b32_e32 v18, v26, v18, vcc_lo
	v_cmp_eq_u32_e32 vcc_lo, 63, v0
	v_lshlrev_b32_e32 v21, 2, v18
	ds_bpermute_b32 v24, v21, v10
	ds_bpermute_b32 v25, v21, v11
	;; [unrolled: 1-line block ×8, first 2 shown]
	s_and_b32 exec_lo, exec_lo, vcc_lo
	s_cbranch_execz .LBB282_25
; %bb.21:
	v_cmp_eq_f64_e32 vcc_lo, 0, v[5:6]
	v_cmp_eq_f64_e64 s0, 0, v[7:8]
	s_waitcnt lgkmcnt(6)
	v_add_f64 v[10:11], v[10:11], v[24:25]
	s_waitcnt lgkmcnt(4)
	v_add_f64 v[16:17], v[16:17], v[22:23]
	;; [unrolled: 2-line block ×4, first 2 shown]
	s_load_dwordx2 s[2:3], s[4:5], 0x48
	s_and_b32 s0, vcc_lo, s0
	s_and_saveexec_b32 s1, s0
	s_xor_b32 s0, exec_lo, s1
	s_cbranch_execz .LBB282_23
; %bb.22:
	v_mul_f64 v[5:6], v[16:17], -v[3:4]
	v_mul_f64 v[7:8], v[1:2], v[16:17]
	v_mul_f64 v[16:17], v[14:15], -v[3:4]
	v_mul_f64 v[14:15], v[1:2], v[14:15]
	v_lshlrev_b32_e32 v9, 1, v9
	v_fma_f64 v[5:6], v[1:2], v[10:11], v[5:6]
	v_fma_f64 v[7:8], v[3:4], v[10:11], v[7:8]
	v_fma_f64 v[0:1], v[1:2], v[12:13], v[16:17]
	v_fma_f64 v[2:3], v[3:4], v[12:13], v[14:15]
	v_ashrrev_i32_e32 v10, 31, v9
                                        ; implicit-def: $vgpr16_vgpr17
                                        ; implicit-def: $vgpr12_vgpr13
                                        ; implicit-def: $vgpr14_vgpr15
	v_lshlrev_b64 v[9:10], 4, v[9:10]
	s_waitcnt lgkmcnt(0)
	v_add_co_u32 v9, vcc_lo, s2, v9
	v_add_co_ci_u32_e64 v10, null, s3, v10, vcc_lo
	global_store_dwordx4 v[9:10], v[5:8], off
	global_store_dwordx4 v[9:10], v[0:3], off offset:16
                                        ; implicit-def: $vgpr9
                                        ; implicit-def: $vgpr10_vgpr11
                                        ; implicit-def: $vgpr7_vgpr8
                                        ; implicit-def: $vgpr3_vgpr4
.LBB282_23:
	s_andn2_saveexec_b32 s0, s0
	s_cbranch_execz .LBB282_25
; %bb.24:
	v_lshlrev_b32_e32 v18, 1, v9
	v_mul_f64 v[28:29], v[16:17], -v[3:4]
	v_mul_f64 v[16:17], v[1:2], v[16:17]
	v_mul_f64 v[30:31], v[14:15], -v[3:4]
	v_mul_f64 v[14:15], v[1:2], v[14:15]
	v_ashrrev_i32_e32 v19, 31, v18
	v_lshlrev_b64 v[18:19], 4, v[18:19]
	s_waitcnt lgkmcnt(0)
	v_add_co_u32 v26, vcc_lo, s2, v18
	v_add_co_ci_u32_e64 v27, null, s3, v19, vcc_lo
	s_clause 0x1
	global_load_dwordx4 v[18:21], v[26:27], off
	global_load_dwordx4 v[22:25], v[26:27], off offset:16
	v_fma_f64 v[28:29], v[1:2], v[10:11], v[28:29]
	v_fma_f64 v[9:10], v[3:4], v[10:11], v[16:17]
	;; [unrolled: 1-line block ×4, first 2 shown]
	s_waitcnt vmcnt(1)
	v_fma_f64 v[11:12], v[5:6], v[18:19], v[28:29]
	v_fma_f64 v[9:10], v[7:8], v[18:19], v[9:10]
	s_waitcnt vmcnt(0)
	v_fma_f64 v[13:14], v[5:6], v[22:23], v[0:1]
	v_fma_f64 v[15:16], v[7:8], v[22:23], v[2:3]
	v_fma_f64 v[0:1], -v[7:8], v[20:21], v[11:12]
	v_fma_f64 v[2:3], v[5:6], v[20:21], v[9:10]
	v_fma_f64 v[7:8], -v[7:8], v[24:25], v[13:14]
	v_fma_f64 v[9:10], v[5:6], v[24:25], v[15:16]
	global_store_dwordx4 v[26:27], v[0:3], off
	global_store_dwordx4 v[26:27], v[7:10], off offset:16
.LBB282_25:
	s_endpgm
	.section	.rodata,"a",@progbits
	.p2align	6, 0x0
	.amdhsa_kernel _ZN9rocsparseL19gebsrmvn_2xn_kernelILj128ELj12ELj64E21rocsparse_complex_numIdEEEvi20rocsparse_direction_NS_24const_host_device_scalarIT2_EEPKiS8_PKS5_SA_S6_PS5_21rocsparse_index_base_b
		.amdhsa_group_segment_fixed_size 0
		.amdhsa_private_segment_fixed_size 0
		.amdhsa_kernarg_size 88
		.amdhsa_user_sgpr_count 6
		.amdhsa_user_sgpr_private_segment_buffer 1
		.amdhsa_user_sgpr_dispatch_ptr 0
		.amdhsa_user_sgpr_queue_ptr 0
		.amdhsa_user_sgpr_kernarg_segment_ptr 1
		.amdhsa_user_sgpr_dispatch_id 0
		.amdhsa_user_sgpr_flat_scratch_init 0
		.amdhsa_user_sgpr_private_segment_size 0
		.amdhsa_wavefront_size32 1
		.amdhsa_uses_dynamic_stack 0
		.amdhsa_system_sgpr_private_segment_wavefront_offset 0
		.amdhsa_system_sgpr_workgroup_id_x 1
		.amdhsa_system_sgpr_workgroup_id_y 0
		.amdhsa_system_sgpr_workgroup_id_z 0
		.amdhsa_system_sgpr_workgroup_info 0
		.amdhsa_system_vgpr_workitem_id 0
		.amdhsa_next_free_vgpr 76
		.amdhsa_next_free_sgpr 16
		.amdhsa_reserve_vcc 1
		.amdhsa_reserve_flat_scratch 0
		.amdhsa_float_round_mode_32 0
		.amdhsa_float_round_mode_16_64 0
		.amdhsa_float_denorm_mode_32 3
		.amdhsa_float_denorm_mode_16_64 3
		.amdhsa_dx10_clamp 1
		.amdhsa_ieee_mode 1
		.amdhsa_fp16_overflow 0
		.amdhsa_workgroup_processor_mode 1
		.amdhsa_memory_ordered 1
		.amdhsa_forward_progress 1
		.amdhsa_shared_vgpr_count 0
		.amdhsa_exception_fp_ieee_invalid_op 0
		.amdhsa_exception_fp_denorm_src 0
		.amdhsa_exception_fp_ieee_div_zero 0
		.amdhsa_exception_fp_ieee_overflow 0
		.amdhsa_exception_fp_ieee_underflow 0
		.amdhsa_exception_fp_ieee_inexact 0
		.amdhsa_exception_int_div_zero 0
	.end_amdhsa_kernel
	.section	.text._ZN9rocsparseL19gebsrmvn_2xn_kernelILj128ELj12ELj64E21rocsparse_complex_numIdEEEvi20rocsparse_direction_NS_24const_host_device_scalarIT2_EEPKiS8_PKS5_SA_S6_PS5_21rocsparse_index_base_b,"axG",@progbits,_ZN9rocsparseL19gebsrmvn_2xn_kernelILj128ELj12ELj64E21rocsparse_complex_numIdEEEvi20rocsparse_direction_NS_24const_host_device_scalarIT2_EEPKiS8_PKS5_SA_S6_PS5_21rocsparse_index_base_b,comdat
.Lfunc_end282:
	.size	_ZN9rocsparseL19gebsrmvn_2xn_kernelILj128ELj12ELj64E21rocsparse_complex_numIdEEEvi20rocsparse_direction_NS_24const_host_device_scalarIT2_EEPKiS8_PKS5_SA_S6_PS5_21rocsparse_index_base_b, .Lfunc_end282-_ZN9rocsparseL19gebsrmvn_2xn_kernelILj128ELj12ELj64E21rocsparse_complex_numIdEEEvi20rocsparse_direction_NS_24const_host_device_scalarIT2_EEPKiS8_PKS5_SA_S6_PS5_21rocsparse_index_base_b
                                        ; -- End function
	.set _ZN9rocsparseL19gebsrmvn_2xn_kernelILj128ELj12ELj64E21rocsparse_complex_numIdEEEvi20rocsparse_direction_NS_24const_host_device_scalarIT2_EEPKiS8_PKS5_SA_S6_PS5_21rocsparse_index_base_b.num_vgpr, 76
	.set _ZN9rocsparseL19gebsrmvn_2xn_kernelILj128ELj12ELj64E21rocsparse_complex_numIdEEEvi20rocsparse_direction_NS_24const_host_device_scalarIT2_EEPKiS8_PKS5_SA_S6_PS5_21rocsparse_index_base_b.num_agpr, 0
	.set _ZN9rocsparseL19gebsrmvn_2xn_kernelILj128ELj12ELj64E21rocsparse_complex_numIdEEEvi20rocsparse_direction_NS_24const_host_device_scalarIT2_EEPKiS8_PKS5_SA_S6_PS5_21rocsparse_index_base_b.numbered_sgpr, 16
	.set _ZN9rocsparseL19gebsrmvn_2xn_kernelILj128ELj12ELj64E21rocsparse_complex_numIdEEEvi20rocsparse_direction_NS_24const_host_device_scalarIT2_EEPKiS8_PKS5_SA_S6_PS5_21rocsparse_index_base_b.num_named_barrier, 0
	.set _ZN9rocsparseL19gebsrmvn_2xn_kernelILj128ELj12ELj64E21rocsparse_complex_numIdEEEvi20rocsparse_direction_NS_24const_host_device_scalarIT2_EEPKiS8_PKS5_SA_S6_PS5_21rocsparse_index_base_b.private_seg_size, 0
	.set _ZN9rocsparseL19gebsrmvn_2xn_kernelILj128ELj12ELj64E21rocsparse_complex_numIdEEEvi20rocsparse_direction_NS_24const_host_device_scalarIT2_EEPKiS8_PKS5_SA_S6_PS5_21rocsparse_index_base_b.uses_vcc, 1
	.set _ZN9rocsparseL19gebsrmvn_2xn_kernelILj128ELj12ELj64E21rocsparse_complex_numIdEEEvi20rocsparse_direction_NS_24const_host_device_scalarIT2_EEPKiS8_PKS5_SA_S6_PS5_21rocsparse_index_base_b.uses_flat_scratch, 0
	.set _ZN9rocsparseL19gebsrmvn_2xn_kernelILj128ELj12ELj64E21rocsparse_complex_numIdEEEvi20rocsparse_direction_NS_24const_host_device_scalarIT2_EEPKiS8_PKS5_SA_S6_PS5_21rocsparse_index_base_b.has_dyn_sized_stack, 0
	.set _ZN9rocsparseL19gebsrmvn_2xn_kernelILj128ELj12ELj64E21rocsparse_complex_numIdEEEvi20rocsparse_direction_NS_24const_host_device_scalarIT2_EEPKiS8_PKS5_SA_S6_PS5_21rocsparse_index_base_b.has_recursion, 0
	.set _ZN9rocsparseL19gebsrmvn_2xn_kernelILj128ELj12ELj64E21rocsparse_complex_numIdEEEvi20rocsparse_direction_NS_24const_host_device_scalarIT2_EEPKiS8_PKS5_SA_S6_PS5_21rocsparse_index_base_b.has_indirect_call, 0
	.section	.AMDGPU.csdata,"",@progbits
; Kernel info:
; codeLenInByte = 2884
; TotalNumSgprs: 18
; NumVgprs: 76
; ScratchSize: 0
; MemoryBound: 1
; FloatMode: 240
; IeeeMode: 1
; LDSByteSize: 0 bytes/workgroup (compile time only)
; SGPRBlocks: 0
; VGPRBlocks: 9
; NumSGPRsForWavesPerEU: 18
; NumVGPRsForWavesPerEU: 76
; Occupancy: 12
; WaveLimiterHint : 1
; COMPUTE_PGM_RSRC2:SCRATCH_EN: 0
; COMPUTE_PGM_RSRC2:USER_SGPR: 6
; COMPUTE_PGM_RSRC2:TRAP_HANDLER: 0
; COMPUTE_PGM_RSRC2:TGID_X_EN: 1
; COMPUTE_PGM_RSRC2:TGID_Y_EN: 0
; COMPUTE_PGM_RSRC2:TGID_Z_EN: 0
; COMPUTE_PGM_RSRC2:TIDIG_COMP_CNT: 0
	.section	.text._ZN9rocsparseL19gebsrmvn_2xn_kernelILj128ELj13ELj4E21rocsparse_complex_numIdEEEvi20rocsparse_direction_NS_24const_host_device_scalarIT2_EEPKiS8_PKS5_SA_S6_PS5_21rocsparse_index_base_b,"axG",@progbits,_ZN9rocsparseL19gebsrmvn_2xn_kernelILj128ELj13ELj4E21rocsparse_complex_numIdEEEvi20rocsparse_direction_NS_24const_host_device_scalarIT2_EEPKiS8_PKS5_SA_S6_PS5_21rocsparse_index_base_b,comdat
	.globl	_ZN9rocsparseL19gebsrmvn_2xn_kernelILj128ELj13ELj4E21rocsparse_complex_numIdEEEvi20rocsparse_direction_NS_24const_host_device_scalarIT2_EEPKiS8_PKS5_SA_S6_PS5_21rocsparse_index_base_b ; -- Begin function _ZN9rocsparseL19gebsrmvn_2xn_kernelILj128ELj13ELj4E21rocsparse_complex_numIdEEEvi20rocsparse_direction_NS_24const_host_device_scalarIT2_EEPKiS8_PKS5_SA_S6_PS5_21rocsparse_index_base_b
	.p2align	8
	.type	_ZN9rocsparseL19gebsrmvn_2xn_kernelILj128ELj13ELj4E21rocsparse_complex_numIdEEEvi20rocsparse_direction_NS_24const_host_device_scalarIT2_EEPKiS8_PKS5_SA_S6_PS5_21rocsparse_index_base_b,@function
_ZN9rocsparseL19gebsrmvn_2xn_kernelILj128ELj13ELj4E21rocsparse_complex_numIdEEEvi20rocsparse_direction_NS_24const_host_device_scalarIT2_EEPKiS8_PKS5_SA_S6_PS5_21rocsparse_index_base_b: ; @_ZN9rocsparseL19gebsrmvn_2xn_kernelILj128ELj13ELj4E21rocsparse_complex_numIdEEEvi20rocsparse_direction_NS_24const_host_device_scalarIT2_EEPKiS8_PKS5_SA_S6_PS5_21rocsparse_index_base_b
; %bb.0:
	s_clause 0x1
	s_load_dwordx2 s[2:3], s[4:5], 0x50
	s_load_dwordx2 s[0:1], s[4:5], 0x8
	s_add_u32 s7, s4, 8
	s_addc_u32 s10, s5, 0
	s_add_u32 s11, s4, 56
	s_addc_u32 s12, s5, 0
	s_load_dwordx2 s[8:9], s[4:5], 0x38
	s_waitcnt lgkmcnt(0)
	s_bitcmp1_b32 s3, 0
	s_cselect_b32 s0, s7, s0
	s_cselect_b32 s1, s10, s1
	v_mov_b32_e32 v1, s0
	v_mov_b32_e32 v2, s1
	s_cselect_b32 s0, s11, s8
	s_cselect_b32 s1, s12, s9
	v_mov_b32_e32 v5, s0
	v_mov_b32_e32 v6, s1
	flat_load_dwordx4 v[1:4], v[1:2]
	flat_load_dwordx4 v[5:8], v[5:6]
	s_waitcnt vmcnt(1) lgkmcnt(1)
	v_cmp_eq_f64_e32 vcc_lo, 0, v[1:2]
	v_cmp_eq_f64_e64 s0, 0, v[3:4]
	s_and_b32 s3, vcc_lo, s0
	s_mov_b32 s0, -1
	s_and_saveexec_b32 s1, s3
	s_cbranch_execz .LBB283_2
; %bb.1:
	s_waitcnt vmcnt(0) lgkmcnt(0)
	v_cmp_neq_f64_e32 vcc_lo, 1.0, v[5:6]
	v_cmp_neq_f64_e64 s0, 0, v[7:8]
	s_or_b32 s0, vcc_lo, s0
	s_orn2_b32 s0, s0, exec_lo
.LBB283_2:
	s_or_b32 exec_lo, exec_lo, s1
	s_and_saveexec_b32 s1, s0
	s_cbranch_execz .LBB283_29
; %bb.3:
	s_load_dwordx2 s[0:1], s[4:5], 0x0
	v_lshrrev_b32_e32 v9, 2, v0
	v_lshl_or_b32 v9, s6, 5, v9
	s_waitcnt lgkmcnt(0)
	v_cmp_gt_i32_e32 vcc_lo, s0, v9
	s_and_b32 exec_lo, exec_lo, vcc_lo
	s_cbranch_execz .LBB283_29
; %bb.4:
	s_load_dwordx8 s[8:15], s[4:5], 0x18
	v_ashrrev_i32_e32 v10, 31, v9
	v_and_b32_e32 v0, 3, v0
	s_cmp_lg_u32 s1, 0
	v_lshlrev_b64 v[10:11], 2, v[9:10]
	s_waitcnt lgkmcnt(0)
	v_add_co_u32 v10, vcc_lo, s8, v10
	v_add_co_ci_u32_e64 v11, null, s9, v11, vcc_lo
	global_load_dwordx2 v[11:12], v[10:11], off
	s_waitcnt vmcnt(0)
	v_subrev_nc_u32_e32 v10, s2, v11
	v_subrev_nc_u32_e32 v33, s2, v12
	v_add_nc_u32_e32 v10, v10, v0
	v_cmp_lt_i32_e64 s0, v10, v33
	s_cbranch_scc0 .LBB283_12
; %bb.5:
	v_mov_b32_e32 v12, 0
	v_mov_b32_e32 v14, 0
	v_mov_b32_e32 v16, 0
	v_mov_b32_e32 v18, 0
	v_mov_b32_e32 v13, 0
	v_mov_b32_e32 v15, 0
	v_mov_b32_e32 v17, 0
	v_mov_b32_e32 v19, 0
	s_and_saveexec_b32 s1, s0
	s_cbranch_execz .LBB283_14
; %bb.6:
	v_mul_lo_u32 v14, v11, 26
	v_mul_lo_u32 v34, v10, 26
	s_mul_i32 s3, s2, 26
	v_mov_b32_e32 v12, 0
	v_mov_b32_e32 v16, 0
	;; [unrolled: 1-line block ×5, first 2 shown]
	v_mad_u32_u24 v20, v0, 26, v14
	v_mov_b32_e32 v14, 0
	v_mov_b32_e32 v15, 0
	;; [unrolled: 1-line block ×4, first 2 shown]
	v_subrev_nc_u32_e32 v35, s3, v20
	v_mov_b32_e32 v22, v10
	s_mov_b32 s3, 0
	s_branch .LBB283_8
.LBB283_7:                              ;   in Loop: Header=BB283_8 Depth=1
	v_add_nc_u32_e32 v22, 4, v22
	v_add_nc_u32_e32 v34, 0x68, v34
	;; [unrolled: 1-line block ×3, first 2 shown]
	v_cmp_ge_i32_e32 vcc_lo, v22, v33
	s_or_b32 s3, vcc_lo, s3
	s_andn2_b32 exec_lo, exec_lo, s3
	s_cbranch_execz .LBB283_13
.LBB283_8:                              ; =>This Loop Header: Depth=1
                                        ;     Child Loop BB283_10 Depth 2
	v_ashrrev_i32_e32 v23, 31, v22
	v_mov_b32_e32 v30, v13
	v_mov_b32_e32 v32, v15
	v_mov_b32_e32 v28, v17
	v_mov_b32_e32 v26, v19
	v_lshlrev_b64 v[23:24], 2, v[22:23]
	v_mov_b32_e32 v29, v12
	v_mov_b32_e32 v31, v14
	;; [unrolled: 1-line block ×4, first 2 shown]
	s_mov_b32 s6, 0
	v_add_co_u32 v23, vcc_lo, s10, v23
	v_add_co_ci_u32_e64 v24, null, s11, v24, vcc_lo
	global_load_dword v20, v[23:24], off
	s_waitcnt vmcnt(0)
	v_subrev_nc_u32_e32 v20, s2, v20
	v_mul_lo_u32 v23, v20, 13
	s_branch .LBB283_10
.LBB283_9:                              ;   in Loop: Header=BB283_8 Depth=1
                                        ; implicit-def: $vgpr25_vgpr26
                                        ; implicit-def: $vgpr27_vgpr28
                                        ; implicit-def: $vgpr31_vgpr32
                                        ; implicit-def: $vgpr29_vgpr30
                                        ; implicit-def: $sgpr6
                                        ; implicit-def: $vgpr23
	s_branch .LBB283_7
.LBB283_10:                             ;   Parent Loop BB283_8 Depth=1
                                        ; =>  This Inner Loop Header: Depth=2
	v_mov_b32_e32 v24, v21
	v_add_nc_u32_e32 v20, s6, v35
	s_cmp_eq_u32 s6, 24
	v_lshlrev_b64 v[12:13], 4, v[23:24]
	v_lshlrev_b64 v[14:15], 4, v[20:21]
	v_add_co_u32 v12, vcc_lo, s14, v12
	v_add_co_ci_u32_e64 v13, null, s15, v13, vcc_lo
	v_add_co_u32 v36, vcc_lo, s12, v14
	v_add_co_ci_u32_e64 v37, null, s13, v15, vcc_lo
	global_load_dwordx4 v[16:19], v[12:13], off
	s_clause 0x1
	global_load_dwordx4 v[12:15], v[36:37], off
	global_load_dwordx4 v[36:39], v[36:37], off offset:16
	s_waitcnt vmcnt(1)
	v_fma_f64 v[31:32], v[12:13], v[16:17], v[31:32]
	v_fma_f64 v[29:30], v[14:15], v[16:17], v[29:30]
	s_waitcnt vmcnt(0)
	v_fma_f64 v[27:28], v[36:37], v[16:17], v[27:28]
	v_fma_f64 v[24:25], v[38:39], v[16:17], v[25:26]
	v_fma_f64 v[14:15], -v[14:15], v[18:19], v[31:32]
	v_fma_f64 v[12:13], v[12:13], v[18:19], v[29:30]
	v_fma_f64 v[16:17], -v[38:39], v[18:19], v[27:28]
	v_fma_f64 v[18:19], v[36:37], v[18:19], v[24:25]
	s_cbranch_scc1 .LBB283_9
; %bb.11:                               ;   in Loop: Header=BB283_10 Depth=2
	v_add_nc_u32_e32 v32, s6, v34
	s_add_i32 s6, s6, 8
	v_add_nc_u32_e32 v20, 2, v32
	v_lshlrev_b64 v[24:25], 4, v[20:21]
	v_add_nc_u32_e32 v20, 1, v23
	v_lshlrev_b64 v[26:27], 4, v[20:21]
	;; [unrolled: 2-line block ×3, first 2 shown]
	v_add_co_u32 v26, vcc_lo, s14, v26
	v_add_co_ci_u32_e64 v27, null, s15, v27, vcc_lo
	v_add_co_u32 v36, vcc_lo, s12, v24
	v_add_co_ci_u32_e64 v37, null, s13, v25, vcc_lo
	global_load_dwordx4 v[24:27], v[26:27], off
	s_clause 0x1
	global_load_dwordx4 v[28:31], v[36:37], off
	global_load_dwordx4 v[36:39], v[36:37], off offset:16
	v_add_nc_u32_e32 v20, 2, v23
	v_lshlrev_b64 v[42:43], 4, v[20:21]
	v_add_nc_u32_e32 v20, 6, v32
	v_add_co_u32 v42, vcc_lo, s14, v42
	v_add_co_ci_u32_e64 v43, null, s15, v43, vcc_lo
	v_add_co_u32 v48, vcc_lo, s12, v40
	v_add_co_ci_u32_e64 v49, null, s13, v41, vcc_lo
	global_load_dwordx4 v[40:43], v[42:43], off
	s_clause 0x1
	global_load_dwordx4 v[44:47], v[48:49], off
	global_load_dwordx4 v[48:51], v[48:49], off offset:16
	v_lshlrev_b64 v[52:53], 4, v[20:21]
	v_add_nc_u32_e32 v20, 3, v23
	v_add_nc_u32_e32 v23, 4, v23
	v_lshlrev_b64 v[54:55], 4, v[20:21]
	v_add_co_u32 v54, vcc_lo, s14, v54
	v_add_co_ci_u32_e64 v55, null, s15, v55, vcc_lo
	v_add_co_u32 v60, vcc_lo, s12, v52
	v_add_co_ci_u32_e64 v61, null, s13, v53, vcc_lo
	global_load_dwordx4 v[52:55], v[54:55], off
	s_clause 0x1
	global_load_dwordx4 v[56:59], v[60:61], off
	global_load_dwordx4 v[60:63], v[60:61], off offset:16
	s_waitcnt vmcnt(7)
	v_fma_f64 v[64:65], v[28:29], v[24:25], v[14:15]
	v_fma_f64 v[66:67], v[30:31], v[24:25], v[12:13]
	s_waitcnt vmcnt(6)
	v_fma_f64 v[68:69], v[36:37], v[24:25], v[16:17]
	v_fma_f64 v[24:25], v[38:39], v[24:25], v[18:19]
	v_fma_f64 v[30:31], -v[30:31], v[26:27], v[64:65]
	v_fma_f64 v[28:29], v[28:29], v[26:27], v[66:67]
	v_fma_f64 v[38:39], -v[38:39], v[26:27], v[68:69]
	v_fma_f64 v[24:25], v[36:37], v[26:27], v[24:25]
	s_waitcnt vmcnt(4)
	v_fma_f64 v[26:27], v[44:45], v[40:41], v[30:31]
	v_fma_f64 v[28:29], v[46:47], v[40:41], v[28:29]
	s_waitcnt vmcnt(3)
	v_fma_f64 v[30:31], v[48:49], v[40:41], v[38:39]
	v_fma_f64 v[24:25], v[50:51], v[40:41], v[24:25]
	v_fma_f64 v[26:27], -v[46:47], v[42:43], v[26:27]
	v_fma_f64 v[28:29], v[44:45], v[42:43], v[28:29]
	v_fma_f64 v[30:31], -v[50:51], v[42:43], v[30:31]
	v_fma_f64 v[24:25], v[48:49], v[42:43], v[24:25]
	;; [unrolled: 10-line block ×3, first 2 shown]
	s_cbranch_execnz .LBB283_10
	s_branch .LBB283_7
.LBB283_12:
                                        ; implicit-def: $vgpr12_vgpr13
                                        ; implicit-def: $vgpr14_vgpr15
                                        ; implicit-def: $vgpr16_vgpr17
                                        ; implicit-def: $vgpr18_vgpr19
	s_branch .LBB283_15
.LBB283_13:
	s_or_b32 exec_lo, exec_lo, s3
.LBB283_14:
	s_or_b32 exec_lo, exec_lo, s1
	s_cbranch_execnz .LBB283_24
.LBB283_15:
	v_mov_b32_e32 v12, 0
	v_mov_b32_e32 v14, 0
	;; [unrolled: 1-line block ×8, first 2 shown]
	s_and_saveexec_b32 s1, s0
	s_cbranch_execz .LBB283_23
; %bb.16:
	v_mul_lo_u32 v11, v11, 26
	v_mul_lo_u32 v30, v10, 26
	s_mul_i32 s0, s2, 26
	v_mov_b32_e32 v12, 0
	v_mov_b32_e32 v14, 0
	;; [unrolled: 1-line block ×5, first 2 shown]
	v_mad_u32_u24 v11, v0, 26, v11
	v_mov_b32_e32 v15, 0
	v_mov_b32_e32 v17, 0
	;; [unrolled: 1-line block ×4, first 2 shown]
	v_subrev_nc_u32_e32 v31, s0, v11
	s_mov_b32 s0, 0
	s_branch .LBB283_18
.LBB283_17:                             ;   in Loop: Header=BB283_18 Depth=1
	v_add_nc_u32_e32 v10, 4, v10
	v_add_nc_u32_e32 v30, 0x68, v30
	;; [unrolled: 1-line block ×3, first 2 shown]
	v_cmp_ge_i32_e32 vcc_lo, v10, v33
	s_or_b32 s0, vcc_lo, s0
	s_andn2_b32 exec_lo, exec_lo, s0
	s_cbranch_execz .LBB283_22
.LBB283_18:                             ; =>This Loop Header: Depth=1
                                        ;     Child Loop BB283_20 Depth 2
	v_ashrrev_i32_e32 v11, 31, v10
	v_mov_b32_e32 v27, v13
	v_mov_b32_e32 v29, v15
	;; [unrolled: 1-line block ×4, first 2 shown]
	v_lshlrev_b64 v[22:23], 2, v[10:11]
	v_mov_b32_e32 v28, v14
	v_mov_b32_e32 v24, v16
	s_mov_b32 s3, 0
	v_add_co_u32 v22, vcc_lo, s10, v22
	v_add_co_ci_u32_e64 v23, null, s11, v23, vcc_lo
	global_load_dword v11, v[22:23], off
	v_mov_b32_e32 v23, v19
	v_mov_b32_e32 v22, v18
	s_waitcnt vmcnt(0)
	v_subrev_nc_u32_e32 v11, s2, v11
	v_mul_lo_u32 v11, v11, 13
	s_branch .LBB283_20
.LBB283_19:                             ;   in Loop: Header=BB283_20 Depth=2
	s_andn2_b32 vcc_lo, exec_lo, s6
	s_cbranch_vccz .LBB283_17
.LBB283_20:                             ;   Parent Loop BB283_18 Depth=1
                                        ; =>  This Inner Loop Header: Depth=2
	v_add_nc_u32_e32 v20, s3, v31
	v_add_nc_u32_e32 v32, s3, v30
	v_mov_b32_e32 v13, v21
	s_cmp_eq_u32 s3, 12
	s_mov_b32 s6, -1
	v_lshlrev_b64 v[14:15], 4, v[20:21]
	v_add_nc_u32_e32 v20, s3, v11
	v_add_nc_u32_e32 v12, 13, v32
	v_lshlrev_b64 v[16:17], 4, v[20:21]
	v_lshlrev_b64 v[12:13], 4, v[12:13]
	v_add_co_u32 v14, vcc_lo, s12, v14
	v_add_co_ci_u32_e64 v15, null, s13, v15, vcc_lo
	v_add_co_u32 v16, vcc_lo, s14, v16
	v_add_co_ci_u32_e64 v17, null, s15, v17, vcc_lo
	;; [unrolled: 2-line block ×3, first 2 shown]
	global_load_dwordx4 v[12:15], v[14:15], off
	global_load_dwordx4 v[16:19], v[16:17], off
	;; [unrolled: 1-line block ×3, first 2 shown]
	s_waitcnt vmcnt(1)
	v_fma_f64 v[28:29], v[12:13], v[16:17], v[28:29]
	v_fma_f64 v[26:27], v[14:15], v[16:17], v[26:27]
	s_waitcnt vmcnt(0)
	v_fma_f64 v[24:25], v[34:35], v[16:17], v[24:25]
	v_fma_f64 v[22:23], v[36:37], v[16:17], v[22:23]
	v_fma_f64 v[14:15], -v[14:15], v[18:19], v[28:29]
	v_fma_f64 v[12:13], v[12:13], v[18:19], v[26:27]
	v_fma_f64 v[16:17], -v[36:37], v[18:19], v[24:25]
	v_fma_f64 v[18:19], v[34:35], v[18:19], v[22:23]
                                        ; implicit-def: $vgpr22_vgpr23
                                        ; implicit-def: $vgpr24_vgpr25
                                        ; implicit-def: $vgpr28_vgpr29
                                        ; implicit-def: $vgpr26_vgpr27
	s_cbranch_scc1 .LBB283_19
; %bb.21:                               ;   in Loop: Header=BB283_20 Depth=2
	v_add_nc_u32_e32 v22, 1, v32
	v_mov_b32_e32 v23, v21
	v_add_nc_u32_e32 v24, 1, v20
	v_mov_b32_e32 v25, v21
	;; [unrolled: 2-line block ×3, first 2 shown]
	v_lshlrev_b64 v[22:23], 4, v[22:23]
	v_add_nc_u32_e32 v38, 2, v32
	v_lshlrev_b64 v[24:25], 4, v[24:25]
	v_mov_b32_e32 v39, v21
	v_lshlrev_b64 v[26:27], 4, v[26:27]
	v_add_nc_u32_e32 v40, 2, v20
	v_add_co_u32 v22, vcc_lo, s12, v22
	v_add_co_ci_u32_e64 v23, null, s13, v23, vcc_lo
	v_add_co_u32 v28, vcc_lo, s14, v24
	v_add_co_ci_u32_e64 v29, null, s15, v25, vcc_lo
	;; [unrolled: 2-line block ×3, first 2 shown]
	global_load_dwordx4 v[22:25], v[22:23], off
	global_load_dwordx4 v[26:29], v[28:29], off
	;; [unrolled: 1-line block ×3, first 2 shown]
	v_mov_b32_e32 v41, v21
	v_lshlrev_b64 v[38:39], 4, v[38:39]
	v_add_nc_u32_e32 v20, 3, v20
	s_add_i32 s3, s3, 4
	s_mov_b32 s6, 0
	v_lshlrev_b64 v[40:41], 4, v[40:41]
	v_add_co_u32 v50, vcc_lo, s12, v38
	v_add_co_ci_u32_e64 v51, null, s13, v39, vcc_lo
	v_add_co_u32 v42, vcc_lo, s14, v40
	v_add_co_ci_u32_e64 v43, null, s15, v41, vcc_lo
	global_load_dwordx4 v[38:41], v[50:51], off
	global_load_dwordx4 v[42:45], v[42:43], off
	global_load_dwordx4 v[46:49], v[46:47], off offset:16
	v_lshlrev_b64 v[52:53], 4, v[20:21]
	v_add_nc_u32_e32 v20, 16, v32
	v_lshlrev_b64 v[54:55], 4, v[20:21]
	v_add_co_u32 v56, vcc_lo, s14, v52
	v_add_co_ci_u32_e64 v57, null, s15, v53, vcc_lo
	v_add_co_u32 v58, vcc_lo, s12, v54
	v_add_co_ci_u32_e64 v59, null, s13, v55, vcc_lo
	global_load_dwordx4 v[50:53], v[50:51], off offset:16
	global_load_dwordx4 v[54:57], v[56:57], off
	global_load_dwordx4 v[58:61], v[58:59], off
	s_waitcnt vmcnt(7)
	v_fma_f64 v[62:63], v[22:23], v[26:27], v[14:15]
	v_fma_f64 v[64:65], v[24:25], v[26:27], v[12:13]
	s_waitcnt vmcnt(6)
	v_fma_f64 v[66:67], v[34:35], v[26:27], v[16:17]
	v_fma_f64 v[26:27], v[36:37], v[26:27], v[18:19]
	v_fma_f64 v[24:25], -v[24:25], v[28:29], v[62:63]
	v_fma_f64 v[22:23], v[22:23], v[28:29], v[64:65]
	v_fma_f64 v[36:37], -v[36:37], v[28:29], v[66:67]
	v_fma_f64 v[26:27], v[34:35], v[28:29], v[26:27]
	s_waitcnt vmcnt(4)
	v_fma_f64 v[24:25], v[38:39], v[42:43], v[24:25]
	v_fma_f64 v[22:23], v[40:41], v[42:43], v[22:23]
	s_waitcnt vmcnt(3)
	v_fma_f64 v[28:29], v[46:47], v[42:43], v[36:37]
	v_fma_f64 v[26:27], v[48:49], v[42:43], v[26:27]
	v_fma_f64 v[24:25], -v[40:41], v[44:45], v[24:25]
	v_fma_f64 v[22:23], v[38:39], v[44:45], v[22:23]
	v_fma_f64 v[28:29], -v[48:49], v[44:45], v[28:29]
	v_fma_f64 v[26:27], v[46:47], v[44:45], v[26:27]
	;; [unrolled: 10-line block ×3, first 2 shown]
	s_branch .LBB283_19
.LBB283_22:
	s_or_b32 exec_lo, exec_lo, s0
.LBB283_23:
	s_or_b32 exec_lo, exec_lo, s1
.LBB283_24:
	v_mbcnt_lo_u32_b32 v26, -1, 0
	v_xor_b32_e32 v10, 2, v26
	v_cmp_gt_i32_e32 vcc_lo, 32, v10
	v_cndmask_b32_e32 v10, v26, v10, vcc_lo
	v_lshlrev_b32_e32 v25, 2, v10
	ds_bpermute_b32 v10, v25, v14
	ds_bpermute_b32 v11, v25, v15
	;; [unrolled: 1-line block ×8, first 2 shown]
	s_waitcnt lgkmcnt(6)
	v_add_f64 v[10:11], v[14:15], v[10:11]
	s_waitcnt lgkmcnt(4)
	v_add_f64 v[20:21], v[12:13], v[20:21]
	;; [unrolled: 2-line block ×3, first 2 shown]
	v_xor_b32_e32 v16, 1, v26
	s_waitcnt lgkmcnt(0)
	v_add_f64 v[14:15], v[18:19], v[24:25]
	v_cmp_gt_i32_e32 vcc_lo, 32, v16
	v_cndmask_b32_e32 v16, v26, v16, vcc_lo
	v_cmp_eq_u32_e32 vcc_lo, 3, v0
	v_lshlrev_b32_e32 v23, 2, v16
	ds_bpermute_b32 v24, v23, v10
	ds_bpermute_b32 v25, v23, v11
	;; [unrolled: 1-line block ×8, first 2 shown]
	s_and_b32 exec_lo, exec_lo, vcc_lo
	s_cbranch_execz .LBB283_29
; %bb.25:
	v_cmp_eq_f64_e32 vcc_lo, 0, v[5:6]
	v_cmp_eq_f64_e64 s0, 0, v[7:8]
	s_waitcnt lgkmcnt(6)
	v_add_f64 v[10:11], v[10:11], v[24:25]
	s_waitcnt lgkmcnt(4)
	v_add_f64 v[16:17], v[20:21], v[16:17]
	;; [unrolled: 2-line block ×4, first 2 shown]
	s_load_dwordx2 s[2:3], s[4:5], 0x48
	s_and_b32 s0, vcc_lo, s0
	s_and_saveexec_b32 s1, s0
	s_xor_b32 s0, exec_lo, s1
	s_cbranch_execz .LBB283_27
; %bb.26:
	v_mul_f64 v[5:6], v[16:17], -v[3:4]
	v_mul_f64 v[7:8], v[1:2], v[16:17]
	v_mul_f64 v[16:17], v[14:15], -v[3:4]
	v_mul_f64 v[14:15], v[1:2], v[14:15]
	v_lshlrev_b32_e32 v9, 1, v9
	v_fma_f64 v[5:6], v[1:2], v[10:11], v[5:6]
	v_fma_f64 v[7:8], v[3:4], v[10:11], v[7:8]
	;; [unrolled: 1-line block ×4, first 2 shown]
	v_ashrrev_i32_e32 v10, 31, v9
                                        ; implicit-def: $vgpr16_vgpr17
                                        ; implicit-def: $vgpr12_vgpr13
                                        ; implicit-def: $vgpr14_vgpr15
	v_lshlrev_b64 v[9:10], 4, v[9:10]
	s_waitcnt lgkmcnt(0)
	v_add_co_u32 v9, vcc_lo, s2, v9
	v_add_co_ci_u32_e64 v10, null, s3, v10, vcc_lo
	global_store_dwordx4 v[9:10], v[5:8], off
	global_store_dwordx4 v[9:10], v[0:3], off offset:16
                                        ; implicit-def: $vgpr9
                                        ; implicit-def: $vgpr10_vgpr11
                                        ; implicit-def: $vgpr7_vgpr8
                                        ; implicit-def: $vgpr3_vgpr4
.LBB283_27:
	s_andn2_saveexec_b32 s0, s0
	s_cbranch_execz .LBB283_29
; %bb.28:
	v_lshlrev_b32_e32 v18, 1, v9
	v_mul_f64 v[28:29], v[16:17], -v[3:4]
	v_mul_f64 v[16:17], v[1:2], v[16:17]
	v_mul_f64 v[30:31], v[14:15], -v[3:4]
	v_mul_f64 v[14:15], v[1:2], v[14:15]
	v_ashrrev_i32_e32 v19, 31, v18
	v_lshlrev_b64 v[18:19], 4, v[18:19]
	s_waitcnt lgkmcnt(0)
	v_add_co_u32 v26, vcc_lo, s2, v18
	v_add_co_ci_u32_e64 v27, null, s3, v19, vcc_lo
	s_clause 0x1
	global_load_dwordx4 v[18:21], v[26:27], off
	global_load_dwordx4 v[22:25], v[26:27], off offset:16
	v_fma_f64 v[28:29], v[1:2], v[10:11], v[28:29]
	v_fma_f64 v[9:10], v[3:4], v[10:11], v[16:17]
	;; [unrolled: 1-line block ×4, first 2 shown]
	s_waitcnt vmcnt(1)
	v_fma_f64 v[11:12], v[5:6], v[18:19], v[28:29]
	v_fma_f64 v[9:10], v[7:8], v[18:19], v[9:10]
	s_waitcnt vmcnt(0)
	v_fma_f64 v[13:14], v[5:6], v[22:23], v[0:1]
	v_fma_f64 v[15:16], v[7:8], v[22:23], v[2:3]
	v_fma_f64 v[0:1], -v[7:8], v[20:21], v[11:12]
	v_fma_f64 v[2:3], v[5:6], v[20:21], v[9:10]
	v_fma_f64 v[7:8], -v[7:8], v[24:25], v[13:14]
	v_fma_f64 v[9:10], v[5:6], v[24:25], v[15:16]
	global_store_dwordx4 v[26:27], v[0:3], off
	global_store_dwordx4 v[26:27], v[7:10], off offset:16
.LBB283_29:
	s_endpgm
	.section	.rodata,"a",@progbits
	.p2align	6, 0x0
	.amdhsa_kernel _ZN9rocsparseL19gebsrmvn_2xn_kernelILj128ELj13ELj4E21rocsparse_complex_numIdEEEvi20rocsparse_direction_NS_24const_host_device_scalarIT2_EEPKiS8_PKS5_SA_S6_PS5_21rocsparse_index_base_b
		.amdhsa_group_segment_fixed_size 0
		.amdhsa_private_segment_fixed_size 0
		.amdhsa_kernarg_size 88
		.amdhsa_user_sgpr_count 6
		.amdhsa_user_sgpr_private_segment_buffer 1
		.amdhsa_user_sgpr_dispatch_ptr 0
		.amdhsa_user_sgpr_queue_ptr 0
		.amdhsa_user_sgpr_kernarg_segment_ptr 1
		.amdhsa_user_sgpr_dispatch_id 0
		.amdhsa_user_sgpr_flat_scratch_init 0
		.amdhsa_user_sgpr_private_segment_size 0
		.amdhsa_wavefront_size32 1
		.amdhsa_uses_dynamic_stack 0
		.amdhsa_system_sgpr_private_segment_wavefront_offset 0
		.amdhsa_system_sgpr_workgroup_id_x 1
		.amdhsa_system_sgpr_workgroup_id_y 0
		.amdhsa_system_sgpr_workgroup_id_z 0
		.amdhsa_system_sgpr_workgroup_info 0
		.amdhsa_system_vgpr_workitem_id 0
		.amdhsa_next_free_vgpr 70
		.amdhsa_next_free_sgpr 16
		.amdhsa_reserve_vcc 1
		.amdhsa_reserve_flat_scratch 0
		.amdhsa_float_round_mode_32 0
		.amdhsa_float_round_mode_16_64 0
		.amdhsa_float_denorm_mode_32 3
		.amdhsa_float_denorm_mode_16_64 3
		.amdhsa_dx10_clamp 1
		.amdhsa_ieee_mode 1
		.amdhsa_fp16_overflow 0
		.amdhsa_workgroup_processor_mode 1
		.amdhsa_memory_ordered 1
		.amdhsa_forward_progress 1
		.amdhsa_shared_vgpr_count 0
		.amdhsa_exception_fp_ieee_invalid_op 0
		.amdhsa_exception_fp_denorm_src 0
		.amdhsa_exception_fp_ieee_div_zero 0
		.amdhsa_exception_fp_ieee_overflow 0
		.amdhsa_exception_fp_ieee_underflow 0
		.amdhsa_exception_fp_ieee_inexact 0
		.amdhsa_exception_int_div_zero 0
	.end_amdhsa_kernel
	.section	.text._ZN9rocsparseL19gebsrmvn_2xn_kernelILj128ELj13ELj4E21rocsparse_complex_numIdEEEvi20rocsparse_direction_NS_24const_host_device_scalarIT2_EEPKiS8_PKS5_SA_S6_PS5_21rocsparse_index_base_b,"axG",@progbits,_ZN9rocsparseL19gebsrmvn_2xn_kernelILj128ELj13ELj4E21rocsparse_complex_numIdEEEvi20rocsparse_direction_NS_24const_host_device_scalarIT2_EEPKiS8_PKS5_SA_S6_PS5_21rocsparse_index_base_b,comdat
.Lfunc_end283:
	.size	_ZN9rocsparseL19gebsrmvn_2xn_kernelILj128ELj13ELj4E21rocsparse_complex_numIdEEEvi20rocsparse_direction_NS_24const_host_device_scalarIT2_EEPKiS8_PKS5_SA_S6_PS5_21rocsparse_index_base_b, .Lfunc_end283-_ZN9rocsparseL19gebsrmvn_2xn_kernelILj128ELj13ELj4E21rocsparse_complex_numIdEEEvi20rocsparse_direction_NS_24const_host_device_scalarIT2_EEPKiS8_PKS5_SA_S6_PS5_21rocsparse_index_base_b
                                        ; -- End function
	.set _ZN9rocsparseL19gebsrmvn_2xn_kernelILj128ELj13ELj4E21rocsparse_complex_numIdEEEvi20rocsparse_direction_NS_24const_host_device_scalarIT2_EEPKiS8_PKS5_SA_S6_PS5_21rocsparse_index_base_b.num_vgpr, 70
	.set _ZN9rocsparseL19gebsrmvn_2xn_kernelILj128ELj13ELj4E21rocsparse_complex_numIdEEEvi20rocsparse_direction_NS_24const_host_device_scalarIT2_EEPKiS8_PKS5_SA_S6_PS5_21rocsparse_index_base_b.num_agpr, 0
	.set _ZN9rocsparseL19gebsrmvn_2xn_kernelILj128ELj13ELj4E21rocsparse_complex_numIdEEEvi20rocsparse_direction_NS_24const_host_device_scalarIT2_EEPKiS8_PKS5_SA_S6_PS5_21rocsparse_index_base_b.numbered_sgpr, 16
	.set _ZN9rocsparseL19gebsrmvn_2xn_kernelILj128ELj13ELj4E21rocsparse_complex_numIdEEEvi20rocsparse_direction_NS_24const_host_device_scalarIT2_EEPKiS8_PKS5_SA_S6_PS5_21rocsparse_index_base_b.num_named_barrier, 0
	.set _ZN9rocsparseL19gebsrmvn_2xn_kernelILj128ELj13ELj4E21rocsparse_complex_numIdEEEvi20rocsparse_direction_NS_24const_host_device_scalarIT2_EEPKiS8_PKS5_SA_S6_PS5_21rocsparse_index_base_b.private_seg_size, 0
	.set _ZN9rocsparseL19gebsrmvn_2xn_kernelILj128ELj13ELj4E21rocsparse_complex_numIdEEEvi20rocsparse_direction_NS_24const_host_device_scalarIT2_EEPKiS8_PKS5_SA_S6_PS5_21rocsparse_index_base_b.uses_vcc, 1
	.set _ZN9rocsparseL19gebsrmvn_2xn_kernelILj128ELj13ELj4E21rocsparse_complex_numIdEEEvi20rocsparse_direction_NS_24const_host_device_scalarIT2_EEPKiS8_PKS5_SA_S6_PS5_21rocsparse_index_base_b.uses_flat_scratch, 0
	.set _ZN9rocsparseL19gebsrmvn_2xn_kernelILj128ELj13ELj4E21rocsparse_complex_numIdEEEvi20rocsparse_direction_NS_24const_host_device_scalarIT2_EEPKiS8_PKS5_SA_S6_PS5_21rocsparse_index_base_b.has_dyn_sized_stack, 0
	.set _ZN9rocsparseL19gebsrmvn_2xn_kernelILj128ELj13ELj4E21rocsparse_complex_numIdEEEvi20rocsparse_direction_NS_24const_host_device_scalarIT2_EEPKiS8_PKS5_SA_S6_PS5_21rocsparse_index_base_b.has_recursion, 0
	.set _ZN9rocsparseL19gebsrmvn_2xn_kernelILj128ELj13ELj4E21rocsparse_complex_numIdEEEvi20rocsparse_direction_NS_24const_host_device_scalarIT2_EEPKiS8_PKS5_SA_S6_PS5_21rocsparse_index_base_b.has_indirect_call, 0
	.section	.AMDGPU.csdata,"",@progbits
; Kernel info:
; codeLenInByte = 2832
; TotalNumSgprs: 18
; NumVgprs: 70
; ScratchSize: 0
; MemoryBound: 0
; FloatMode: 240
; IeeeMode: 1
; LDSByteSize: 0 bytes/workgroup (compile time only)
; SGPRBlocks: 0
; VGPRBlocks: 8
; NumSGPRsForWavesPerEU: 18
; NumVGPRsForWavesPerEU: 70
; Occupancy: 12
; WaveLimiterHint : 1
; COMPUTE_PGM_RSRC2:SCRATCH_EN: 0
; COMPUTE_PGM_RSRC2:USER_SGPR: 6
; COMPUTE_PGM_RSRC2:TRAP_HANDLER: 0
; COMPUTE_PGM_RSRC2:TGID_X_EN: 1
; COMPUTE_PGM_RSRC2:TGID_Y_EN: 0
; COMPUTE_PGM_RSRC2:TGID_Z_EN: 0
; COMPUTE_PGM_RSRC2:TIDIG_COMP_CNT: 0
	.section	.text._ZN9rocsparseL19gebsrmvn_2xn_kernelILj128ELj13ELj8E21rocsparse_complex_numIdEEEvi20rocsparse_direction_NS_24const_host_device_scalarIT2_EEPKiS8_PKS5_SA_S6_PS5_21rocsparse_index_base_b,"axG",@progbits,_ZN9rocsparseL19gebsrmvn_2xn_kernelILj128ELj13ELj8E21rocsparse_complex_numIdEEEvi20rocsparse_direction_NS_24const_host_device_scalarIT2_EEPKiS8_PKS5_SA_S6_PS5_21rocsparse_index_base_b,comdat
	.globl	_ZN9rocsparseL19gebsrmvn_2xn_kernelILj128ELj13ELj8E21rocsparse_complex_numIdEEEvi20rocsparse_direction_NS_24const_host_device_scalarIT2_EEPKiS8_PKS5_SA_S6_PS5_21rocsparse_index_base_b ; -- Begin function _ZN9rocsparseL19gebsrmvn_2xn_kernelILj128ELj13ELj8E21rocsparse_complex_numIdEEEvi20rocsparse_direction_NS_24const_host_device_scalarIT2_EEPKiS8_PKS5_SA_S6_PS5_21rocsparse_index_base_b
	.p2align	8
	.type	_ZN9rocsparseL19gebsrmvn_2xn_kernelILj128ELj13ELj8E21rocsparse_complex_numIdEEEvi20rocsparse_direction_NS_24const_host_device_scalarIT2_EEPKiS8_PKS5_SA_S6_PS5_21rocsparse_index_base_b,@function
_ZN9rocsparseL19gebsrmvn_2xn_kernelILj128ELj13ELj8E21rocsparse_complex_numIdEEEvi20rocsparse_direction_NS_24const_host_device_scalarIT2_EEPKiS8_PKS5_SA_S6_PS5_21rocsparse_index_base_b: ; @_ZN9rocsparseL19gebsrmvn_2xn_kernelILj128ELj13ELj8E21rocsparse_complex_numIdEEEvi20rocsparse_direction_NS_24const_host_device_scalarIT2_EEPKiS8_PKS5_SA_S6_PS5_21rocsparse_index_base_b
; %bb.0:
	s_clause 0x1
	s_load_dwordx2 s[2:3], s[4:5], 0x50
	s_load_dwordx2 s[0:1], s[4:5], 0x8
	s_add_u32 s7, s4, 8
	s_addc_u32 s10, s5, 0
	s_add_u32 s11, s4, 56
	s_addc_u32 s12, s5, 0
	s_load_dwordx2 s[8:9], s[4:5], 0x38
	s_waitcnt lgkmcnt(0)
	s_bitcmp1_b32 s3, 0
	s_cselect_b32 s0, s7, s0
	s_cselect_b32 s1, s10, s1
	v_mov_b32_e32 v1, s0
	v_mov_b32_e32 v2, s1
	s_cselect_b32 s0, s11, s8
	s_cselect_b32 s1, s12, s9
	v_mov_b32_e32 v5, s0
	v_mov_b32_e32 v6, s1
	flat_load_dwordx4 v[1:4], v[1:2]
	flat_load_dwordx4 v[5:8], v[5:6]
	s_waitcnt vmcnt(1) lgkmcnt(1)
	v_cmp_eq_f64_e32 vcc_lo, 0, v[1:2]
	v_cmp_eq_f64_e64 s0, 0, v[3:4]
	s_and_b32 s3, vcc_lo, s0
	s_mov_b32 s0, -1
	s_and_saveexec_b32 s1, s3
	s_cbranch_execz .LBB284_2
; %bb.1:
	s_waitcnt vmcnt(0) lgkmcnt(0)
	v_cmp_neq_f64_e32 vcc_lo, 1.0, v[5:6]
	v_cmp_neq_f64_e64 s0, 0, v[7:8]
	s_or_b32 s0, vcc_lo, s0
	s_orn2_b32 s0, s0, exec_lo
.LBB284_2:
	s_or_b32 exec_lo, exec_lo, s1
	s_and_saveexec_b32 s1, s0
	s_cbranch_execz .LBB284_29
; %bb.3:
	s_load_dwordx2 s[0:1], s[4:5], 0x0
	v_lshrrev_b32_e32 v9, 3, v0
	v_lshl_or_b32 v9, s6, 4, v9
	s_waitcnt lgkmcnt(0)
	v_cmp_gt_i32_e32 vcc_lo, s0, v9
	s_and_b32 exec_lo, exec_lo, vcc_lo
	s_cbranch_execz .LBB284_29
; %bb.4:
	s_load_dwordx8 s[8:15], s[4:5], 0x18
	v_ashrrev_i32_e32 v10, 31, v9
	v_and_b32_e32 v0, 7, v0
	s_cmp_lg_u32 s1, 0
	v_lshlrev_b64 v[10:11], 2, v[9:10]
	s_waitcnt lgkmcnt(0)
	v_add_co_u32 v10, vcc_lo, s8, v10
	v_add_co_ci_u32_e64 v11, null, s9, v11, vcc_lo
	global_load_dwordx2 v[11:12], v[10:11], off
	s_waitcnt vmcnt(0)
	v_subrev_nc_u32_e32 v10, s2, v11
	v_subrev_nc_u32_e32 v33, s2, v12
	v_add_nc_u32_e32 v10, v10, v0
	v_cmp_lt_i32_e64 s0, v10, v33
	s_cbranch_scc0 .LBB284_12
; %bb.5:
	v_mov_b32_e32 v12, 0
	v_mov_b32_e32 v14, 0
	;; [unrolled: 1-line block ×8, first 2 shown]
	s_and_saveexec_b32 s1, s0
	s_cbranch_execz .LBB284_14
; %bb.6:
	v_mul_lo_u32 v14, v11, 26
	v_mul_lo_u32 v34, v10, 26
	s_mul_i32 s3, s2, 26
	v_mov_b32_e32 v12, 0
	v_mov_b32_e32 v16, 0
	;; [unrolled: 1-line block ×5, first 2 shown]
	v_mad_u32_u24 v20, v0, 26, v14
	v_mov_b32_e32 v14, 0
	v_mov_b32_e32 v15, 0
	;; [unrolled: 1-line block ×4, first 2 shown]
	v_subrev_nc_u32_e32 v35, s3, v20
	v_mov_b32_e32 v22, v10
	s_mov_b32 s3, 0
	s_branch .LBB284_8
.LBB284_7:                              ;   in Loop: Header=BB284_8 Depth=1
	v_add_nc_u32_e32 v22, 8, v22
	v_add_nc_u32_e32 v34, 0xd0, v34
	;; [unrolled: 1-line block ×3, first 2 shown]
	v_cmp_ge_i32_e32 vcc_lo, v22, v33
	s_or_b32 s3, vcc_lo, s3
	s_andn2_b32 exec_lo, exec_lo, s3
	s_cbranch_execz .LBB284_13
.LBB284_8:                              ; =>This Loop Header: Depth=1
                                        ;     Child Loop BB284_10 Depth 2
	v_ashrrev_i32_e32 v23, 31, v22
	v_mov_b32_e32 v30, v13
	v_mov_b32_e32 v32, v15
	;; [unrolled: 1-line block ×4, first 2 shown]
	v_lshlrev_b64 v[23:24], 2, v[22:23]
	v_mov_b32_e32 v29, v12
	v_mov_b32_e32 v31, v14
	;; [unrolled: 1-line block ×4, first 2 shown]
	s_mov_b32 s6, 0
	v_add_co_u32 v23, vcc_lo, s10, v23
	v_add_co_ci_u32_e64 v24, null, s11, v24, vcc_lo
	global_load_dword v20, v[23:24], off
	s_waitcnt vmcnt(0)
	v_subrev_nc_u32_e32 v20, s2, v20
	v_mul_lo_u32 v23, v20, 13
	s_branch .LBB284_10
.LBB284_9:                              ;   in Loop: Header=BB284_8 Depth=1
                                        ; implicit-def: $vgpr25_vgpr26
                                        ; implicit-def: $vgpr27_vgpr28
                                        ; implicit-def: $vgpr31_vgpr32
                                        ; implicit-def: $vgpr29_vgpr30
                                        ; implicit-def: $sgpr6
                                        ; implicit-def: $vgpr23
	s_branch .LBB284_7
.LBB284_10:                             ;   Parent Loop BB284_8 Depth=1
                                        ; =>  This Inner Loop Header: Depth=2
	v_mov_b32_e32 v24, v21
	v_add_nc_u32_e32 v20, s6, v35
	s_cmp_eq_u32 s6, 24
	v_lshlrev_b64 v[12:13], 4, v[23:24]
	v_lshlrev_b64 v[14:15], 4, v[20:21]
	v_add_co_u32 v12, vcc_lo, s14, v12
	v_add_co_ci_u32_e64 v13, null, s15, v13, vcc_lo
	v_add_co_u32 v36, vcc_lo, s12, v14
	v_add_co_ci_u32_e64 v37, null, s13, v15, vcc_lo
	global_load_dwordx4 v[16:19], v[12:13], off
	s_clause 0x1
	global_load_dwordx4 v[12:15], v[36:37], off
	global_load_dwordx4 v[36:39], v[36:37], off offset:16
	s_waitcnt vmcnt(1)
	v_fma_f64 v[31:32], v[12:13], v[16:17], v[31:32]
	v_fma_f64 v[29:30], v[14:15], v[16:17], v[29:30]
	s_waitcnt vmcnt(0)
	v_fma_f64 v[27:28], v[36:37], v[16:17], v[27:28]
	v_fma_f64 v[24:25], v[38:39], v[16:17], v[25:26]
	v_fma_f64 v[14:15], -v[14:15], v[18:19], v[31:32]
	v_fma_f64 v[12:13], v[12:13], v[18:19], v[29:30]
	v_fma_f64 v[16:17], -v[38:39], v[18:19], v[27:28]
	v_fma_f64 v[18:19], v[36:37], v[18:19], v[24:25]
	s_cbranch_scc1 .LBB284_9
; %bb.11:                               ;   in Loop: Header=BB284_10 Depth=2
	v_add_nc_u32_e32 v32, s6, v34
	s_add_i32 s6, s6, 8
	v_add_nc_u32_e32 v20, 2, v32
	v_lshlrev_b64 v[24:25], 4, v[20:21]
	v_add_nc_u32_e32 v20, 1, v23
	v_lshlrev_b64 v[26:27], 4, v[20:21]
	;; [unrolled: 2-line block ×3, first 2 shown]
	v_add_co_u32 v26, vcc_lo, s14, v26
	v_add_co_ci_u32_e64 v27, null, s15, v27, vcc_lo
	v_add_co_u32 v36, vcc_lo, s12, v24
	v_add_co_ci_u32_e64 v37, null, s13, v25, vcc_lo
	global_load_dwordx4 v[24:27], v[26:27], off
	s_clause 0x1
	global_load_dwordx4 v[28:31], v[36:37], off
	global_load_dwordx4 v[36:39], v[36:37], off offset:16
	v_add_nc_u32_e32 v20, 2, v23
	v_lshlrev_b64 v[42:43], 4, v[20:21]
	v_add_nc_u32_e32 v20, 6, v32
	v_add_co_u32 v42, vcc_lo, s14, v42
	v_add_co_ci_u32_e64 v43, null, s15, v43, vcc_lo
	v_add_co_u32 v48, vcc_lo, s12, v40
	v_add_co_ci_u32_e64 v49, null, s13, v41, vcc_lo
	global_load_dwordx4 v[40:43], v[42:43], off
	s_clause 0x1
	global_load_dwordx4 v[44:47], v[48:49], off
	global_load_dwordx4 v[48:51], v[48:49], off offset:16
	v_lshlrev_b64 v[52:53], 4, v[20:21]
	v_add_nc_u32_e32 v20, 3, v23
	v_add_nc_u32_e32 v23, 4, v23
	v_lshlrev_b64 v[54:55], 4, v[20:21]
	v_add_co_u32 v54, vcc_lo, s14, v54
	v_add_co_ci_u32_e64 v55, null, s15, v55, vcc_lo
	v_add_co_u32 v60, vcc_lo, s12, v52
	v_add_co_ci_u32_e64 v61, null, s13, v53, vcc_lo
	global_load_dwordx4 v[52:55], v[54:55], off
	s_clause 0x1
	global_load_dwordx4 v[56:59], v[60:61], off
	global_load_dwordx4 v[60:63], v[60:61], off offset:16
	s_waitcnt vmcnt(7)
	v_fma_f64 v[64:65], v[28:29], v[24:25], v[14:15]
	v_fma_f64 v[66:67], v[30:31], v[24:25], v[12:13]
	s_waitcnt vmcnt(6)
	v_fma_f64 v[68:69], v[36:37], v[24:25], v[16:17]
	v_fma_f64 v[24:25], v[38:39], v[24:25], v[18:19]
	v_fma_f64 v[30:31], -v[30:31], v[26:27], v[64:65]
	v_fma_f64 v[28:29], v[28:29], v[26:27], v[66:67]
	v_fma_f64 v[38:39], -v[38:39], v[26:27], v[68:69]
	v_fma_f64 v[24:25], v[36:37], v[26:27], v[24:25]
	s_waitcnt vmcnt(4)
	v_fma_f64 v[26:27], v[44:45], v[40:41], v[30:31]
	v_fma_f64 v[28:29], v[46:47], v[40:41], v[28:29]
	s_waitcnt vmcnt(3)
	v_fma_f64 v[30:31], v[48:49], v[40:41], v[38:39]
	v_fma_f64 v[24:25], v[50:51], v[40:41], v[24:25]
	v_fma_f64 v[26:27], -v[46:47], v[42:43], v[26:27]
	v_fma_f64 v[28:29], v[44:45], v[42:43], v[28:29]
	v_fma_f64 v[30:31], -v[50:51], v[42:43], v[30:31]
	v_fma_f64 v[24:25], v[48:49], v[42:43], v[24:25]
	;; [unrolled: 10-line block ×3, first 2 shown]
	s_cbranch_execnz .LBB284_10
	s_branch .LBB284_7
.LBB284_12:
                                        ; implicit-def: $vgpr12_vgpr13
                                        ; implicit-def: $vgpr14_vgpr15
                                        ; implicit-def: $vgpr16_vgpr17
                                        ; implicit-def: $vgpr18_vgpr19
	s_branch .LBB284_15
.LBB284_13:
	s_or_b32 exec_lo, exec_lo, s3
.LBB284_14:
	s_or_b32 exec_lo, exec_lo, s1
	s_cbranch_execnz .LBB284_24
.LBB284_15:
	v_mov_b32_e32 v12, 0
	v_mov_b32_e32 v14, 0
	;; [unrolled: 1-line block ×8, first 2 shown]
	s_and_saveexec_b32 s1, s0
	s_cbranch_execz .LBB284_23
; %bb.16:
	v_mul_lo_u32 v11, v11, 26
	v_mul_lo_u32 v30, v10, 26
	s_mul_i32 s0, s2, 26
	v_mov_b32_e32 v12, 0
	v_mov_b32_e32 v14, 0
	;; [unrolled: 1-line block ×5, first 2 shown]
	v_mad_u32_u24 v11, v0, 26, v11
	v_mov_b32_e32 v15, 0
	v_mov_b32_e32 v17, 0
	;; [unrolled: 1-line block ×4, first 2 shown]
	v_subrev_nc_u32_e32 v31, s0, v11
	s_mov_b32 s0, 0
	s_branch .LBB284_18
.LBB284_17:                             ;   in Loop: Header=BB284_18 Depth=1
	v_add_nc_u32_e32 v10, 8, v10
	v_add_nc_u32_e32 v30, 0xd0, v30
	;; [unrolled: 1-line block ×3, first 2 shown]
	v_cmp_ge_i32_e32 vcc_lo, v10, v33
	s_or_b32 s0, vcc_lo, s0
	s_andn2_b32 exec_lo, exec_lo, s0
	s_cbranch_execz .LBB284_22
.LBB284_18:                             ; =>This Loop Header: Depth=1
                                        ;     Child Loop BB284_20 Depth 2
	v_ashrrev_i32_e32 v11, 31, v10
	v_mov_b32_e32 v27, v13
	v_mov_b32_e32 v29, v15
	;; [unrolled: 1-line block ×4, first 2 shown]
	v_lshlrev_b64 v[22:23], 2, v[10:11]
	v_mov_b32_e32 v28, v14
	v_mov_b32_e32 v24, v16
	s_mov_b32 s3, 0
	v_add_co_u32 v22, vcc_lo, s10, v22
	v_add_co_ci_u32_e64 v23, null, s11, v23, vcc_lo
	global_load_dword v11, v[22:23], off
	v_mov_b32_e32 v23, v19
	v_mov_b32_e32 v22, v18
	s_waitcnt vmcnt(0)
	v_subrev_nc_u32_e32 v11, s2, v11
	v_mul_lo_u32 v11, v11, 13
	s_branch .LBB284_20
.LBB284_19:                             ;   in Loop: Header=BB284_20 Depth=2
	s_andn2_b32 vcc_lo, exec_lo, s6
	s_cbranch_vccz .LBB284_17
.LBB284_20:                             ;   Parent Loop BB284_18 Depth=1
                                        ; =>  This Inner Loop Header: Depth=2
	v_add_nc_u32_e32 v20, s3, v31
	v_add_nc_u32_e32 v32, s3, v30
	v_mov_b32_e32 v13, v21
	s_cmp_eq_u32 s3, 12
	s_mov_b32 s6, -1
	v_lshlrev_b64 v[14:15], 4, v[20:21]
	v_add_nc_u32_e32 v20, s3, v11
	v_add_nc_u32_e32 v12, 13, v32
	v_lshlrev_b64 v[16:17], 4, v[20:21]
	v_lshlrev_b64 v[12:13], 4, v[12:13]
	v_add_co_u32 v14, vcc_lo, s12, v14
	v_add_co_ci_u32_e64 v15, null, s13, v15, vcc_lo
	v_add_co_u32 v16, vcc_lo, s14, v16
	v_add_co_ci_u32_e64 v17, null, s15, v17, vcc_lo
	;; [unrolled: 2-line block ×3, first 2 shown]
	global_load_dwordx4 v[12:15], v[14:15], off
	global_load_dwordx4 v[16:19], v[16:17], off
	;; [unrolled: 1-line block ×3, first 2 shown]
	s_waitcnt vmcnt(1)
	v_fma_f64 v[28:29], v[12:13], v[16:17], v[28:29]
	v_fma_f64 v[26:27], v[14:15], v[16:17], v[26:27]
	s_waitcnt vmcnt(0)
	v_fma_f64 v[24:25], v[34:35], v[16:17], v[24:25]
	v_fma_f64 v[22:23], v[36:37], v[16:17], v[22:23]
	v_fma_f64 v[14:15], -v[14:15], v[18:19], v[28:29]
	v_fma_f64 v[12:13], v[12:13], v[18:19], v[26:27]
	v_fma_f64 v[16:17], -v[36:37], v[18:19], v[24:25]
	v_fma_f64 v[18:19], v[34:35], v[18:19], v[22:23]
                                        ; implicit-def: $vgpr22_vgpr23
                                        ; implicit-def: $vgpr24_vgpr25
                                        ; implicit-def: $vgpr28_vgpr29
                                        ; implicit-def: $vgpr26_vgpr27
	s_cbranch_scc1 .LBB284_19
; %bb.21:                               ;   in Loop: Header=BB284_20 Depth=2
	v_add_nc_u32_e32 v22, 1, v32
	v_mov_b32_e32 v23, v21
	v_add_nc_u32_e32 v24, 1, v20
	v_mov_b32_e32 v25, v21
	;; [unrolled: 2-line block ×3, first 2 shown]
	v_lshlrev_b64 v[22:23], 4, v[22:23]
	v_add_nc_u32_e32 v38, 2, v32
	v_lshlrev_b64 v[24:25], 4, v[24:25]
	v_mov_b32_e32 v39, v21
	v_lshlrev_b64 v[26:27], 4, v[26:27]
	v_add_nc_u32_e32 v40, 2, v20
	v_add_co_u32 v22, vcc_lo, s12, v22
	v_add_co_ci_u32_e64 v23, null, s13, v23, vcc_lo
	v_add_co_u32 v28, vcc_lo, s14, v24
	v_add_co_ci_u32_e64 v29, null, s15, v25, vcc_lo
	;; [unrolled: 2-line block ×3, first 2 shown]
	global_load_dwordx4 v[22:25], v[22:23], off
	global_load_dwordx4 v[26:29], v[28:29], off
	;; [unrolled: 1-line block ×3, first 2 shown]
	v_mov_b32_e32 v41, v21
	v_lshlrev_b64 v[38:39], 4, v[38:39]
	v_add_nc_u32_e32 v20, 3, v20
	s_add_i32 s3, s3, 4
	s_mov_b32 s6, 0
	v_lshlrev_b64 v[40:41], 4, v[40:41]
	v_add_co_u32 v50, vcc_lo, s12, v38
	v_add_co_ci_u32_e64 v51, null, s13, v39, vcc_lo
	v_add_co_u32 v42, vcc_lo, s14, v40
	v_add_co_ci_u32_e64 v43, null, s15, v41, vcc_lo
	global_load_dwordx4 v[38:41], v[50:51], off
	global_load_dwordx4 v[42:45], v[42:43], off
	global_load_dwordx4 v[46:49], v[46:47], off offset:16
	v_lshlrev_b64 v[52:53], 4, v[20:21]
	v_add_nc_u32_e32 v20, 16, v32
	v_lshlrev_b64 v[54:55], 4, v[20:21]
	v_add_co_u32 v56, vcc_lo, s14, v52
	v_add_co_ci_u32_e64 v57, null, s15, v53, vcc_lo
	v_add_co_u32 v58, vcc_lo, s12, v54
	v_add_co_ci_u32_e64 v59, null, s13, v55, vcc_lo
	global_load_dwordx4 v[50:53], v[50:51], off offset:16
	global_load_dwordx4 v[54:57], v[56:57], off
	global_load_dwordx4 v[58:61], v[58:59], off
	s_waitcnt vmcnt(7)
	v_fma_f64 v[62:63], v[22:23], v[26:27], v[14:15]
	v_fma_f64 v[64:65], v[24:25], v[26:27], v[12:13]
	s_waitcnt vmcnt(6)
	v_fma_f64 v[66:67], v[34:35], v[26:27], v[16:17]
	v_fma_f64 v[26:27], v[36:37], v[26:27], v[18:19]
	v_fma_f64 v[24:25], -v[24:25], v[28:29], v[62:63]
	v_fma_f64 v[22:23], v[22:23], v[28:29], v[64:65]
	v_fma_f64 v[36:37], -v[36:37], v[28:29], v[66:67]
	v_fma_f64 v[26:27], v[34:35], v[28:29], v[26:27]
	s_waitcnt vmcnt(4)
	v_fma_f64 v[24:25], v[38:39], v[42:43], v[24:25]
	v_fma_f64 v[22:23], v[40:41], v[42:43], v[22:23]
	s_waitcnt vmcnt(3)
	v_fma_f64 v[28:29], v[46:47], v[42:43], v[36:37]
	v_fma_f64 v[26:27], v[48:49], v[42:43], v[26:27]
	v_fma_f64 v[24:25], -v[40:41], v[44:45], v[24:25]
	v_fma_f64 v[22:23], v[38:39], v[44:45], v[22:23]
	v_fma_f64 v[28:29], -v[48:49], v[44:45], v[28:29]
	v_fma_f64 v[26:27], v[46:47], v[44:45], v[26:27]
	;; [unrolled: 10-line block ×3, first 2 shown]
	s_branch .LBB284_19
.LBB284_22:
	s_or_b32 exec_lo, exec_lo, s0
.LBB284_23:
	s_or_b32 exec_lo, exec_lo, s1
.LBB284_24:
	v_mbcnt_lo_u32_b32 v26, -1, 0
	v_xor_b32_e32 v10, 4, v26
	v_cmp_gt_i32_e32 vcc_lo, 32, v10
	v_cndmask_b32_e32 v10, v26, v10, vcc_lo
	v_lshlrev_b32_e32 v25, 2, v10
	ds_bpermute_b32 v10, v25, v14
	ds_bpermute_b32 v11, v25, v15
	;; [unrolled: 1-line block ×8, first 2 shown]
	s_waitcnt lgkmcnt(6)
	v_add_f64 v[10:11], v[14:15], v[10:11]
	s_waitcnt lgkmcnt(4)
	v_add_f64 v[12:13], v[12:13], v[20:21]
	;; [unrolled: 2-line block ×3, first 2 shown]
	v_xor_b32_e32 v16, 2, v26
	s_waitcnt lgkmcnt(0)
	v_add_f64 v[18:19], v[18:19], v[24:25]
	v_cmp_gt_i32_e32 vcc_lo, 32, v16
	v_cndmask_b32_e32 v16, v26, v16, vcc_lo
	v_lshlrev_b32_e32 v25, 2, v16
	ds_bpermute_b32 v16, v25, v10
	ds_bpermute_b32 v17, v25, v11
	;; [unrolled: 1-line block ×8, first 2 shown]
	s_waitcnt lgkmcnt(6)
	v_add_f64 v[10:11], v[10:11], v[16:17]
	s_waitcnt lgkmcnt(4)
	v_add_f64 v[16:17], v[12:13], v[20:21]
	;; [unrolled: 2-line block ×4, first 2 shown]
	v_xor_b32_e32 v18, 1, v26
	v_cmp_gt_i32_e32 vcc_lo, 32, v18
	v_cndmask_b32_e32 v18, v26, v18, vcc_lo
	v_cmp_eq_u32_e32 vcc_lo, 7, v0
	v_lshlrev_b32_e32 v21, 2, v18
	ds_bpermute_b32 v24, v21, v10
	ds_bpermute_b32 v25, v21, v11
	;; [unrolled: 1-line block ×8, first 2 shown]
	s_and_b32 exec_lo, exec_lo, vcc_lo
	s_cbranch_execz .LBB284_29
; %bb.25:
	v_cmp_eq_f64_e32 vcc_lo, 0, v[5:6]
	v_cmp_eq_f64_e64 s0, 0, v[7:8]
	s_waitcnt lgkmcnt(6)
	v_add_f64 v[10:11], v[10:11], v[24:25]
	s_waitcnt lgkmcnt(4)
	v_add_f64 v[16:17], v[16:17], v[22:23]
	;; [unrolled: 2-line block ×4, first 2 shown]
	s_load_dwordx2 s[2:3], s[4:5], 0x48
	s_and_b32 s0, vcc_lo, s0
	s_and_saveexec_b32 s1, s0
	s_xor_b32 s0, exec_lo, s1
	s_cbranch_execz .LBB284_27
; %bb.26:
	v_mul_f64 v[5:6], v[16:17], -v[3:4]
	v_mul_f64 v[7:8], v[1:2], v[16:17]
	v_mul_f64 v[16:17], v[14:15], -v[3:4]
	v_mul_f64 v[14:15], v[1:2], v[14:15]
	v_lshlrev_b32_e32 v9, 1, v9
	v_fma_f64 v[5:6], v[1:2], v[10:11], v[5:6]
	v_fma_f64 v[7:8], v[3:4], v[10:11], v[7:8]
	;; [unrolled: 1-line block ×4, first 2 shown]
	v_ashrrev_i32_e32 v10, 31, v9
                                        ; implicit-def: $vgpr16_vgpr17
                                        ; implicit-def: $vgpr12_vgpr13
                                        ; implicit-def: $vgpr14_vgpr15
	v_lshlrev_b64 v[9:10], 4, v[9:10]
	s_waitcnt lgkmcnt(0)
	v_add_co_u32 v9, vcc_lo, s2, v9
	v_add_co_ci_u32_e64 v10, null, s3, v10, vcc_lo
	global_store_dwordx4 v[9:10], v[5:8], off
	global_store_dwordx4 v[9:10], v[0:3], off offset:16
                                        ; implicit-def: $vgpr9
                                        ; implicit-def: $vgpr10_vgpr11
                                        ; implicit-def: $vgpr7_vgpr8
                                        ; implicit-def: $vgpr3_vgpr4
.LBB284_27:
	s_andn2_saveexec_b32 s0, s0
	s_cbranch_execz .LBB284_29
; %bb.28:
	v_lshlrev_b32_e32 v18, 1, v9
	v_mul_f64 v[28:29], v[16:17], -v[3:4]
	v_mul_f64 v[16:17], v[1:2], v[16:17]
	v_mul_f64 v[30:31], v[14:15], -v[3:4]
	v_mul_f64 v[14:15], v[1:2], v[14:15]
	v_ashrrev_i32_e32 v19, 31, v18
	v_lshlrev_b64 v[18:19], 4, v[18:19]
	s_waitcnt lgkmcnt(0)
	v_add_co_u32 v26, vcc_lo, s2, v18
	v_add_co_ci_u32_e64 v27, null, s3, v19, vcc_lo
	s_clause 0x1
	global_load_dwordx4 v[18:21], v[26:27], off
	global_load_dwordx4 v[22:25], v[26:27], off offset:16
	v_fma_f64 v[28:29], v[1:2], v[10:11], v[28:29]
	v_fma_f64 v[9:10], v[3:4], v[10:11], v[16:17]
	;; [unrolled: 1-line block ×4, first 2 shown]
	s_waitcnt vmcnt(1)
	v_fma_f64 v[11:12], v[5:6], v[18:19], v[28:29]
	v_fma_f64 v[9:10], v[7:8], v[18:19], v[9:10]
	s_waitcnt vmcnt(0)
	v_fma_f64 v[13:14], v[5:6], v[22:23], v[0:1]
	v_fma_f64 v[15:16], v[7:8], v[22:23], v[2:3]
	v_fma_f64 v[0:1], -v[7:8], v[20:21], v[11:12]
	v_fma_f64 v[2:3], v[5:6], v[20:21], v[9:10]
	v_fma_f64 v[7:8], -v[7:8], v[24:25], v[13:14]
	v_fma_f64 v[9:10], v[5:6], v[24:25], v[15:16]
	global_store_dwordx4 v[26:27], v[0:3], off
	global_store_dwordx4 v[26:27], v[7:10], off offset:16
.LBB284_29:
	s_endpgm
	.section	.rodata,"a",@progbits
	.p2align	6, 0x0
	.amdhsa_kernel _ZN9rocsparseL19gebsrmvn_2xn_kernelILj128ELj13ELj8E21rocsparse_complex_numIdEEEvi20rocsparse_direction_NS_24const_host_device_scalarIT2_EEPKiS8_PKS5_SA_S6_PS5_21rocsparse_index_base_b
		.amdhsa_group_segment_fixed_size 0
		.amdhsa_private_segment_fixed_size 0
		.amdhsa_kernarg_size 88
		.amdhsa_user_sgpr_count 6
		.amdhsa_user_sgpr_private_segment_buffer 1
		.amdhsa_user_sgpr_dispatch_ptr 0
		.amdhsa_user_sgpr_queue_ptr 0
		.amdhsa_user_sgpr_kernarg_segment_ptr 1
		.amdhsa_user_sgpr_dispatch_id 0
		.amdhsa_user_sgpr_flat_scratch_init 0
		.amdhsa_user_sgpr_private_segment_size 0
		.amdhsa_wavefront_size32 1
		.amdhsa_uses_dynamic_stack 0
		.amdhsa_system_sgpr_private_segment_wavefront_offset 0
		.amdhsa_system_sgpr_workgroup_id_x 1
		.amdhsa_system_sgpr_workgroup_id_y 0
		.amdhsa_system_sgpr_workgroup_id_z 0
		.amdhsa_system_sgpr_workgroup_info 0
		.amdhsa_system_vgpr_workitem_id 0
		.amdhsa_next_free_vgpr 70
		.amdhsa_next_free_sgpr 16
		.amdhsa_reserve_vcc 1
		.amdhsa_reserve_flat_scratch 0
		.amdhsa_float_round_mode_32 0
		.amdhsa_float_round_mode_16_64 0
		.amdhsa_float_denorm_mode_32 3
		.amdhsa_float_denorm_mode_16_64 3
		.amdhsa_dx10_clamp 1
		.amdhsa_ieee_mode 1
		.amdhsa_fp16_overflow 0
		.amdhsa_workgroup_processor_mode 1
		.amdhsa_memory_ordered 1
		.amdhsa_forward_progress 1
		.amdhsa_shared_vgpr_count 0
		.amdhsa_exception_fp_ieee_invalid_op 0
		.amdhsa_exception_fp_denorm_src 0
		.amdhsa_exception_fp_ieee_div_zero 0
		.amdhsa_exception_fp_ieee_overflow 0
		.amdhsa_exception_fp_ieee_underflow 0
		.amdhsa_exception_fp_ieee_inexact 0
		.amdhsa_exception_int_div_zero 0
	.end_amdhsa_kernel
	.section	.text._ZN9rocsparseL19gebsrmvn_2xn_kernelILj128ELj13ELj8E21rocsparse_complex_numIdEEEvi20rocsparse_direction_NS_24const_host_device_scalarIT2_EEPKiS8_PKS5_SA_S6_PS5_21rocsparse_index_base_b,"axG",@progbits,_ZN9rocsparseL19gebsrmvn_2xn_kernelILj128ELj13ELj8E21rocsparse_complex_numIdEEEvi20rocsparse_direction_NS_24const_host_device_scalarIT2_EEPKiS8_PKS5_SA_S6_PS5_21rocsparse_index_base_b,comdat
.Lfunc_end284:
	.size	_ZN9rocsparseL19gebsrmvn_2xn_kernelILj128ELj13ELj8E21rocsparse_complex_numIdEEEvi20rocsparse_direction_NS_24const_host_device_scalarIT2_EEPKiS8_PKS5_SA_S6_PS5_21rocsparse_index_base_b, .Lfunc_end284-_ZN9rocsparseL19gebsrmvn_2xn_kernelILj128ELj13ELj8E21rocsparse_complex_numIdEEEvi20rocsparse_direction_NS_24const_host_device_scalarIT2_EEPKiS8_PKS5_SA_S6_PS5_21rocsparse_index_base_b
                                        ; -- End function
	.set _ZN9rocsparseL19gebsrmvn_2xn_kernelILj128ELj13ELj8E21rocsparse_complex_numIdEEEvi20rocsparse_direction_NS_24const_host_device_scalarIT2_EEPKiS8_PKS5_SA_S6_PS5_21rocsparse_index_base_b.num_vgpr, 70
	.set _ZN9rocsparseL19gebsrmvn_2xn_kernelILj128ELj13ELj8E21rocsparse_complex_numIdEEEvi20rocsparse_direction_NS_24const_host_device_scalarIT2_EEPKiS8_PKS5_SA_S6_PS5_21rocsparse_index_base_b.num_agpr, 0
	.set _ZN9rocsparseL19gebsrmvn_2xn_kernelILj128ELj13ELj8E21rocsparse_complex_numIdEEEvi20rocsparse_direction_NS_24const_host_device_scalarIT2_EEPKiS8_PKS5_SA_S6_PS5_21rocsparse_index_base_b.numbered_sgpr, 16
	.set _ZN9rocsparseL19gebsrmvn_2xn_kernelILj128ELj13ELj8E21rocsparse_complex_numIdEEEvi20rocsparse_direction_NS_24const_host_device_scalarIT2_EEPKiS8_PKS5_SA_S6_PS5_21rocsparse_index_base_b.num_named_barrier, 0
	.set _ZN9rocsparseL19gebsrmvn_2xn_kernelILj128ELj13ELj8E21rocsparse_complex_numIdEEEvi20rocsparse_direction_NS_24const_host_device_scalarIT2_EEPKiS8_PKS5_SA_S6_PS5_21rocsparse_index_base_b.private_seg_size, 0
	.set _ZN9rocsparseL19gebsrmvn_2xn_kernelILj128ELj13ELj8E21rocsparse_complex_numIdEEEvi20rocsparse_direction_NS_24const_host_device_scalarIT2_EEPKiS8_PKS5_SA_S6_PS5_21rocsparse_index_base_b.uses_vcc, 1
	.set _ZN9rocsparseL19gebsrmvn_2xn_kernelILj128ELj13ELj8E21rocsparse_complex_numIdEEEvi20rocsparse_direction_NS_24const_host_device_scalarIT2_EEPKiS8_PKS5_SA_S6_PS5_21rocsparse_index_base_b.uses_flat_scratch, 0
	.set _ZN9rocsparseL19gebsrmvn_2xn_kernelILj128ELj13ELj8E21rocsparse_complex_numIdEEEvi20rocsparse_direction_NS_24const_host_device_scalarIT2_EEPKiS8_PKS5_SA_S6_PS5_21rocsparse_index_base_b.has_dyn_sized_stack, 0
	.set _ZN9rocsparseL19gebsrmvn_2xn_kernelILj128ELj13ELj8E21rocsparse_complex_numIdEEEvi20rocsparse_direction_NS_24const_host_device_scalarIT2_EEPKiS8_PKS5_SA_S6_PS5_21rocsparse_index_base_b.has_recursion, 0
	.set _ZN9rocsparseL19gebsrmvn_2xn_kernelILj128ELj13ELj8E21rocsparse_complex_numIdEEEvi20rocsparse_direction_NS_24const_host_device_scalarIT2_EEPKiS8_PKS5_SA_S6_PS5_21rocsparse_index_base_b.has_indirect_call, 0
	.section	.AMDGPU.csdata,"",@progbits
; Kernel info:
; codeLenInByte = 2960
; TotalNumSgprs: 18
; NumVgprs: 70
; ScratchSize: 0
; MemoryBound: 0
; FloatMode: 240
; IeeeMode: 1
; LDSByteSize: 0 bytes/workgroup (compile time only)
; SGPRBlocks: 0
; VGPRBlocks: 8
; NumSGPRsForWavesPerEU: 18
; NumVGPRsForWavesPerEU: 70
; Occupancy: 12
; WaveLimiterHint : 1
; COMPUTE_PGM_RSRC2:SCRATCH_EN: 0
; COMPUTE_PGM_RSRC2:USER_SGPR: 6
; COMPUTE_PGM_RSRC2:TRAP_HANDLER: 0
; COMPUTE_PGM_RSRC2:TGID_X_EN: 1
; COMPUTE_PGM_RSRC2:TGID_Y_EN: 0
; COMPUTE_PGM_RSRC2:TGID_Z_EN: 0
; COMPUTE_PGM_RSRC2:TIDIG_COMP_CNT: 0
	.section	.text._ZN9rocsparseL19gebsrmvn_2xn_kernelILj128ELj13ELj16E21rocsparse_complex_numIdEEEvi20rocsparse_direction_NS_24const_host_device_scalarIT2_EEPKiS8_PKS5_SA_S6_PS5_21rocsparse_index_base_b,"axG",@progbits,_ZN9rocsparseL19gebsrmvn_2xn_kernelILj128ELj13ELj16E21rocsparse_complex_numIdEEEvi20rocsparse_direction_NS_24const_host_device_scalarIT2_EEPKiS8_PKS5_SA_S6_PS5_21rocsparse_index_base_b,comdat
	.globl	_ZN9rocsparseL19gebsrmvn_2xn_kernelILj128ELj13ELj16E21rocsparse_complex_numIdEEEvi20rocsparse_direction_NS_24const_host_device_scalarIT2_EEPKiS8_PKS5_SA_S6_PS5_21rocsparse_index_base_b ; -- Begin function _ZN9rocsparseL19gebsrmvn_2xn_kernelILj128ELj13ELj16E21rocsparse_complex_numIdEEEvi20rocsparse_direction_NS_24const_host_device_scalarIT2_EEPKiS8_PKS5_SA_S6_PS5_21rocsparse_index_base_b
	.p2align	8
	.type	_ZN9rocsparseL19gebsrmvn_2xn_kernelILj128ELj13ELj16E21rocsparse_complex_numIdEEEvi20rocsparse_direction_NS_24const_host_device_scalarIT2_EEPKiS8_PKS5_SA_S6_PS5_21rocsparse_index_base_b,@function
_ZN9rocsparseL19gebsrmvn_2xn_kernelILj128ELj13ELj16E21rocsparse_complex_numIdEEEvi20rocsparse_direction_NS_24const_host_device_scalarIT2_EEPKiS8_PKS5_SA_S6_PS5_21rocsparse_index_base_b: ; @_ZN9rocsparseL19gebsrmvn_2xn_kernelILj128ELj13ELj16E21rocsparse_complex_numIdEEEvi20rocsparse_direction_NS_24const_host_device_scalarIT2_EEPKiS8_PKS5_SA_S6_PS5_21rocsparse_index_base_b
; %bb.0:
	s_clause 0x1
	s_load_dwordx2 s[2:3], s[4:5], 0x50
	s_load_dwordx2 s[0:1], s[4:5], 0x8
	s_add_u32 s7, s4, 8
	s_addc_u32 s10, s5, 0
	s_add_u32 s11, s4, 56
	s_addc_u32 s12, s5, 0
	s_load_dwordx2 s[8:9], s[4:5], 0x38
	s_waitcnt lgkmcnt(0)
	s_bitcmp1_b32 s3, 0
	s_cselect_b32 s0, s7, s0
	s_cselect_b32 s1, s10, s1
	v_mov_b32_e32 v1, s0
	v_mov_b32_e32 v2, s1
	s_cselect_b32 s0, s11, s8
	s_cselect_b32 s1, s12, s9
	v_mov_b32_e32 v5, s0
	v_mov_b32_e32 v6, s1
	flat_load_dwordx4 v[1:4], v[1:2]
	flat_load_dwordx4 v[5:8], v[5:6]
	s_waitcnt vmcnt(1) lgkmcnt(1)
	v_cmp_eq_f64_e32 vcc_lo, 0, v[1:2]
	v_cmp_eq_f64_e64 s0, 0, v[3:4]
	s_and_b32 s3, vcc_lo, s0
	s_mov_b32 s0, -1
	s_and_saveexec_b32 s1, s3
	s_cbranch_execz .LBB285_2
; %bb.1:
	s_waitcnt vmcnt(0) lgkmcnt(0)
	v_cmp_neq_f64_e32 vcc_lo, 1.0, v[5:6]
	v_cmp_neq_f64_e64 s0, 0, v[7:8]
	s_or_b32 s0, vcc_lo, s0
	s_orn2_b32 s0, s0, exec_lo
.LBB285_2:
	s_or_b32 exec_lo, exec_lo, s1
	s_and_saveexec_b32 s1, s0
	s_cbranch_execz .LBB285_29
; %bb.3:
	s_load_dwordx2 s[0:1], s[4:5], 0x0
	v_lshrrev_b32_e32 v9, 4, v0
	v_lshl_or_b32 v9, s6, 3, v9
	s_waitcnt lgkmcnt(0)
	v_cmp_gt_i32_e32 vcc_lo, s0, v9
	s_and_b32 exec_lo, exec_lo, vcc_lo
	s_cbranch_execz .LBB285_29
; %bb.4:
	s_load_dwordx8 s[8:15], s[4:5], 0x18
	v_ashrrev_i32_e32 v10, 31, v9
	v_and_b32_e32 v0, 15, v0
	s_cmp_lg_u32 s1, 0
	v_lshlrev_b64 v[10:11], 2, v[9:10]
	s_waitcnt lgkmcnt(0)
	v_add_co_u32 v10, vcc_lo, s8, v10
	v_add_co_ci_u32_e64 v11, null, s9, v11, vcc_lo
	global_load_dwordx2 v[11:12], v[10:11], off
	s_waitcnt vmcnt(0)
	v_subrev_nc_u32_e32 v10, s2, v11
	v_subrev_nc_u32_e32 v33, s2, v12
	v_add_nc_u32_e32 v10, v10, v0
	v_cmp_lt_i32_e64 s0, v10, v33
	s_cbranch_scc0 .LBB285_12
; %bb.5:
	v_mov_b32_e32 v12, 0
	v_mov_b32_e32 v14, 0
	;; [unrolled: 1-line block ×8, first 2 shown]
	s_and_saveexec_b32 s1, s0
	s_cbranch_execz .LBB285_14
; %bb.6:
	v_mul_lo_u32 v14, v11, 26
	v_mul_lo_u32 v34, v10, 26
	s_mul_i32 s3, s2, 26
	v_mov_b32_e32 v12, 0
	v_mov_b32_e32 v16, 0
	;; [unrolled: 1-line block ×5, first 2 shown]
	v_mad_u32_u24 v20, v0, 26, v14
	v_mov_b32_e32 v14, 0
	v_mov_b32_e32 v15, 0
	;; [unrolled: 1-line block ×4, first 2 shown]
	v_subrev_nc_u32_e32 v35, s3, v20
	v_mov_b32_e32 v22, v10
	s_mov_b32 s3, 0
	s_branch .LBB285_8
.LBB285_7:                              ;   in Loop: Header=BB285_8 Depth=1
	v_add_nc_u32_e32 v22, 16, v22
	v_add_nc_u32_e32 v34, 0x1a0, v34
	;; [unrolled: 1-line block ×3, first 2 shown]
	v_cmp_ge_i32_e32 vcc_lo, v22, v33
	s_or_b32 s3, vcc_lo, s3
	s_andn2_b32 exec_lo, exec_lo, s3
	s_cbranch_execz .LBB285_13
.LBB285_8:                              ; =>This Loop Header: Depth=1
                                        ;     Child Loop BB285_10 Depth 2
	v_ashrrev_i32_e32 v23, 31, v22
	v_mov_b32_e32 v30, v13
	v_mov_b32_e32 v32, v15
	;; [unrolled: 1-line block ×4, first 2 shown]
	v_lshlrev_b64 v[23:24], 2, v[22:23]
	v_mov_b32_e32 v29, v12
	v_mov_b32_e32 v31, v14
	;; [unrolled: 1-line block ×4, first 2 shown]
	s_mov_b32 s6, 0
	v_add_co_u32 v23, vcc_lo, s10, v23
	v_add_co_ci_u32_e64 v24, null, s11, v24, vcc_lo
	global_load_dword v20, v[23:24], off
	s_waitcnt vmcnt(0)
	v_subrev_nc_u32_e32 v20, s2, v20
	v_mul_lo_u32 v23, v20, 13
	s_branch .LBB285_10
.LBB285_9:                              ;   in Loop: Header=BB285_8 Depth=1
                                        ; implicit-def: $vgpr25_vgpr26
                                        ; implicit-def: $vgpr27_vgpr28
                                        ; implicit-def: $vgpr31_vgpr32
                                        ; implicit-def: $vgpr29_vgpr30
                                        ; implicit-def: $sgpr6
                                        ; implicit-def: $vgpr23
	s_branch .LBB285_7
.LBB285_10:                             ;   Parent Loop BB285_8 Depth=1
                                        ; =>  This Inner Loop Header: Depth=2
	v_mov_b32_e32 v24, v21
	v_add_nc_u32_e32 v20, s6, v35
	s_cmp_eq_u32 s6, 24
	v_lshlrev_b64 v[12:13], 4, v[23:24]
	v_lshlrev_b64 v[14:15], 4, v[20:21]
	v_add_co_u32 v12, vcc_lo, s14, v12
	v_add_co_ci_u32_e64 v13, null, s15, v13, vcc_lo
	v_add_co_u32 v36, vcc_lo, s12, v14
	v_add_co_ci_u32_e64 v37, null, s13, v15, vcc_lo
	global_load_dwordx4 v[16:19], v[12:13], off
	s_clause 0x1
	global_load_dwordx4 v[12:15], v[36:37], off
	global_load_dwordx4 v[36:39], v[36:37], off offset:16
	s_waitcnt vmcnt(1)
	v_fma_f64 v[31:32], v[12:13], v[16:17], v[31:32]
	v_fma_f64 v[29:30], v[14:15], v[16:17], v[29:30]
	s_waitcnt vmcnt(0)
	v_fma_f64 v[27:28], v[36:37], v[16:17], v[27:28]
	v_fma_f64 v[24:25], v[38:39], v[16:17], v[25:26]
	v_fma_f64 v[14:15], -v[14:15], v[18:19], v[31:32]
	v_fma_f64 v[12:13], v[12:13], v[18:19], v[29:30]
	v_fma_f64 v[16:17], -v[38:39], v[18:19], v[27:28]
	v_fma_f64 v[18:19], v[36:37], v[18:19], v[24:25]
	s_cbranch_scc1 .LBB285_9
; %bb.11:                               ;   in Loop: Header=BB285_10 Depth=2
	v_add_nc_u32_e32 v32, s6, v34
	s_add_i32 s6, s6, 8
	v_add_nc_u32_e32 v20, 2, v32
	v_lshlrev_b64 v[24:25], 4, v[20:21]
	v_add_nc_u32_e32 v20, 1, v23
	v_lshlrev_b64 v[26:27], 4, v[20:21]
	;; [unrolled: 2-line block ×3, first 2 shown]
	v_add_co_u32 v26, vcc_lo, s14, v26
	v_add_co_ci_u32_e64 v27, null, s15, v27, vcc_lo
	v_add_co_u32 v36, vcc_lo, s12, v24
	v_add_co_ci_u32_e64 v37, null, s13, v25, vcc_lo
	global_load_dwordx4 v[24:27], v[26:27], off
	s_clause 0x1
	global_load_dwordx4 v[28:31], v[36:37], off
	global_load_dwordx4 v[36:39], v[36:37], off offset:16
	v_add_nc_u32_e32 v20, 2, v23
	v_lshlrev_b64 v[42:43], 4, v[20:21]
	v_add_nc_u32_e32 v20, 6, v32
	v_add_co_u32 v42, vcc_lo, s14, v42
	v_add_co_ci_u32_e64 v43, null, s15, v43, vcc_lo
	v_add_co_u32 v48, vcc_lo, s12, v40
	v_add_co_ci_u32_e64 v49, null, s13, v41, vcc_lo
	global_load_dwordx4 v[40:43], v[42:43], off
	s_clause 0x1
	global_load_dwordx4 v[44:47], v[48:49], off
	global_load_dwordx4 v[48:51], v[48:49], off offset:16
	v_lshlrev_b64 v[52:53], 4, v[20:21]
	v_add_nc_u32_e32 v20, 3, v23
	v_add_nc_u32_e32 v23, 4, v23
	v_lshlrev_b64 v[54:55], 4, v[20:21]
	v_add_co_u32 v54, vcc_lo, s14, v54
	v_add_co_ci_u32_e64 v55, null, s15, v55, vcc_lo
	v_add_co_u32 v60, vcc_lo, s12, v52
	v_add_co_ci_u32_e64 v61, null, s13, v53, vcc_lo
	global_load_dwordx4 v[52:55], v[54:55], off
	s_clause 0x1
	global_load_dwordx4 v[56:59], v[60:61], off
	global_load_dwordx4 v[60:63], v[60:61], off offset:16
	s_waitcnt vmcnt(7)
	v_fma_f64 v[64:65], v[28:29], v[24:25], v[14:15]
	v_fma_f64 v[66:67], v[30:31], v[24:25], v[12:13]
	s_waitcnt vmcnt(6)
	v_fma_f64 v[68:69], v[36:37], v[24:25], v[16:17]
	v_fma_f64 v[24:25], v[38:39], v[24:25], v[18:19]
	v_fma_f64 v[30:31], -v[30:31], v[26:27], v[64:65]
	v_fma_f64 v[28:29], v[28:29], v[26:27], v[66:67]
	v_fma_f64 v[38:39], -v[38:39], v[26:27], v[68:69]
	v_fma_f64 v[24:25], v[36:37], v[26:27], v[24:25]
	s_waitcnt vmcnt(4)
	v_fma_f64 v[26:27], v[44:45], v[40:41], v[30:31]
	v_fma_f64 v[28:29], v[46:47], v[40:41], v[28:29]
	s_waitcnt vmcnt(3)
	v_fma_f64 v[30:31], v[48:49], v[40:41], v[38:39]
	v_fma_f64 v[24:25], v[50:51], v[40:41], v[24:25]
	v_fma_f64 v[26:27], -v[46:47], v[42:43], v[26:27]
	v_fma_f64 v[28:29], v[44:45], v[42:43], v[28:29]
	v_fma_f64 v[30:31], -v[50:51], v[42:43], v[30:31]
	v_fma_f64 v[24:25], v[48:49], v[42:43], v[24:25]
	;; [unrolled: 10-line block ×3, first 2 shown]
	s_cbranch_execnz .LBB285_10
	s_branch .LBB285_7
.LBB285_12:
                                        ; implicit-def: $vgpr12_vgpr13
                                        ; implicit-def: $vgpr14_vgpr15
                                        ; implicit-def: $vgpr16_vgpr17
                                        ; implicit-def: $vgpr18_vgpr19
	s_branch .LBB285_15
.LBB285_13:
	s_or_b32 exec_lo, exec_lo, s3
.LBB285_14:
	s_or_b32 exec_lo, exec_lo, s1
	s_cbranch_execnz .LBB285_24
.LBB285_15:
	v_mov_b32_e32 v12, 0
	v_mov_b32_e32 v14, 0
	;; [unrolled: 1-line block ×8, first 2 shown]
	s_and_saveexec_b32 s1, s0
	s_cbranch_execz .LBB285_23
; %bb.16:
	v_mul_lo_u32 v11, v11, 26
	v_mul_lo_u32 v30, v10, 26
	s_mul_i32 s0, s2, 26
	v_mov_b32_e32 v12, 0
	v_mov_b32_e32 v14, 0
	;; [unrolled: 1-line block ×5, first 2 shown]
	v_mad_u32_u24 v11, v0, 26, v11
	v_mov_b32_e32 v15, 0
	v_mov_b32_e32 v17, 0
	;; [unrolled: 1-line block ×4, first 2 shown]
	v_subrev_nc_u32_e32 v31, s0, v11
	s_mov_b32 s0, 0
	s_branch .LBB285_18
.LBB285_17:                             ;   in Loop: Header=BB285_18 Depth=1
	v_add_nc_u32_e32 v10, 16, v10
	v_add_nc_u32_e32 v30, 0x1a0, v30
	;; [unrolled: 1-line block ×3, first 2 shown]
	v_cmp_ge_i32_e32 vcc_lo, v10, v33
	s_or_b32 s0, vcc_lo, s0
	s_andn2_b32 exec_lo, exec_lo, s0
	s_cbranch_execz .LBB285_22
.LBB285_18:                             ; =>This Loop Header: Depth=1
                                        ;     Child Loop BB285_20 Depth 2
	v_ashrrev_i32_e32 v11, 31, v10
	v_mov_b32_e32 v27, v13
	v_mov_b32_e32 v29, v15
	;; [unrolled: 1-line block ×4, first 2 shown]
	v_lshlrev_b64 v[22:23], 2, v[10:11]
	v_mov_b32_e32 v28, v14
	v_mov_b32_e32 v24, v16
	s_mov_b32 s3, 0
	v_add_co_u32 v22, vcc_lo, s10, v22
	v_add_co_ci_u32_e64 v23, null, s11, v23, vcc_lo
	global_load_dword v11, v[22:23], off
	v_mov_b32_e32 v23, v19
	v_mov_b32_e32 v22, v18
	s_waitcnt vmcnt(0)
	v_subrev_nc_u32_e32 v11, s2, v11
	v_mul_lo_u32 v11, v11, 13
	s_branch .LBB285_20
.LBB285_19:                             ;   in Loop: Header=BB285_20 Depth=2
	s_andn2_b32 vcc_lo, exec_lo, s6
	s_cbranch_vccz .LBB285_17
.LBB285_20:                             ;   Parent Loop BB285_18 Depth=1
                                        ; =>  This Inner Loop Header: Depth=2
	v_add_nc_u32_e32 v20, s3, v31
	v_add_nc_u32_e32 v32, s3, v30
	v_mov_b32_e32 v13, v21
	s_cmp_eq_u32 s3, 12
	s_mov_b32 s6, -1
	v_lshlrev_b64 v[14:15], 4, v[20:21]
	v_add_nc_u32_e32 v20, s3, v11
	v_add_nc_u32_e32 v12, 13, v32
	v_lshlrev_b64 v[16:17], 4, v[20:21]
	v_lshlrev_b64 v[12:13], 4, v[12:13]
	v_add_co_u32 v14, vcc_lo, s12, v14
	v_add_co_ci_u32_e64 v15, null, s13, v15, vcc_lo
	v_add_co_u32 v16, vcc_lo, s14, v16
	v_add_co_ci_u32_e64 v17, null, s15, v17, vcc_lo
	;; [unrolled: 2-line block ×3, first 2 shown]
	global_load_dwordx4 v[12:15], v[14:15], off
	global_load_dwordx4 v[16:19], v[16:17], off
	;; [unrolled: 1-line block ×3, first 2 shown]
	s_waitcnt vmcnt(1)
	v_fma_f64 v[28:29], v[12:13], v[16:17], v[28:29]
	v_fma_f64 v[26:27], v[14:15], v[16:17], v[26:27]
	s_waitcnt vmcnt(0)
	v_fma_f64 v[24:25], v[34:35], v[16:17], v[24:25]
	v_fma_f64 v[22:23], v[36:37], v[16:17], v[22:23]
	v_fma_f64 v[14:15], -v[14:15], v[18:19], v[28:29]
	v_fma_f64 v[12:13], v[12:13], v[18:19], v[26:27]
	v_fma_f64 v[16:17], -v[36:37], v[18:19], v[24:25]
	v_fma_f64 v[18:19], v[34:35], v[18:19], v[22:23]
                                        ; implicit-def: $vgpr22_vgpr23
                                        ; implicit-def: $vgpr24_vgpr25
                                        ; implicit-def: $vgpr28_vgpr29
                                        ; implicit-def: $vgpr26_vgpr27
	s_cbranch_scc1 .LBB285_19
; %bb.21:                               ;   in Loop: Header=BB285_20 Depth=2
	v_add_nc_u32_e32 v22, 1, v32
	v_mov_b32_e32 v23, v21
	v_add_nc_u32_e32 v24, 1, v20
	v_mov_b32_e32 v25, v21
	;; [unrolled: 2-line block ×3, first 2 shown]
	v_lshlrev_b64 v[22:23], 4, v[22:23]
	v_add_nc_u32_e32 v38, 2, v32
	v_lshlrev_b64 v[24:25], 4, v[24:25]
	v_mov_b32_e32 v39, v21
	v_lshlrev_b64 v[26:27], 4, v[26:27]
	v_add_nc_u32_e32 v40, 2, v20
	v_add_co_u32 v22, vcc_lo, s12, v22
	v_add_co_ci_u32_e64 v23, null, s13, v23, vcc_lo
	v_add_co_u32 v28, vcc_lo, s14, v24
	v_add_co_ci_u32_e64 v29, null, s15, v25, vcc_lo
	;; [unrolled: 2-line block ×3, first 2 shown]
	global_load_dwordx4 v[22:25], v[22:23], off
	global_load_dwordx4 v[26:29], v[28:29], off
	;; [unrolled: 1-line block ×3, first 2 shown]
	v_mov_b32_e32 v41, v21
	v_lshlrev_b64 v[38:39], 4, v[38:39]
	v_add_nc_u32_e32 v20, 3, v20
	s_add_i32 s3, s3, 4
	s_mov_b32 s6, 0
	v_lshlrev_b64 v[40:41], 4, v[40:41]
	v_add_co_u32 v50, vcc_lo, s12, v38
	v_add_co_ci_u32_e64 v51, null, s13, v39, vcc_lo
	v_add_co_u32 v42, vcc_lo, s14, v40
	v_add_co_ci_u32_e64 v43, null, s15, v41, vcc_lo
	global_load_dwordx4 v[38:41], v[50:51], off
	global_load_dwordx4 v[42:45], v[42:43], off
	global_load_dwordx4 v[46:49], v[46:47], off offset:16
	v_lshlrev_b64 v[52:53], 4, v[20:21]
	v_add_nc_u32_e32 v20, 16, v32
	v_lshlrev_b64 v[54:55], 4, v[20:21]
	v_add_co_u32 v56, vcc_lo, s14, v52
	v_add_co_ci_u32_e64 v57, null, s15, v53, vcc_lo
	v_add_co_u32 v58, vcc_lo, s12, v54
	v_add_co_ci_u32_e64 v59, null, s13, v55, vcc_lo
	global_load_dwordx4 v[50:53], v[50:51], off offset:16
	global_load_dwordx4 v[54:57], v[56:57], off
	global_load_dwordx4 v[58:61], v[58:59], off
	s_waitcnt vmcnt(7)
	v_fma_f64 v[62:63], v[22:23], v[26:27], v[14:15]
	v_fma_f64 v[64:65], v[24:25], v[26:27], v[12:13]
	s_waitcnt vmcnt(6)
	v_fma_f64 v[66:67], v[34:35], v[26:27], v[16:17]
	v_fma_f64 v[26:27], v[36:37], v[26:27], v[18:19]
	v_fma_f64 v[24:25], -v[24:25], v[28:29], v[62:63]
	v_fma_f64 v[22:23], v[22:23], v[28:29], v[64:65]
	v_fma_f64 v[36:37], -v[36:37], v[28:29], v[66:67]
	v_fma_f64 v[26:27], v[34:35], v[28:29], v[26:27]
	s_waitcnt vmcnt(4)
	v_fma_f64 v[24:25], v[38:39], v[42:43], v[24:25]
	v_fma_f64 v[22:23], v[40:41], v[42:43], v[22:23]
	s_waitcnt vmcnt(3)
	v_fma_f64 v[28:29], v[46:47], v[42:43], v[36:37]
	v_fma_f64 v[26:27], v[48:49], v[42:43], v[26:27]
	v_fma_f64 v[24:25], -v[40:41], v[44:45], v[24:25]
	v_fma_f64 v[22:23], v[38:39], v[44:45], v[22:23]
	v_fma_f64 v[28:29], -v[48:49], v[44:45], v[28:29]
	v_fma_f64 v[26:27], v[46:47], v[44:45], v[26:27]
	;; [unrolled: 10-line block ×3, first 2 shown]
	s_branch .LBB285_19
.LBB285_22:
	s_or_b32 exec_lo, exec_lo, s0
.LBB285_23:
	s_or_b32 exec_lo, exec_lo, s1
.LBB285_24:
	v_mbcnt_lo_u32_b32 v26, -1, 0
	v_xor_b32_e32 v10, 8, v26
	v_cmp_gt_i32_e32 vcc_lo, 32, v10
	v_cndmask_b32_e32 v10, v26, v10, vcc_lo
	v_lshlrev_b32_e32 v25, 2, v10
	ds_bpermute_b32 v10, v25, v14
	ds_bpermute_b32 v11, v25, v15
	;; [unrolled: 1-line block ×8, first 2 shown]
	s_waitcnt lgkmcnt(6)
	v_add_f64 v[10:11], v[14:15], v[10:11]
	s_waitcnt lgkmcnt(4)
	v_add_f64 v[12:13], v[12:13], v[20:21]
	v_xor_b32_e32 v20, 4, v26
	s_waitcnt lgkmcnt(2)
	v_add_f64 v[14:15], v[16:17], v[22:23]
	s_waitcnt lgkmcnt(0)
	v_add_f64 v[16:17], v[18:19], v[24:25]
	v_cmp_gt_i32_e32 vcc_lo, 32, v20
	v_cndmask_b32_e32 v18, v26, v20, vcc_lo
	v_lshlrev_b32_e32 v25, 2, v18
	ds_bpermute_b32 v18, v25, v10
	ds_bpermute_b32 v19, v25, v11
	;; [unrolled: 1-line block ×8, first 2 shown]
	s_waitcnt lgkmcnt(6)
	v_add_f64 v[10:11], v[10:11], v[18:19]
	s_waitcnt lgkmcnt(4)
	v_add_f64 v[12:13], v[12:13], v[20:21]
	;; [unrolled: 2-line block ×4, first 2 shown]
	v_xor_b32_e32 v16, 2, v26
	v_cmp_gt_i32_e32 vcc_lo, 32, v16
	v_cndmask_b32_e32 v16, v26, v16, vcc_lo
	v_lshlrev_b32_e32 v25, 2, v16
	ds_bpermute_b32 v16, v25, v10
	ds_bpermute_b32 v17, v25, v11
	;; [unrolled: 1-line block ×8, first 2 shown]
	s_waitcnt lgkmcnt(6)
	v_add_f64 v[10:11], v[10:11], v[16:17]
	s_waitcnt lgkmcnt(4)
	v_add_f64 v[16:17], v[12:13], v[20:21]
	;; [unrolled: 2-line block ×4, first 2 shown]
	v_xor_b32_e32 v18, 1, v26
	v_cmp_gt_i32_e32 vcc_lo, 32, v18
	v_cndmask_b32_e32 v18, v26, v18, vcc_lo
	v_cmp_eq_u32_e32 vcc_lo, 15, v0
	v_lshlrev_b32_e32 v21, 2, v18
	ds_bpermute_b32 v24, v21, v10
	ds_bpermute_b32 v25, v21, v11
	;; [unrolled: 1-line block ×8, first 2 shown]
	s_and_b32 exec_lo, exec_lo, vcc_lo
	s_cbranch_execz .LBB285_29
; %bb.25:
	v_cmp_eq_f64_e32 vcc_lo, 0, v[5:6]
	v_cmp_eq_f64_e64 s0, 0, v[7:8]
	s_waitcnt lgkmcnt(6)
	v_add_f64 v[10:11], v[10:11], v[24:25]
	s_waitcnt lgkmcnt(4)
	v_add_f64 v[16:17], v[16:17], v[22:23]
	;; [unrolled: 2-line block ×4, first 2 shown]
	s_load_dwordx2 s[2:3], s[4:5], 0x48
	s_and_b32 s0, vcc_lo, s0
	s_and_saveexec_b32 s1, s0
	s_xor_b32 s0, exec_lo, s1
	s_cbranch_execz .LBB285_27
; %bb.26:
	v_mul_f64 v[5:6], v[16:17], -v[3:4]
	v_mul_f64 v[7:8], v[1:2], v[16:17]
	v_mul_f64 v[16:17], v[14:15], -v[3:4]
	v_mul_f64 v[14:15], v[1:2], v[14:15]
	v_lshlrev_b32_e32 v9, 1, v9
	v_fma_f64 v[5:6], v[1:2], v[10:11], v[5:6]
	v_fma_f64 v[7:8], v[3:4], v[10:11], v[7:8]
	;; [unrolled: 1-line block ×4, first 2 shown]
	v_ashrrev_i32_e32 v10, 31, v9
                                        ; implicit-def: $vgpr16_vgpr17
                                        ; implicit-def: $vgpr12_vgpr13
                                        ; implicit-def: $vgpr14_vgpr15
	v_lshlrev_b64 v[9:10], 4, v[9:10]
	s_waitcnt lgkmcnt(0)
	v_add_co_u32 v9, vcc_lo, s2, v9
	v_add_co_ci_u32_e64 v10, null, s3, v10, vcc_lo
	global_store_dwordx4 v[9:10], v[5:8], off
	global_store_dwordx4 v[9:10], v[0:3], off offset:16
                                        ; implicit-def: $vgpr9
                                        ; implicit-def: $vgpr10_vgpr11
                                        ; implicit-def: $vgpr7_vgpr8
                                        ; implicit-def: $vgpr3_vgpr4
.LBB285_27:
	s_andn2_saveexec_b32 s0, s0
	s_cbranch_execz .LBB285_29
; %bb.28:
	v_lshlrev_b32_e32 v18, 1, v9
	v_mul_f64 v[28:29], v[16:17], -v[3:4]
	v_mul_f64 v[16:17], v[1:2], v[16:17]
	v_mul_f64 v[30:31], v[14:15], -v[3:4]
	v_mul_f64 v[14:15], v[1:2], v[14:15]
	v_ashrrev_i32_e32 v19, 31, v18
	v_lshlrev_b64 v[18:19], 4, v[18:19]
	s_waitcnt lgkmcnt(0)
	v_add_co_u32 v26, vcc_lo, s2, v18
	v_add_co_ci_u32_e64 v27, null, s3, v19, vcc_lo
	s_clause 0x1
	global_load_dwordx4 v[18:21], v[26:27], off
	global_load_dwordx4 v[22:25], v[26:27], off offset:16
	v_fma_f64 v[28:29], v[1:2], v[10:11], v[28:29]
	v_fma_f64 v[9:10], v[3:4], v[10:11], v[16:17]
	;; [unrolled: 1-line block ×4, first 2 shown]
	s_waitcnt vmcnt(1)
	v_fma_f64 v[11:12], v[5:6], v[18:19], v[28:29]
	v_fma_f64 v[9:10], v[7:8], v[18:19], v[9:10]
	s_waitcnt vmcnt(0)
	v_fma_f64 v[13:14], v[5:6], v[22:23], v[0:1]
	v_fma_f64 v[15:16], v[7:8], v[22:23], v[2:3]
	v_fma_f64 v[0:1], -v[7:8], v[20:21], v[11:12]
	v_fma_f64 v[2:3], v[5:6], v[20:21], v[9:10]
	v_fma_f64 v[7:8], -v[7:8], v[24:25], v[13:14]
	v_fma_f64 v[9:10], v[5:6], v[24:25], v[15:16]
	global_store_dwordx4 v[26:27], v[0:3], off
	global_store_dwordx4 v[26:27], v[7:10], off offset:16
.LBB285_29:
	s_endpgm
	.section	.rodata,"a",@progbits
	.p2align	6, 0x0
	.amdhsa_kernel _ZN9rocsparseL19gebsrmvn_2xn_kernelILj128ELj13ELj16E21rocsparse_complex_numIdEEEvi20rocsparse_direction_NS_24const_host_device_scalarIT2_EEPKiS8_PKS5_SA_S6_PS5_21rocsparse_index_base_b
		.amdhsa_group_segment_fixed_size 0
		.amdhsa_private_segment_fixed_size 0
		.amdhsa_kernarg_size 88
		.amdhsa_user_sgpr_count 6
		.amdhsa_user_sgpr_private_segment_buffer 1
		.amdhsa_user_sgpr_dispatch_ptr 0
		.amdhsa_user_sgpr_queue_ptr 0
		.amdhsa_user_sgpr_kernarg_segment_ptr 1
		.amdhsa_user_sgpr_dispatch_id 0
		.amdhsa_user_sgpr_flat_scratch_init 0
		.amdhsa_user_sgpr_private_segment_size 0
		.amdhsa_wavefront_size32 1
		.amdhsa_uses_dynamic_stack 0
		.amdhsa_system_sgpr_private_segment_wavefront_offset 0
		.amdhsa_system_sgpr_workgroup_id_x 1
		.amdhsa_system_sgpr_workgroup_id_y 0
		.amdhsa_system_sgpr_workgroup_id_z 0
		.amdhsa_system_sgpr_workgroup_info 0
		.amdhsa_system_vgpr_workitem_id 0
		.amdhsa_next_free_vgpr 70
		.amdhsa_next_free_sgpr 16
		.amdhsa_reserve_vcc 1
		.amdhsa_reserve_flat_scratch 0
		.amdhsa_float_round_mode_32 0
		.amdhsa_float_round_mode_16_64 0
		.amdhsa_float_denorm_mode_32 3
		.amdhsa_float_denorm_mode_16_64 3
		.amdhsa_dx10_clamp 1
		.amdhsa_ieee_mode 1
		.amdhsa_fp16_overflow 0
		.amdhsa_workgroup_processor_mode 1
		.amdhsa_memory_ordered 1
		.amdhsa_forward_progress 1
		.amdhsa_shared_vgpr_count 0
		.amdhsa_exception_fp_ieee_invalid_op 0
		.amdhsa_exception_fp_denorm_src 0
		.amdhsa_exception_fp_ieee_div_zero 0
		.amdhsa_exception_fp_ieee_overflow 0
		.amdhsa_exception_fp_ieee_underflow 0
		.amdhsa_exception_fp_ieee_inexact 0
		.amdhsa_exception_int_div_zero 0
	.end_amdhsa_kernel
	.section	.text._ZN9rocsparseL19gebsrmvn_2xn_kernelILj128ELj13ELj16E21rocsparse_complex_numIdEEEvi20rocsparse_direction_NS_24const_host_device_scalarIT2_EEPKiS8_PKS5_SA_S6_PS5_21rocsparse_index_base_b,"axG",@progbits,_ZN9rocsparseL19gebsrmvn_2xn_kernelILj128ELj13ELj16E21rocsparse_complex_numIdEEEvi20rocsparse_direction_NS_24const_host_device_scalarIT2_EEPKiS8_PKS5_SA_S6_PS5_21rocsparse_index_base_b,comdat
.Lfunc_end285:
	.size	_ZN9rocsparseL19gebsrmvn_2xn_kernelILj128ELj13ELj16E21rocsparse_complex_numIdEEEvi20rocsparse_direction_NS_24const_host_device_scalarIT2_EEPKiS8_PKS5_SA_S6_PS5_21rocsparse_index_base_b, .Lfunc_end285-_ZN9rocsparseL19gebsrmvn_2xn_kernelILj128ELj13ELj16E21rocsparse_complex_numIdEEEvi20rocsparse_direction_NS_24const_host_device_scalarIT2_EEPKiS8_PKS5_SA_S6_PS5_21rocsparse_index_base_b
                                        ; -- End function
	.set _ZN9rocsparseL19gebsrmvn_2xn_kernelILj128ELj13ELj16E21rocsparse_complex_numIdEEEvi20rocsparse_direction_NS_24const_host_device_scalarIT2_EEPKiS8_PKS5_SA_S6_PS5_21rocsparse_index_base_b.num_vgpr, 70
	.set _ZN9rocsparseL19gebsrmvn_2xn_kernelILj128ELj13ELj16E21rocsparse_complex_numIdEEEvi20rocsparse_direction_NS_24const_host_device_scalarIT2_EEPKiS8_PKS5_SA_S6_PS5_21rocsparse_index_base_b.num_agpr, 0
	.set _ZN9rocsparseL19gebsrmvn_2xn_kernelILj128ELj13ELj16E21rocsparse_complex_numIdEEEvi20rocsparse_direction_NS_24const_host_device_scalarIT2_EEPKiS8_PKS5_SA_S6_PS5_21rocsparse_index_base_b.numbered_sgpr, 16
	.set _ZN9rocsparseL19gebsrmvn_2xn_kernelILj128ELj13ELj16E21rocsparse_complex_numIdEEEvi20rocsparse_direction_NS_24const_host_device_scalarIT2_EEPKiS8_PKS5_SA_S6_PS5_21rocsparse_index_base_b.num_named_barrier, 0
	.set _ZN9rocsparseL19gebsrmvn_2xn_kernelILj128ELj13ELj16E21rocsparse_complex_numIdEEEvi20rocsparse_direction_NS_24const_host_device_scalarIT2_EEPKiS8_PKS5_SA_S6_PS5_21rocsparse_index_base_b.private_seg_size, 0
	.set _ZN9rocsparseL19gebsrmvn_2xn_kernelILj128ELj13ELj16E21rocsparse_complex_numIdEEEvi20rocsparse_direction_NS_24const_host_device_scalarIT2_EEPKiS8_PKS5_SA_S6_PS5_21rocsparse_index_base_b.uses_vcc, 1
	.set _ZN9rocsparseL19gebsrmvn_2xn_kernelILj128ELj13ELj16E21rocsparse_complex_numIdEEEvi20rocsparse_direction_NS_24const_host_device_scalarIT2_EEPKiS8_PKS5_SA_S6_PS5_21rocsparse_index_base_b.uses_flat_scratch, 0
	.set _ZN9rocsparseL19gebsrmvn_2xn_kernelILj128ELj13ELj16E21rocsparse_complex_numIdEEEvi20rocsparse_direction_NS_24const_host_device_scalarIT2_EEPKiS8_PKS5_SA_S6_PS5_21rocsparse_index_base_b.has_dyn_sized_stack, 0
	.set _ZN9rocsparseL19gebsrmvn_2xn_kernelILj128ELj13ELj16E21rocsparse_complex_numIdEEEvi20rocsparse_direction_NS_24const_host_device_scalarIT2_EEPKiS8_PKS5_SA_S6_PS5_21rocsparse_index_base_b.has_recursion, 0
	.set _ZN9rocsparseL19gebsrmvn_2xn_kernelILj128ELj13ELj16E21rocsparse_complex_numIdEEEvi20rocsparse_direction_NS_24const_host_device_scalarIT2_EEPKiS8_PKS5_SA_S6_PS5_21rocsparse_index_base_b.has_indirect_call, 0
	.section	.AMDGPU.csdata,"",@progbits
; Kernel info:
; codeLenInByte = 3088
; TotalNumSgprs: 18
; NumVgprs: 70
; ScratchSize: 0
; MemoryBound: 0
; FloatMode: 240
; IeeeMode: 1
; LDSByteSize: 0 bytes/workgroup (compile time only)
; SGPRBlocks: 0
; VGPRBlocks: 8
; NumSGPRsForWavesPerEU: 18
; NumVGPRsForWavesPerEU: 70
; Occupancy: 12
; WaveLimiterHint : 1
; COMPUTE_PGM_RSRC2:SCRATCH_EN: 0
; COMPUTE_PGM_RSRC2:USER_SGPR: 6
; COMPUTE_PGM_RSRC2:TRAP_HANDLER: 0
; COMPUTE_PGM_RSRC2:TGID_X_EN: 1
; COMPUTE_PGM_RSRC2:TGID_Y_EN: 0
; COMPUTE_PGM_RSRC2:TGID_Z_EN: 0
; COMPUTE_PGM_RSRC2:TIDIG_COMP_CNT: 0
	.section	.text._ZN9rocsparseL19gebsrmvn_2xn_kernelILj128ELj13ELj32E21rocsparse_complex_numIdEEEvi20rocsparse_direction_NS_24const_host_device_scalarIT2_EEPKiS8_PKS5_SA_S6_PS5_21rocsparse_index_base_b,"axG",@progbits,_ZN9rocsparseL19gebsrmvn_2xn_kernelILj128ELj13ELj32E21rocsparse_complex_numIdEEEvi20rocsparse_direction_NS_24const_host_device_scalarIT2_EEPKiS8_PKS5_SA_S6_PS5_21rocsparse_index_base_b,comdat
	.globl	_ZN9rocsparseL19gebsrmvn_2xn_kernelILj128ELj13ELj32E21rocsparse_complex_numIdEEEvi20rocsparse_direction_NS_24const_host_device_scalarIT2_EEPKiS8_PKS5_SA_S6_PS5_21rocsparse_index_base_b ; -- Begin function _ZN9rocsparseL19gebsrmvn_2xn_kernelILj128ELj13ELj32E21rocsparse_complex_numIdEEEvi20rocsparse_direction_NS_24const_host_device_scalarIT2_EEPKiS8_PKS5_SA_S6_PS5_21rocsparse_index_base_b
	.p2align	8
	.type	_ZN9rocsparseL19gebsrmvn_2xn_kernelILj128ELj13ELj32E21rocsparse_complex_numIdEEEvi20rocsparse_direction_NS_24const_host_device_scalarIT2_EEPKiS8_PKS5_SA_S6_PS5_21rocsparse_index_base_b,@function
_ZN9rocsparseL19gebsrmvn_2xn_kernelILj128ELj13ELj32E21rocsparse_complex_numIdEEEvi20rocsparse_direction_NS_24const_host_device_scalarIT2_EEPKiS8_PKS5_SA_S6_PS5_21rocsparse_index_base_b: ; @_ZN9rocsparseL19gebsrmvn_2xn_kernelILj128ELj13ELj32E21rocsparse_complex_numIdEEEvi20rocsparse_direction_NS_24const_host_device_scalarIT2_EEPKiS8_PKS5_SA_S6_PS5_21rocsparse_index_base_b
; %bb.0:
	s_clause 0x1
	s_load_dwordx2 s[2:3], s[4:5], 0x50
	s_load_dwordx2 s[0:1], s[4:5], 0x8
	s_add_u32 s7, s4, 8
	s_addc_u32 s10, s5, 0
	s_add_u32 s11, s4, 56
	s_addc_u32 s12, s5, 0
	s_load_dwordx2 s[8:9], s[4:5], 0x38
	s_waitcnt lgkmcnt(0)
	s_bitcmp1_b32 s3, 0
	s_cselect_b32 s0, s7, s0
	s_cselect_b32 s1, s10, s1
	v_mov_b32_e32 v1, s0
	v_mov_b32_e32 v2, s1
	s_cselect_b32 s0, s11, s8
	s_cselect_b32 s1, s12, s9
	v_mov_b32_e32 v5, s0
	v_mov_b32_e32 v6, s1
	flat_load_dwordx4 v[1:4], v[1:2]
	flat_load_dwordx4 v[5:8], v[5:6]
	s_waitcnt vmcnt(1) lgkmcnt(1)
	v_cmp_eq_f64_e32 vcc_lo, 0, v[1:2]
	v_cmp_eq_f64_e64 s0, 0, v[3:4]
	s_and_b32 s3, vcc_lo, s0
	s_mov_b32 s0, -1
	s_and_saveexec_b32 s1, s3
	s_cbranch_execz .LBB286_2
; %bb.1:
	s_waitcnt vmcnt(0) lgkmcnt(0)
	v_cmp_neq_f64_e32 vcc_lo, 1.0, v[5:6]
	v_cmp_neq_f64_e64 s0, 0, v[7:8]
	s_or_b32 s0, vcc_lo, s0
	s_orn2_b32 s0, s0, exec_lo
.LBB286_2:
	s_or_b32 exec_lo, exec_lo, s1
	s_and_saveexec_b32 s1, s0
	s_cbranch_execz .LBB286_29
; %bb.3:
	s_load_dwordx2 s[0:1], s[4:5], 0x0
	v_lshrrev_b32_e32 v9, 5, v0
	v_lshl_or_b32 v9, s6, 2, v9
	s_waitcnt lgkmcnt(0)
	v_cmp_gt_i32_e32 vcc_lo, s0, v9
	s_and_b32 exec_lo, exec_lo, vcc_lo
	s_cbranch_execz .LBB286_29
; %bb.4:
	s_load_dwordx8 s[8:15], s[4:5], 0x18
	v_ashrrev_i32_e32 v10, 31, v9
	v_and_b32_e32 v0, 31, v0
	s_cmp_lg_u32 s1, 0
	v_lshlrev_b64 v[10:11], 2, v[9:10]
	s_waitcnt lgkmcnt(0)
	v_add_co_u32 v10, vcc_lo, s8, v10
	v_add_co_ci_u32_e64 v11, null, s9, v11, vcc_lo
	global_load_dwordx2 v[11:12], v[10:11], off
	s_waitcnt vmcnt(0)
	v_subrev_nc_u32_e32 v10, s2, v11
	v_subrev_nc_u32_e32 v33, s2, v12
	v_add_nc_u32_e32 v10, v10, v0
	v_cmp_lt_i32_e64 s0, v10, v33
	s_cbranch_scc0 .LBB286_12
; %bb.5:
	v_mov_b32_e32 v12, 0
	v_mov_b32_e32 v14, 0
	;; [unrolled: 1-line block ×8, first 2 shown]
	s_and_saveexec_b32 s1, s0
	s_cbranch_execz .LBB286_14
; %bb.6:
	v_mul_lo_u32 v14, v11, 26
	v_mul_lo_u32 v34, v10, 26
	s_mul_i32 s3, s2, 26
	v_mov_b32_e32 v12, 0
	v_mov_b32_e32 v16, 0
	;; [unrolled: 1-line block ×5, first 2 shown]
	v_mad_u32_u24 v20, v0, 26, v14
	v_mov_b32_e32 v14, 0
	v_mov_b32_e32 v15, 0
	;; [unrolled: 1-line block ×4, first 2 shown]
	v_subrev_nc_u32_e32 v35, s3, v20
	v_mov_b32_e32 v22, v10
	s_mov_b32 s3, 0
	s_branch .LBB286_8
.LBB286_7:                              ;   in Loop: Header=BB286_8 Depth=1
	v_add_nc_u32_e32 v22, 32, v22
	v_add_nc_u32_e32 v34, 0x340, v34
	;; [unrolled: 1-line block ×3, first 2 shown]
	v_cmp_ge_i32_e32 vcc_lo, v22, v33
	s_or_b32 s3, vcc_lo, s3
	s_andn2_b32 exec_lo, exec_lo, s3
	s_cbranch_execz .LBB286_13
.LBB286_8:                              ; =>This Loop Header: Depth=1
                                        ;     Child Loop BB286_10 Depth 2
	v_ashrrev_i32_e32 v23, 31, v22
	v_mov_b32_e32 v30, v13
	v_mov_b32_e32 v32, v15
	;; [unrolled: 1-line block ×4, first 2 shown]
	v_lshlrev_b64 v[23:24], 2, v[22:23]
	v_mov_b32_e32 v29, v12
	v_mov_b32_e32 v31, v14
	;; [unrolled: 1-line block ×4, first 2 shown]
	s_mov_b32 s6, 0
	v_add_co_u32 v23, vcc_lo, s10, v23
	v_add_co_ci_u32_e64 v24, null, s11, v24, vcc_lo
	global_load_dword v20, v[23:24], off
	s_waitcnt vmcnt(0)
	v_subrev_nc_u32_e32 v20, s2, v20
	v_mul_lo_u32 v23, v20, 13
	s_branch .LBB286_10
.LBB286_9:                              ;   in Loop: Header=BB286_8 Depth=1
                                        ; implicit-def: $vgpr25_vgpr26
                                        ; implicit-def: $vgpr27_vgpr28
                                        ; implicit-def: $vgpr31_vgpr32
                                        ; implicit-def: $vgpr29_vgpr30
                                        ; implicit-def: $sgpr6
                                        ; implicit-def: $vgpr23
	s_branch .LBB286_7
.LBB286_10:                             ;   Parent Loop BB286_8 Depth=1
                                        ; =>  This Inner Loop Header: Depth=2
	v_mov_b32_e32 v24, v21
	v_add_nc_u32_e32 v20, s6, v35
	s_cmp_eq_u32 s6, 24
	v_lshlrev_b64 v[12:13], 4, v[23:24]
	v_lshlrev_b64 v[14:15], 4, v[20:21]
	v_add_co_u32 v12, vcc_lo, s14, v12
	v_add_co_ci_u32_e64 v13, null, s15, v13, vcc_lo
	v_add_co_u32 v36, vcc_lo, s12, v14
	v_add_co_ci_u32_e64 v37, null, s13, v15, vcc_lo
	global_load_dwordx4 v[16:19], v[12:13], off
	s_clause 0x1
	global_load_dwordx4 v[12:15], v[36:37], off
	global_load_dwordx4 v[36:39], v[36:37], off offset:16
	s_waitcnt vmcnt(1)
	v_fma_f64 v[31:32], v[12:13], v[16:17], v[31:32]
	v_fma_f64 v[29:30], v[14:15], v[16:17], v[29:30]
	s_waitcnt vmcnt(0)
	v_fma_f64 v[27:28], v[36:37], v[16:17], v[27:28]
	v_fma_f64 v[24:25], v[38:39], v[16:17], v[25:26]
	v_fma_f64 v[14:15], -v[14:15], v[18:19], v[31:32]
	v_fma_f64 v[12:13], v[12:13], v[18:19], v[29:30]
	v_fma_f64 v[16:17], -v[38:39], v[18:19], v[27:28]
	v_fma_f64 v[18:19], v[36:37], v[18:19], v[24:25]
	s_cbranch_scc1 .LBB286_9
; %bb.11:                               ;   in Loop: Header=BB286_10 Depth=2
	v_add_nc_u32_e32 v32, s6, v34
	s_add_i32 s6, s6, 8
	v_add_nc_u32_e32 v20, 2, v32
	v_lshlrev_b64 v[24:25], 4, v[20:21]
	v_add_nc_u32_e32 v20, 1, v23
	v_lshlrev_b64 v[26:27], 4, v[20:21]
	;; [unrolled: 2-line block ×3, first 2 shown]
	v_add_co_u32 v26, vcc_lo, s14, v26
	v_add_co_ci_u32_e64 v27, null, s15, v27, vcc_lo
	v_add_co_u32 v36, vcc_lo, s12, v24
	v_add_co_ci_u32_e64 v37, null, s13, v25, vcc_lo
	global_load_dwordx4 v[24:27], v[26:27], off
	s_clause 0x1
	global_load_dwordx4 v[28:31], v[36:37], off
	global_load_dwordx4 v[36:39], v[36:37], off offset:16
	v_add_nc_u32_e32 v20, 2, v23
	v_lshlrev_b64 v[42:43], 4, v[20:21]
	v_add_nc_u32_e32 v20, 6, v32
	v_add_co_u32 v42, vcc_lo, s14, v42
	v_add_co_ci_u32_e64 v43, null, s15, v43, vcc_lo
	v_add_co_u32 v48, vcc_lo, s12, v40
	v_add_co_ci_u32_e64 v49, null, s13, v41, vcc_lo
	global_load_dwordx4 v[40:43], v[42:43], off
	s_clause 0x1
	global_load_dwordx4 v[44:47], v[48:49], off
	global_load_dwordx4 v[48:51], v[48:49], off offset:16
	v_lshlrev_b64 v[52:53], 4, v[20:21]
	v_add_nc_u32_e32 v20, 3, v23
	v_add_nc_u32_e32 v23, 4, v23
	v_lshlrev_b64 v[54:55], 4, v[20:21]
	v_add_co_u32 v54, vcc_lo, s14, v54
	v_add_co_ci_u32_e64 v55, null, s15, v55, vcc_lo
	v_add_co_u32 v60, vcc_lo, s12, v52
	v_add_co_ci_u32_e64 v61, null, s13, v53, vcc_lo
	global_load_dwordx4 v[52:55], v[54:55], off
	s_clause 0x1
	global_load_dwordx4 v[56:59], v[60:61], off
	global_load_dwordx4 v[60:63], v[60:61], off offset:16
	s_waitcnt vmcnt(7)
	v_fma_f64 v[64:65], v[28:29], v[24:25], v[14:15]
	v_fma_f64 v[66:67], v[30:31], v[24:25], v[12:13]
	s_waitcnt vmcnt(6)
	v_fma_f64 v[68:69], v[36:37], v[24:25], v[16:17]
	v_fma_f64 v[24:25], v[38:39], v[24:25], v[18:19]
	v_fma_f64 v[30:31], -v[30:31], v[26:27], v[64:65]
	v_fma_f64 v[28:29], v[28:29], v[26:27], v[66:67]
	v_fma_f64 v[38:39], -v[38:39], v[26:27], v[68:69]
	v_fma_f64 v[24:25], v[36:37], v[26:27], v[24:25]
	s_waitcnt vmcnt(4)
	v_fma_f64 v[26:27], v[44:45], v[40:41], v[30:31]
	v_fma_f64 v[28:29], v[46:47], v[40:41], v[28:29]
	s_waitcnt vmcnt(3)
	v_fma_f64 v[30:31], v[48:49], v[40:41], v[38:39]
	v_fma_f64 v[24:25], v[50:51], v[40:41], v[24:25]
	v_fma_f64 v[26:27], -v[46:47], v[42:43], v[26:27]
	v_fma_f64 v[28:29], v[44:45], v[42:43], v[28:29]
	v_fma_f64 v[30:31], -v[50:51], v[42:43], v[30:31]
	v_fma_f64 v[24:25], v[48:49], v[42:43], v[24:25]
	;; [unrolled: 10-line block ×3, first 2 shown]
	s_cbranch_execnz .LBB286_10
	s_branch .LBB286_7
.LBB286_12:
                                        ; implicit-def: $vgpr12_vgpr13
                                        ; implicit-def: $vgpr14_vgpr15
                                        ; implicit-def: $vgpr16_vgpr17
                                        ; implicit-def: $vgpr18_vgpr19
	s_branch .LBB286_15
.LBB286_13:
	s_or_b32 exec_lo, exec_lo, s3
.LBB286_14:
	s_or_b32 exec_lo, exec_lo, s1
	s_cbranch_execnz .LBB286_24
.LBB286_15:
	v_mov_b32_e32 v12, 0
	v_mov_b32_e32 v14, 0
	;; [unrolled: 1-line block ×8, first 2 shown]
	s_and_saveexec_b32 s1, s0
	s_cbranch_execz .LBB286_23
; %bb.16:
	v_mul_lo_u32 v11, v11, 26
	v_mul_lo_u32 v30, v10, 26
	s_mul_i32 s0, s2, 26
	v_mov_b32_e32 v12, 0
	v_mov_b32_e32 v14, 0
	;; [unrolled: 1-line block ×5, first 2 shown]
	v_mad_u32_u24 v11, v0, 26, v11
	v_mov_b32_e32 v15, 0
	v_mov_b32_e32 v17, 0
	;; [unrolled: 1-line block ×4, first 2 shown]
	v_subrev_nc_u32_e32 v31, s0, v11
	s_mov_b32 s0, 0
	s_branch .LBB286_18
.LBB286_17:                             ;   in Loop: Header=BB286_18 Depth=1
	v_add_nc_u32_e32 v10, 32, v10
	v_add_nc_u32_e32 v30, 0x340, v30
	;; [unrolled: 1-line block ×3, first 2 shown]
	v_cmp_ge_i32_e32 vcc_lo, v10, v33
	s_or_b32 s0, vcc_lo, s0
	s_andn2_b32 exec_lo, exec_lo, s0
	s_cbranch_execz .LBB286_22
.LBB286_18:                             ; =>This Loop Header: Depth=1
                                        ;     Child Loop BB286_20 Depth 2
	v_ashrrev_i32_e32 v11, 31, v10
	v_mov_b32_e32 v27, v13
	v_mov_b32_e32 v29, v15
	;; [unrolled: 1-line block ×4, first 2 shown]
	v_lshlrev_b64 v[22:23], 2, v[10:11]
	v_mov_b32_e32 v28, v14
	v_mov_b32_e32 v24, v16
	s_mov_b32 s3, 0
	v_add_co_u32 v22, vcc_lo, s10, v22
	v_add_co_ci_u32_e64 v23, null, s11, v23, vcc_lo
	global_load_dword v11, v[22:23], off
	v_mov_b32_e32 v23, v19
	v_mov_b32_e32 v22, v18
	s_waitcnt vmcnt(0)
	v_subrev_nc_u32_e32 v11, s2, v11
	v_mul_lo_u32 v11, v11, 13
	s_branch .LBB286_20
.LBB286_19:                             ;   in Loop: Header=BB286_20 Depth=2
	s_andn2_b32 vcc_lo, exec_lo, s6
	s_cbranch_vccz .LBB286_17
.LBB286_20:                             ;   Parent Loop BB286_18 Depth=1
                                        ; =>  This Inner Loop Header: Depth=2
	v_add_nc_u32_e32 v20, s3, v31
	v_add_nc_u32_e32 v32, s3, v30
	v_mov_b32_e32 v13, v21
	s_cmp_eq_u32 s3, 12
	s_mov_b32 s6, -1
	v_lshlrev_b64 v[14:15], 4, v[20:21]
	v_add_nc_u32_e32 v20, s3, v11
	v_add_nc_u32_e32 v12, 13, v32
	v_lshlrev_b64 v[16:17], 4, v[20:21]
	v_lshlrev_b64 v[12:13], 4, v[12:13]
	v_add_co_u32 v14, vcc_lo, s12, v14
	v_add_co_ci_u32_e64 v15, null, s13, v15, vcc_lo
	v_add_co_u32 v16, vcc_lo, s14, v16
	v_add_co_ci_u32_e64 v17, null, s15, v17, vcc_lo
	;; [unrolled: 2-line block ×3, first 2 shown]
	global_load_dwordx4 v[12:15], v[14:15], off
	global_load_dwordx4 v[16:19], v[16:17], off
	;; [unrolled: 1-line block ×3, first 2 shown]
	s_waitcnt vmcnt(1)
	v_fma_f64 v[28:29], v[12:13], v[16:17], v[28:29]
	v_fma_f64 v[26:27], v[14:15], v[16:17], v[26:27]
	s_waitcnt vmcnt(0)
	v_fma_f64 v[24:25], v[34:35], v[16:17], v[24:25]
	v_fma_f64 v[22:23], v[36:37], v[16:17], v[22:23]
	v_fma_f64 v[14:15], -v[14:15], v[18:19], v[28:29]
	v_fma_f64 v[12:13], v[12:13], v[18:19], v[26:27]
	v_fma_f64 v[16:17], -v[36:37], v[18:19], v[24:25]
	v_fma_f64 v[18:19], v[34:35], v[18:19], v[22:23]
                                        ; implicit-def: $vgpr22_vgpr23
                                        ; implicit-def: $vgpr24_vgpr25
                                        ; implicit-def: $vgpr28_vgpr29
                                        ; implicit-def: $vgpr26_vgpr27
	s_cbranch_scc1 .LBB286_19
; %bb.21:                               ;   in Loop: Header=BB286_20 Depth=2
	v_add_nc_u32_e32 v22, 1, v32
	v_mov_b32_e32 v23, v21
	v_add_nc_u32_e32 v24, 1, v20
	v_mov_b32_e32 v25, v21
	;; [unrolled: 2-line block ×3, first 2 shown]
	v_lshlrev_b64 v[22:23], 4, v[22:23]
	v_add_nc_u32_e32 v38, 2, v32
	v_lshlrev_b64 v[24:25], 4, v[24:25]
	v_mov_b32_e32 v39, v21
	v_lshlrev_b64 v[26:27], 4, v[26:27]
	v_add_nc_u32_e32 v40, 2, v20
	v_add_co_u32 v22, vcc_lo, s12, v22
	v_add_co_ci_u32_e64 v23, null, s13, v23, vcc_lo
	v_add_co_u32 v28, vcc_lo, s14, v24
	v_add_co_ci_u32_e64 v29, null, s15, v25, vcc_lo
	;; [unrolled: 2-line block ×3, first 2 shown]
	global_load_dwordx4 v[22:25], v[22:23], off
	global_load_dwordx4 v[26:29], v[28:29], off
	;; [unrolled: 1-line block ×3, first 2 shown]
	v_mov_b32_e32 v41, v21
	v_lshlrev_b64 v[38:39], 4, v[38:39]
	v_add_nc_u32_e32 v20, 3, v20
	s_add_i32 s3, s3, 4
	s_mov_b32 s6, 0
	v_lshlrev_b64 v[40:41], 4, v[40:41]
	v_add_co_u32 v50, vcc_lo, s12, v38
	v_add_co_ci_u32_e64 v51, null, s13, v39, vcc_lo
	v_add_co_u32 v42, vcc_lo, s14, v40
	v_add_co_ci_u32_e64 v43, null, s15, v41, vcc_lo
	global_load_dwordx4 v[38:41], v[50:51], off
	global_load_dwordx4 v[42:45], v[42:43], off
	global_load_dwordx4 v[46:49], v[46:47], off offset:16
	v_lshlrev_b64 v[52:53], 4, v[20:21]
	v_add_nc_u32_e32 v20, 16, v32
	v_lshlrev_b64 v[54:55], 4, v[20:21]
	v_add_co_u32 v56, vcc_lo, s14, v52
	v_add_co_ci_u32_e64 v57, null, s15, v53, vcc_lo
	v_add_co_u32 v58, vcc_lo, s12, v54
	v_add_co_ci_u32_e64 v59, null, s13, v55, vcc_lo
	global_load_dwordx4 v[50:53], v[50:51], off offset:16
	global_load_dwordx4 v[54:57], v[56:57], off
	global_load_dwordx4 v[58:61], v[58:59], off
	s_waitcnt vmcnt(7)
	v_fma_f64 v[62:63], v[22:23], v[26:27], v[14:15]
	v_fma_f64 v[64:65], v[24:25], v[26:27], v[12:13]
	s_waitcnt vmcnt(6)
	v_fma_f64 v[66:67], v[34:35], v[26:27], v[16:17]
	v_fma_f64 v[26:27], v[36:37], v[26:27], v[18:19]
	v_fma_f64 v[24:25], -v[24:25], v[28:29], v[62:63]
	v_fma_f64 v[22:23], v[22:23], v[28:29], v[64:65]
	v_fma_f64 v[36:37], -v[36:37], v[28:29], v[66:67]
	v_fma_f64 v[26:27], v[34:35], v[28:29], v[26:27]
	s_waitcnt vmcnt(4)
	v_fma_f64 v[24:25], v[38:39], v[42:43], v[24:25]
	v_fma_f64 v[22:23], v[40:41], v[42:43], v[22:23]
	s_waitcnt vmcnt(3)
	v_fma_f64 v[28:29], v[46:47], v[42:43], v[36:37]
	v_fma_f64 v[26:27], v[48:49], v[42:43], v[26:27]
	v_fma_f64 v[24:25], -v[40:41], v[44:45], v[24:25]
	v_fma_f64 v[22:23], v[38:39], v[44:45], v[22:23]
	v_fma_f64 v[28:29], -v[48:49], v[44:45], v[28:29]
	v_fma_f64 v[26:27], v[46:47], v[44:45], v[26:27]
	;; [unrolled: 10-line block ×3, first 2 shown]
	s_branch .LBB286_19
.LBB286_22:
	s_or_b32 exec_lo, exec_lo, s0
.LBB286_23:
	s_or_b32 exec_lo, exec_lo, s1
.LBB286_24:
	v_mbcnt_lo_u32_b32 v26, -1, 0
	v_xor_b32_e32 v10, 16, v26
	v_cmp_gt_i32_e32 vcc_lo, 32, v10
	v_cndmask_b32_e32 v10, v26, v10, vcc_lo
	v_lshlrev_b32_e32 v25, 2, v10
	ds_bpermute_b32 v10, v25, v14
	ds_bpermute_b32 v11, v25, v15
	;; [unrolled: 1-line block ×8, first 2 shown]
	s_waitcnt lgkmcnt(6)
	v_add_f64 v[10:11], v[14:15], v[10:11]
	s_waitcnt lgkmcnt(4)
	v_add_f64 v[12:13], v[12:13], v[20:21]
	v_xor_b32_e32 v20, 8, v26
	s_waitcnt lgkmcnt(2)
	v_add_f64 v[14:15], v[16:17], v[22:23]
	s_waitcnt lgkmcnt(0)
	v_add_f64 v[16:17], v[18:19], v[24:25]
	v_cmp_gt_i32_e32 vcc_lo, 32, v20
	v_cndmask_b32_e32 v18, v26, v20, vcc_lo
	v_lshlrev_b32_e32 v25, 2, v18
	ds_bpermute_b32 v18, v25, v10
	ds_bpermute_b32 v19, v25, v11
	;; [unrolled: 1-line block ×8, first 2 shown]
	s_waitcnt lgkmcnt(6)
	v_add_f64 v[10:11], v[10:11], v[18:19]
	v_xor_b32_e32 v18, 4, v26
	s_waitcnt lgkmcnt(4)
	v_add_f64 v[12:13], v[12:13], v[20:21]
	s_waitcnt lgkmcnt(2)
	v_add_f64 v[14:15], v[14:15], v[22:23]
	;; [unrolled: 2-line block ×3, first 2 shown]
	v_cmp_gt_i32_e32 vcc_lo, 32, v18
	v_cndmask_b32_e32 v18, v26, v18, vcc_lo
	v_lshlrev_b32_e32 v25, 2, v18
	ds_bpermute_b32 v18, v25, v10
	ds_bpermute_b32 v19, v25, v11
	;; [unrolled: 1-line block ×8, first 2 shown]
	s_waitcnt lgkmcnt(6)
	v_add_f64 v[10:11], v[10:11], v[18:19]
	s_waitcnt lgkmcnt(4)
	v_add_f64 v[12:13], v[12:13], v[20:21]
	;; [unrolled: 2-line block ×4, first 2 shown]
	v_xor_b32_e32 v16, 2, v26
	v_cmp_gt_i32_e32 vcc_lo, 32, v16
	v_cndmask_b32_e32 v16, v26, v16, vcc_lo
	v_lshlrev_b32_e32 v25, 2, v16
	ds_bpermute_b32 v16, v25, v10
	ds_bpermute_b32 v17, v25, v11
	;; [unrolled: 1-line block ×8, first 2 shown]
	s_waitcnt lgkmcnt(6)
	v_add_f64 v[10:11], v[10:11], v[16:17]
	s_waitcnt lgkmcnt(4)
	v_add_f64 v[16:17], v[12:13], v[20:21]
	;; [unrolled: 2-line block ×4, first 2 shown]
	v_xor_b32_e32 v18, 1, v26
	v_cmp_gt_i32_e32 vcc_lo, 32, v18
	v_cndmask_b32_e32 v18, v26, v18, vcc_lo
	v_cmp_eq_u32_e32 vcc_lo, 31, v0
	v_lshlrev_b32_e32 v21, 2, v18
	ds_bpermute_b32 v24, v21, v10
	ds_bpermute_b32 v25, v21, v11
	;; [unrolled: 1-line block ×8, first 2 shown]
	s_and_b32 exec_lo, exec_lo, vcc_lo
	s_cbranch_execz .LBB286_29
; %bb.25:
	v_cmp_eq_f64_e32 vcc_lo, 0, v[5:6]
	v_cmp_eq_f64_e64 s0, 0, v[7:8]
	s_waitcnt lgkmcnt(6)
	v_add_f64 v[10:11], v[10:11], v[24:25]
	s_waitcnt lgkmcnt(4)
	v_add_f64 v[16:17], v[16:17], v[22:23]
	;; [unrolled: 2-line block ×4, first 2 shown]
	s_load_dwordx2 s[2:3], s[4:5], 0x48
	s_and_b32 s0, vcc_lo, s0
	s_and_saveexec_b32 s1, s0
	s_xor_b32 s0, exec_lo, s1
	s_cbranch_execz .LBB286_27
; %bb.26:
	v_mul_f64 v[5:6], v[16:17], -v[3:4]
	v_mul_f64 v[7:8], v[1:2], v[16:17]
	v_mul_f64 v[16:17], v[14:15], -v[3:4]
	v_mul_f64 v[14:15], v[1:2], v[14:15]
	v_lshlrev_b32_e32 v9, 1, v9
	v_fma_f64 v[5:6], v[1:2], v[10:11], v[5:6]
	v_fma_f64 v[7:8], v[3:4], v[10:11], v[7:8]
	;; [unrolled: 1-line block ×4, first 2 shown]
	v_ashrrev_i32_e32 v10, 31, v9
                                        ; implicit-def: $vgpr16_vgpr17
                                        ; implicit-def: $vgpr12_vgpr13
                                        ; implicit-def: $vgpr14_vgpr15
	v_lshlrev_b64 v[9:10], 4, v[9:10]
	s_waitcnt lgkmcnt(0)
	v_add_co_u32 v9, vcc_lo, s2, v9
	v_add_co_ci_u32_e64 v10, null, s3, v10, vcc_lo
	global_store_dwordx4 v[9:10], v[5:8], off
	global_store_dwordx4 v[9:10], v[0:3], off offset:16
                                        ; implicit-def: $vgpr9
                                        ; implicit-def: $vgpr10_vgpr11
                                        ; implicit-def: $vgpr7_vgpr8
                                        ; implicit-def: $vgpr3_vgpr4
.LBB286_27:
	s_andn2_saveexec_b32 s0, s0
	s_cbranch_execz .LBB286_29
; %bb.28:
	v_lshlrev_b32_e32 v18, 1, v9
	v_mul_f64 v[28:29], v[16:17], -v[3:4]
	v_mul_f64 v[16:17], v[1:2], v[16:17]
	v_mul_f64 v[30:31], v[14:15], -v[3:4]
	v_mul_f64 v[14:15], v[1:2], v[14:15]
	v_ashrrev_i32_e32 v19, 31, v18
	v_lshlrev_b64 v[18:19], 4, v[18:19]
	s_waitcnt lgkmcnt(0)
	v_add_co_u32 v26, vcc_lo, s2, v18
	v_add_co_ci_u32_e64 v27, null, s3, v19, vcc_lo
	s_clause 0x1
	global_load_dwordx4 v[18:21], v[26:27], off
	global_load_dwordx4 v[22:25], v[26:27], off offset:16
	v_fma_f64 v[28:29], v[1:2], v[10:11], v[28:29]
	v_fma_f64 v[9:10], v[3:4], v[10:11], v[16:17]
	;; [unrolled: 1-line block ×4, first 2 shown]
	s_waitcnt vmcnt(1)
	v_fma_f64 v[11:12], v[5:6], v[18:19], v[28:29]
	v_fma_f64 v[9:10], v[7:8], v[18:19], v[9:10]
	s_waitcnt vmcnt(0)
	v_fma_f64 v[13:14], v[5:6], v[22:23], v[0:1]
	v_fma_f64 v[15:16], v[7:8], v[22:23], v[2:3]
	v_fma_f64 v[0:1], -v[7:8], v[20:21], v[11:12]
	v_fma_f64 v[2:3], v[5:6], v[20:21], v[9:10]
	v_fma_f64 v[7:8], -v[7:8], v[24:25], v[13:14]
	v_fma_f64 v[9:10], v[5:6], v[24:25], v[15:16]
	global_store_dwordx4 v[26:27], v[0:3], off
	global_store_dwordx4 v[26:27], v[7:10], off offset:16
.LBB286_29:
	s_endpgm
	.section	.rodata,"a",@progbits
	.p2align	6, 0x0
	.amdhsa_kernel _ZN9rocsparseL19gebsrmvn_2xn_kernelILj128ELj13ELj32E21rocsparse_complex_numIdEEEvi20rocsparse_direction_NS_24const_host_device_scalarIT2_EEPKiS8_PKS5_SA_S6_PS5_21rocsparse_index_base_b
		.amdhsa_group_segment_fixed_size 0
		.amdhsa_private_segment_fixed_size 0
		.amdhsa_kernarg_size 88
		.amdhsa_user_sgpr_count 6
		.amdhsa_user_sgpr_private_segment_buffer 1
		.amdhsa_user_sgpr_dispatch_ptr 0
		.amdhsa_user_sgpr_queue_ptr 0
		.amdhsa_user_sgpr_kernarg_segment_ptr 1
		.amdhsa_user_sgpr_dispatch_id 0
		.amdhsa_user_sgpr_flat_scratch_init 0
		.amdhsa_user_sgpr_private_segment_size 0
		.amdhsa_wavefront_size32 1
		.amdhsa_uses_dynamic_stack 0
		.amdhsa_system_sgpr_private_segment_wavefront_offset 0
		.amdhsa_system_sgpr_workgroup_id_x 1
		.amdhsa_system_sgpr_workgroup_id_y 0
		.amdhsa_system_sgpr_workgroup_id_z 0
		.amdhsa_system_sgpr_workgroup_info 0
		.amdhsa_system_vgpr_workitem_id 0
		.amdhsa_next_free_vgpr 70
		.amdhsa_next_free_sgpr 16
		.amdhsa_reserve_vcc 1
		.amdhsa_reserve_flat_scratch 0
		.amdhsa_float_round_mode_32 0
		.amdhsa_float_round_mode_16_64 0
		.amdhsa_float_denorm_mode_32 3
		.amdhsa_float_denorm_mode_16_64 3
		.amdhsa_dx10_clamp 1
		.amdhsa_ieee_mode 1
		.amdhsa_fp16_overflow 0
		.amdhsa_workgroup_processor_mode 1
		.amdhsa_memory_ordered 1
		.amdhsa_forward_progress 1
		.amdhsa_shared_vgpr_count 0
		.amdhsa_exception_fp_ieee_invalid_op 0
		.amdhsa_exception_fp_denorm_src 0
		.amdhsa_exception_fp_ieee_div_zero 0
		.amdhsa_exception_fp_ieee_overflow 0
		.amdhsa_exception_fp_ieee_underflow 0
		.amdhsa_exception_fp_ieee_inexact 0
		.amdhsa_exception_int_div_zero 0
	.end_amdhsa_kernel
	.section	.text._ZN9rocsparseL19gebsrmvn_2xn_kernelILj128ELj13ELj32E21rocsparse_complex_numIdEEEvi20rocsparse_direction_NS_24const_host_device_scalarIT2_EEPKiS8_PKS5_SA_S6_PS5_21rocsparse_index_base_b,"axG",@progbits,_ZN9rocsparseL19gebsrmvn_2xn_kernelILj128ELj13ELj32E21rocsparse_complex_numIdEEEvi20rocsparse_direction_NS_24const_host_device_scalarIT2_EEPKiS8_PKS5_SA_S6_PS5_21rocsparse_index_base_b,comdat
.Lfunc_end286:
	.size	_ZN9rocsparseL19gebsrmvn_2xn_kernelILj128ELj13ELj32E21rocsparse_complex_numIdEEEvi20rocsparse_direction_NS_24const_host_device_scalarIT2_EEPKiS8_PKS5_SA_S6_PS5_21rocsparse_index_base_b, .Lfunc_end286-_ZN9rocsparseL19gebsrmvn_2xn_kernelILj128ELj13ELj32E21rocsparse_complex_numIdEEEvi20rocsparse_direction_NS_24const_host_device_scalarIT2_EEPKiS8_PKS5_SA_S6_PS5_21rocsparse_index_base_b
                                        ; -- End function
	.set _ZN9rocsparseL19gebsrmvn_2xn_kernelILj128ELj13ELj32E21rocsparse_complex_numIdEEEvi20rocsparse_direction_NS_24const_host_device_scalarIT2_EEPKiS8_PKS5_SA_S6_PS5_21rocsparse_index_base_b.num_vgpr, 70
	.set _ZN9rocsparseL19gebsrmvn_2xn_kernelILj128ELj13ELj32E21rocsparse_complex_numIdEEEvi20rocsparse_direction_NS_24const_host_device_scalarIT2_EEPKiS8_PKS5_SA_S6_PS5_21rocsparse_index_base_b.num_agpr, 0
	.set _ZN9rocsparseL19gebsrmvn_2xn_kernelILj128ELj13ELj32E21rocsparse_complex_numIdEEEvi20rocsparse_direction_NS_24const_host_device_scalarIT2_EEPKiS8_PKS5_SA_S6_PS5_21rocsparse_index_base_b.numbered_sgpr, 16
	.set _ZN9rocsparseL19gebsrmvn_2xn_kernelILj128ELj13ELj32E21rocsparse_complex_numIdEEEvi20rocsparse_direction_NS_24const_host_device_scalarIT2_EEPKiS8_PKS5_SA_S6_PS5_21rocsparse_index_base_b.num_named_barrier, 0
	.set _ZN9rocsparseL19gebsrmvn_2xn_kernelILj128ELj13ELj32E21rocsparse_complex_numIdEEEvi20rocsparse_direction_NS_24const_host_device_scalarIT2_EEPKiS8_PKS5_SA_S6_PS5_21rocsparse_index_base_b.private_seg_size, 0
	.set _ZN9rocsparseL19gebsrmvn_2xn_kernelILj128ELj13ELj32E21rocsparse_complex_numIdEEEvi20rocsparse_direction_NS_24const_host_device_scalarIT2_EEPKiS8_PKS5_SA_S6_PS5_21rocsparse_index_base_b.uses_vcc, 1
	.set _ZN9rocsparseL19gebsrmvn_2xn_kernelILj128ELj13ELj32E21rocsparse_complex_numIdEEEvi20rocsparse_direction_NS_24const_host_device_scalarIT2_EEPKiS8_PKS5_SA_S6_PS5_21rocsparse_index_base_b.uses_flat_scratch, 0
	.set _ZN9rocsparseL19gebsrmvn_2xn_kernelILj128ELj13ELj32E21rocsparse_complex_numIdEEEvi20rocsparse_direction_NS_24const_host_device_scalarIT2_EEPKiS8_PKS5_SA_S6_PS5_21rocsparse_index_base_b.has_dyn_sized_stack, 0
	.set _ZN9rocsparseL19gebsrmvn_2xn_kernelILj128ELj13ELj32E21rocsparse_complex_numIdEEEvi20rocsparse_direction_NS_24const_host_device_scalarIT2_EEPKiS8_PKS5_SA_S6_PS5_21rocsparse_index_base_b.has_recursion, 0
	.set _ZN9rocsparseL19gebsrmvn_2xn_kernelILj128ELj13ELj32E21rocsparse_complex_numIdEEEvi20rocsparse_direction_NS_24const_host_device_scalarIT2_EEPKiS8_PKS5_SA_S6_PS5_21rocsparse_index_base_b.has_indirect_call, 0
	.section	.AMDGPU.csdata,"",@progbits
; Kernel info:
; codeLenInByte = 3216
; TotalNumSgprs: 18
; NumVgprs: 70
; ScratchSize: 0
; MemoryBound: 0
; FloatMode: 240
; IeeeMode: 1
; LDSByteSize: 0 bytes/workgroup (compile time only)
; SGPRBlocks: 0
; VGPRBlocks: 8
; NumSGPRsForWavesPerEU: 18
; NumVGPRsForWavesPerEU: 70
; Occupancy: 12
; WaveLimiterHint : 1
; COMPUTE_PGM_RSRC2:SCRATCH_EN: 0
; COMPUTE_PGM_RSRC2:USER_SGPR: 6
; COMPUTE_PGM_RSRC2:TRAP_HANDLER: 0
; COMPUTE_PGM_RSRC2:TGID_X_EN: 1
; COMPUTE_PGM_RSRC2:TGID_Y_EN: 0
; COMPUTE_PGM_RSRC2:TGID_Z_EN: 0
; COMPUTE_PGM_RSRC2:TIDIG_COMP_CNT: 0
	.section	.text._ZN9rocsparseL19gebsrmvn_2xn_kernelILj128ELj13ELj64E21rocsparse_complex_numIdEEEvi20rocsparse_direction_NS_24const_host_device_scalarIT2_EEPKiS8_PKS5_SA_S6_PS5_21rocsparse_index_base_b,"axG",@progbits,_ZN9rocsparseL19gebsrmvn_2xn_kernelILj128ELj13ELj64E21rocsparse_complex_numIdEEEvi20rocsparse_direction_NS_24const_host_device_scalarIT2_EEPKiS8_PKS5_SA_S6_PS5_21rocsparse_index_base_b,comdat
	.globl	_ZN9rocsparseL19gebsrmvn_2xn_kernelILj128ELj13ELj64E21rocsparse_complex_numIdEEEvi20rocsparse_direction_NS_24const_host_device_scalarIT2_EEPKiS8_PKS5_SA_S6_PS5_21rocsparse_index_base_b ; -- Begin function _ZN9rocsparseL19gebsrmvn_2xn_kernelILj128ELj13ELj64E21rocsparse_complex_numIdEEEvi20rocsparse_direction_NS_24const_host_device_scalarIT2_EEPKiS8_PKS5_SA_S6_PS5_21rocsparse_index_base_b
	.p2align	8
	.type	_ZN9rocsparseL19gebsrmvn_2xn_kernelILj128ELj13ELj64E21rocsparse_complex_numIdEEEvi20rocsparse_direction_NS_24const_host_device_scalarIT2_EEPKiS8_PKS5_SA_S6_PS5_21rocsparse_index_base_b,@function
_ZN9rocsparseL19gebsrmvn_2xn_kernelILj128ELj13ELj64E21rocsparse_complex_numIdEEEvi20rocsparse_direction_NS_24const_host_device_scalarIT2_EEPKiS8_PKS5_SA_S6_PS5_21rocsparse_index_base_b: ; @_ZN9rocsparseL19gebsrmvn_2xn_kernelILj128ELj13ELj64E21rocsparse_complex_numIdEEEvi20rocsparse_direction_NS_24const_host_device_scalarIT2_EEPKiS8_PKS5_SA_S6_PS5_21rocsparse_index_base_b
; %bb.0:
	s_clause 0x1
	s_load_dwordx2 s[2:3], s[4:5], 0x50
	s_load_dwordx2 s[0:1], s[4:5], 0x8
	s_add_u32 s7, s4, 8
	s_addc_u32 s10, s5, 0
	s_add_u32 s11, s4, 56
	s_addc_u32 s12, s5, 0
	s_load_dwordx2 s[8:9], s[4:5], 0x38
	s_waitcnt lgkmcnt(0)
	s_bitcmp1_b32 s3, 0
	s_cselect_b32 s0, s7, s0
	s_cselect_b32 s1, s10, s1
	v_mov_b32_e32 v1, s0
	v_mov_b32_e32 v2, s1
	s_cselect_b32 s0, s11, s8
	s_cselect_b32 s1, s12, s9
	v_mov_b32_e32 v5, s0
	v_mov_b32_e32 v6, s1
	flat_load_dwordx4 v[1:4], v[1:2]
	flat_load_dwordx4 v[5:8], v[5:6]
	s_waitcnt vmcnt(1) lgkmcnt(1)
	v_cmp_eq_f64_e32 vcc_lo, 0, v[1:2]
	v_cmp_eq_f64_e64 s0, 0, v[3:4]
	s_and_b32 s3, vcc_lo, s0
	s_mov_b32 s0, -1
	s_and_saveexec_b32 s1, s3
	s_cbranch_execz .LBB287_2
; %bb.1:
	s_waitcnt vmcnt(0) lgkmcnt(0)
	v_cmp_neq_f64_e32 vcc_lo, 1.0, v[5:6]
	v_cmp_neq_f64_e64 s0, 0, v[7:8]
	s_or_b32 s0, vcc_lo, s0
	s_orn2_b32 s0, s0, exec_lo
.LBB287_2:
	s_or_b32 exec_lo, exec_lo, s1
	s_and_saveexec_b32 s1, s0
	s_cbranch_execz .LBB287_29
; %bb.3:
	s_load_dwordx2 s[0:1], s[4:5], 0x0
	v_lshrrev_b32_e32 v9, 6, v0
	v_lshl_or_b32 v9, s6, 1, v9
	s_waitcnt lgkmcnt(0)
	v_cmp_gt_i32_e32 vcc_lo, s0, v9
	s_and_b32 exec_lo, exec_lo, vcc_lo
	s_cbranch_execz .LBB287_29
; %bb.4:
	s_load_dwordx8 s[8:15], s[4:5], 0x18
	v_ashrrev_i32_e32 v10, 31, v9
	v_and_b32_e32 v0, 63, v0
	s_cmp_lg_u32 s1, 0
	v_lshlrev_b64 v[10:11], 2, v[9:10]
	s_waitcnt lgkmcnt(0)
	v_add_co_u32 v10, vcc_lo, s8, v10
	v_add_co_ci_u32_e64 v11, null, s9, v11, vcc_lo
	global_load_dwordx2 v[11:12], v[10:11], off
	s_waitcnt vmcnt(0)
	v_subrev_nc_u32_e32 v10, s2, v11
	v_subrev_nc_u32_e32 v33, s2, v12
	v_add_nc_u32_e32 v10, v10, v0
	v_cmp_lt_i32_e64 s0, v10, v33
	s_cbranch_scc0 .LBB287_12
; %bb.5:
	v_mov_b32_e32 v12, 0
	v_mov_b32_e32 v14, 0
	v_mov_b32_e32 v16, 0
	v_mov_b32_e32 v18, 0
	v_mov_b32_e32 v13, 0
	v_mov_b32_e32 v15, 0
	v_mov_b32_e32 v17, 0
	v_mov_b32_e32 v19, 0
	s_and_saveexec_b32 s1, s0
	s_cbranch_execz .LBB287_14
; %bb.6:
	v_mul_lo_u32 v14, v11, 26
	v_mul_lo_u32 v34, v10, 26
	s_mul_i32 s3, s2, 26
	v_mov_b32_e32 v12, 0
	v_mov_b32_e32 v16, 0
	;; [unrolled: 1-line block ×5, first 2 shown]
	v_mad_u32_u24 v20, v0, 26, v14
	v_mov_b32_e32 v14, 0
	v_mov_b32_e32 v15, 0
	;; [unrolled: 1-line block ×4, first 2 shown]
	v_subrev_nc_u32_e32 v35, s3, v20
	v_mov_b32_e32 v22, v10
	s_mov_b32 s3, 0
	s_branch .LBB287_8
.LBB287_7:                              ;   in Loop: Header=BB287_8 Depth=1
	v_add_nc_u32_e32 v22, 64, v22
	v_add_nc_u32_e32 v34, 0x680, v34
	;; [unrolled: 1-line block ×3, first 2 shown]
	v_cmp_ge_i32_e32 vcc_lo, v22, v33
	s_or_b32 s3, vcc_lo, s3
	s_andn2_b32 exec_lo, exec_lo, s3
	s_cbranch_execz .LBB287_13
.LBB287_8:                              ; =>This Loop Header: Depth=1
                                        ;     Child Loop BB287_10 Depth 2
	v_ashrrev_i32_e32 v23, 31, v22
	v_mov_b32_e32 v30, v13
	v_mov_b32_e32 v32, v15
	;; [unrolled: 1-line block ×4, first 2 shown]
	v_lshlrev_b64 v[23:24], 2, v[22:23]
	v_mov_b32_e32 v29, v12
	v_mov_b32_e32 v31, v14
	;; [unrolled: 1-line block ×4, first 2 shown]
	s_mov_b32 s6, 0
	v_add_co_u32 v23, vcc_lo, s10, v23
	v_add_co_ci_u32_e64 v24, null, s11, v24, vcc_lo
	global_load_dword v20, v[23:24], off
	s_waitcnt vmcnt(0)
	v_subrev_nc_u32_e32 v20, s2, v20
	v_mul_lo_u32 v23, v20, 13
	s_branch .LBB287_10
.LBB287_9:                              ;   in Loop: Header=BB287_8 Depth=1
                                        ; implicit-def: $vgpr25_vgpr26
                                        ; implicit-def: $vgpr27_vgpr28
                                        ; implicit-def: $vgpr31_vgpr32
                                        ; implicit-def: $vgpr29_vgpr30
                                        ; implicit-def: $sgpr6
                                        ; implicit-def: $vgpr23
	s_branch .LBB287_7
.LBB287_10:                             ;   Parent Loop BB287_8 Depth=1
                                        ; =>  This Inner Loop Header: Depth=2
	v_mov_b32_e32 v24, v21
	v_add_nc_u32_e32 v20, s6, v35
	s_cmp_eq_u32 s6, 24
	v_lshlrev_b64 v[12:13], 4, v[23:24]
	v_lshlrev_b64 v[14:15], 4, v[20:21]
	v_add_co_u32 v12, vcc_lo, s14, v12
	v_add_co_ci_u32_e64 v13, null, s15, v13, vcc_lo
	v_add_co_u32 v36, vcc_lo, s12, v14
	v_add_co_ci_u32_e64 v37, null, s13, v15, vcc_lo
	global_load_dwordx4 v[16:19], v[12:13], off
	s_clause 0x1
	global_load_dwordx4 v[12:15], v[36:37], off
	global_load_dwordx4 v[36:39], v[36:37], off offset:16
	s_waitcnt vmcnt(1)
	v_fma_f64 v[31:32], v[12:13], v[16:17], v[31:32]
	v_fma_f64 v[29:30], v[14:15], v[16:17], v[29:30]
	s_waitcnt vmcnt(0)
	v_fma_f64 v[27:28], v[36:37], v[16:17], v[27:28]
	v_fma_f64 v[24:25], v[38:39], v[16:17], v[25:26]
	v_fma_f64 v[14:15], -v[14:15], v[18:19], v[31:32]
	v_fma_f64 v[12:13], v[12:13], v[18:19], v[29:30]
	v_fma_f64 v[16:17], -v[38:39], v[18:19], v[27:28]
	v_fma_f64 v[18:19], v[36:37], v[18:19], v[24:25]
	s_cbranch_scc1 .LBB287_9
; %bb.11:                               ;   in Loop: Header=BB287_10 Depth=2
	v_add_nc_u32_e32 v32, s6, v34
	s_add_i32 s6, s6, 8
	v_add_nc_u32_e32 v20, 2, v32
	v_lshlrev_b64 v[24:25], 4, v[20:21]
	v_add_nc_u32_e32 v20, 1, v23
	v_lshlrev_b64 v[26:27], 4, v[20:21]
	;; [unrolled: 2-line block ×3, first 2 shown]
	v_add_co_u32 v26, vcc_lo, s14, v26
	v_add_co_ci_u32_e64 v27, null, s15, v27, vcc_lo
	v_add_co_u32 v36, vcc_lo, s12, v24
	v_add_co_ci_u32_e64 v37, null, s13, v25, vcc_lo
	global_load_dwordx4 v[24:27], v[26:27], off
	s_clause 0x1
	global_load_dwordx4 v[28:31], v[36:37], off
	global_load_dwordx4 v[36:39], v[36:37], off offset:16
	v_add_nc_u32_e32 v20, 2, v23
	v_lshlrev_b64 v[42:43], 4, v[20:21]
	v_add_nc_u32_e32 v20, 6, v32
	v_add_co_u32 v42, vcc_lo, s14, v42
	v_add_co_ci_u32_e64 v43, null, s15, v43, vcc_lo
	v_add_co_u32 v48, vcc_lo, s12, v40
	v_add_co_ci_u32_e64 v49, null, s13, v41, vcc_lo
	global_load_dwordx4 v[40:43], v[42:43], off
	s_clause 0x1
	global_load_dwordx4 v[44:47], v[48:49], off
	global_load_dwordx4 v[48:51], v[48:49], off offset:16
	v_lshlrev_b64 v[52:53], 4, v[20:21]
	v_add_nc_u32_e32 v20, 3, v23
	v_add_nc_u32_e32 v23, 4, v23
	v_lshlrev_b64 v[54:55], 4, v[20:21]
	v_add_co_u32 v54, vcc_lo, s14, v54
	v_add_co_ci_u32_e64 v55, null, s15, v55, vcc_lo
	v_add_co_u32 v60, vcc_lo, s12, v52
	v_add_co_ci_u32_e64 v61, null, s13, v53, vcc_lo
	global_load_dwordx4 v[52:55], v[54:55], off
	s_clause 0x1
	global_load_dwordx4 v[56:59], v[60:61], off
	global_load_dwordx4 v[60:63], v[60:61], off offset:16
	s_waitcnt vmcnt(7)
	v_fma_f64 v[64:65], v[28:29], v[24:25], v[14:15]
	v_fma_f64 v[66:67], v[30:31], v[24:25], v[12:13]
	s_waitcnt vmcnt(6)
	v_fma_f64 v[68:69], v[36:37], v[24:25], v[16:17]
	v_fma_f64 v[24:25], v[38:39], v[24:25], v[18:19]
	v_fma_f64 v[30:31], -v[30:31], v[26:27], v[64:65]
	v_fma_f64 v[28:29], v[28:29], v[26:27], v[66:67]
	v_fma_f64 v[38:39], -v[38:39], v[26:27], v[68:69]
	v_fma_f64 v[24:25], v[36:37], v[26:27], v[24:25]
	s_waitcnt vmcnt(4)
	v_fma_f64 v[26:27], v[44:45], v[40:41], v[30:31]
	v_fma_f64 v[28:29], v[46:47], v[40:41], v[28:29]
	s_waitcnt vmcnt(3)
	v_fma_f64 v[30:31], v[48:49], v[40:41], v[38:39]
	v_fma_f64 v[24:25], v[50:51], v[40:41], v[24:25]
	v_fma_f64 v[26:27], -v[46:47], v[42:43], v[26:27]
	v_fma_f64 v[28:29], v[44:45], v[42:43], v[28:29]
	v_fma_f64 v[30:31], -v[50:51], v[42:43], v[30:31]
	v_fma_f64 v[24:25], v[48:49], v[42:43], v[24:25]
	;; [unrolled: 10-line block ×3, first 2 shown]
	s_cbranch_execnz .LBB287_10
	s_branch .LBB287_7
.LBB287_12:
                                        ; implicit-def: $vgpr12_vgpr13
                                        ; implicit-def: $vgpr14_vgpr15
                                        ; implicit-def: $vgpr16_vgpr17
                                        ; implicit-def: $vgpr18_vgpr19
	s_branch .LBB287_15
.LBB287_13:
	s_or_b32 exec_lo, exec_lo, s3
.LBB287_14:
	s_or_b32 exec_lo, exec_lo, s1
	s_cbranch_execnz .LBB287_24
.LBB287_15:
	v_mov_b32_e32 v12, 0
	v_mov_b32_e32 v14, 0
	;; [unrolled: 1-line block ×8, first 2 shown]
	s_and_saveexec_b32 s1, s0
	s_cbranch_execz .LBB287_23
; %bb.16:
	v_mul_lo_u32 v11, v11, 26
	v_mul_lo_u32 v30, v10, 26
	s_mul_i32 s0, s2, 26
	v_mov_b32_e32 v12, 0
	v_mov_b32_e32 v14, 0
	;; [unrolled: 1-line block ×5, first 2 shown]
	v_mad_u32_u24 v11, v0, 26, v11
	v_mov_b32_e32 v15, 0
	v_mov_b32_e32 v17, 0
	;; [unrolled: 1-line block ×4, first 2 shown]
	v_subrev_nc_u32_e32 v31, s0, v11
	s_mov_b32 s0, 0
	s_branch .LBB287_18
.LBB287_17:                             ;   in Loop: Header=BB287_18 Depth=1
	v_add_nc_u32_e32 v10, 64, v10
	v_add_nc_u32_e32 v30, 0x680, v30
	;; [unrolled: 1-line block ×3, first 2 shown]
	v_cmp_ge_i32_e32 vcc_lo, v10, v33
	s_or_b32 s0, vcc_lo, s0
	s_andn2_b32 exec_lo, exec_lo, s0
	s_cbranch_execz .LBB287_22
.LBB287_18:                             ; =>This Loop Header: Depth=1
                                        ;     Child Loop BB287_20 Depth 2
	v_ashrrev_i32_e32 v11, 31, v10
	v_mov_b32_e32 v27, v13
	v_mov_b32_e32 v29, v15
	;; [unrolled: 1-line block ×4, first 2 shown]
	v_lshlrev_b64 v[22:23], 2, v[10:11]
	v_mov_b32_e32 v28, v14
	v_mov_b32_e32 v24, v16
	s_mov_b32 s3, 0
	v_add_co_u32 v22, vcc_lo, s10, v22
	v_add_co_ci_u32_e64 v23, null, s11, v23, vcc_lo
	global_load_dword v11, v[22:23], off
	v_mov_b32_e32 v23, v19
	v_mov_b32_e32 v22, v18
	s_waitcnt vmcnt(0)
	v_subrev_nc_u32_e32 v11, s2, v11
	v_mul_lo_u32 v11, v11, 13
	s_branch .LBB287_20
.LBB287_19:                             ;   in Loop: Header=BB287_20 Depth=2
	s_andn2_b32 vcc_lo, exec_lo, s6
	s_cbranch_vccz .LBB287_17
.LBB287_20:                             ;   Parent Loop BB287_18 Depth=1
                                        ; =>  This Inner Loop Header: Depth=2
	v_add_nc_u32_e32 v20, s3, v31
	v_add_nc_u32_e32 v32, s3, v30
	v_mov_b32_e32 v13, v21
	s_cmp_eq_u32 s3, 12
	s_mov_b32 s6, -1
	v_lshlrev_b64 v[14:15], 4, v[20:21]
	v_add_nc_u32_e32 v20, s3, v11
	v_add_nc_u32_e32 v12, 13, v32
	v_lshlrev_b64 v[16:17], 4, v[20:21]
	v_lshlrev_b64 v[12:13], 4, v[12:13]
	v_add_co_u32 v14, vcc_lo, s12, v14
	v_add_co_ci_u32_e64 v15, null, s13, v15, vcc_lo
	v_add_co_u32 v16, vcc_lo, s14, v16
	v_add_co_ci_u32_e64 v17, null, s15, v17, vcc_lo
	;; [unrolled: 2-line block ×3, first 2 shown]
	global_load_dwordx4 v[12:15], v[14:15], off
	global_load_dwordx4 v[16:19], v[16:17], off
	;; [unrolled: 1-line block ×3, first 2 shown]
	s_waitcnt vmcnt(1)
	v_fma_f64 v[28:29], v[12:13], v[16:17], v[28:29]
	v_fma_f64 v[26:27], v[14:15], v[16:17], v[26:27]
	s_waitcnt vmcnt(0)
	v_fma_f64 v[24:25], v[34:35], v[16:17], v[24:25]
	v_fma_f64 v[22:23], v[36:37], v[16:17], v[22:23]
	v_fma_f64 v[14:15], -v[14:15], v[18:19], v[28:29]
	v_fma_f64 v[12:13], v[12:13], v[18:19], v[26:27]
	v_fma_f64 v[16:17], -v[36:37], v[18:19], v[24:25]
	v_fma_f64 v[18:19], v[34:35], v[18:19], v[22:23]
                                        ; implicit-def: $vgpr22_vgpr23
                                        ; implicit-def: $vgpr24_vgpr25
                                        ; implicit-def: $vgpr28_vgpr29
                                        ; implicit-def: $vgpr26_vgpr27
	s_cbranch_scc1 .LBB287_19
; %bb.21:                               ;   in Loop: Header=BB287_20 Depth=2
	v_add_nc_u32_e32 v22, 1, v32
	v_mov_b32_e32 v23, v21
	v_add_nc_u32_e32 v24, 1, v20
	v_mov_b32_e32 v25, v21
	;; [unrolled: 2-line block ×3, first 2 shown]
	v_lshlrev_b64 v[22:23], 4, v[22:23]
	v_add_nc_u32_e32 v38, 2, v32
	v_lshlrev_b64 v[24:25], 4, v[24:25]
	v_mov_b32_e32 v39, v21
	v_lshlrev_b64 v[26:27], 4, v[26:27]
	v_add_nc_u32_e32 v40, 2, v20
	v_add_co_u32 v22, vcc_lo, s12, v22
	v_add_co_ci_u32_e64 v23, null, s13, v23, vcc_lo
	v_add_co_u32 v28, vcc_lo, s14, v24
	v_add_co_ci_u32_e64 v29, null, s15, v25, vcc_lo
	;; [unrolled: 2-line block ×3, first 2 shown]
	global_load_dwordx4 v[22:25], v[22:23], off
	global_load_dwordx4 v[26:29], v[28:29], off
	;; [unrolled: 1-line block ×3, first 2 shown]
	v_mov_b32_e32 v41, v21
	v_lshlrev_b64 v[38:39], 4, v[38:39]
	v_add_nc_u32_e32 v20, 3, v20
	s_add_i32 s3, s3, 4
	s_mov_b32 s6, 0
	v_lshlrev_b64 v[40:41], 4, v[40:41]
	v_add_co_u32 v50, vcc_lo, s12, v38
	v_add_co_ci_u32_e64 v51, null, s13, v39, vcc_lo
	v_add_co_u32 v42, vcc_lo, s14, v40
	v_add_co_ci_u32_e64 v43, null, s15, v41, vcc_lo
	global_load_dwordx4 v[38:41], v[50:51], off
	global_load_dwordx4 v[42:45], v[42:43], off
	global_load_dwordx4 v[46:49], v[46:47], off offset:16
	v_lshlrev_b64 v[52:53], 4, v[20:21]
	v_add_nc_u32_e32 v20, 16, v32
	v_lshlrev_b64 v[54:55], 4, v[20:21]
	v_add_co_u32 v56, vcc_lo, s14, v52
	v_add_co_ci_u32_e64 v57, null, s15, v53, vcc_lo
	v_add_co_u32 v58, vcc_lo, s12, v54
	v_add_co_ci_u32_e64 v59, null, s13, v55, vcc_lo
	global_load_dwordx4 v[50:53], v[50:51], off offset:16
	global_load_dwordx4 v[54:57], v[56:57], off
	global_load_dwordx4 v[58:61], v[58:59], off
	s_waitcnt vmcnt(7)
	v_fma_f64 v[62:63], v[22:23], v[26:27], v[14:15]
	v_fma_f64 v[64:65], v[24:25], v[26:27], v[12:13]
	s_waitcnt vmcnt(6)
	v_fma_f64 v[66:67], v[34:35], v[26:27], v[16:17]
	v_fma_f64 v[26:27], v[36:37], v[26:27], v[18:19]
	v_fma_f64 v[24:25], -v[24:25], v[28:29], v[62:63]
	v_fma_f64 v[22:23], v[22:23], v[28:29], v[64:65]
	v_fma_f64 v[36:37], -v[36:37], v[28:29], v[66:67]
	v_fma_f64 v[26:27], v[34:35], v[28:29], v[26:27]
	s_waitcnt vmcnt(4)
	v_fma_f64 v[24:25], v[38:39], v[42:43], v[24:25]
	v_fma_f64 v[22:23], v[40:41], v[42:43], v[22:23]
	s_waitcnt vmcnt(3)
	v_fma_f64 v[28:29], v[46:47], v[42:43], v[36:37]
	v_fma_f64 v[26:27], v[48:49], v[42:43], v[26:27]
	v_fma_f64 v[24:25], -v[40:41], v[44:45], v[24:25]
	v_fma_f64 v[22:23], v[38:39], v[44:45], v[22:23]
	v_fma_f64 v[28:29], -v[48:49], v[44:45], v[28:29]
	v_fma_f64 v[26:27], v[46:47], v[44:45], v[26:27]
	;; [unrolled: 10-line block ×3, first 2 shown]
	s_branch .LBB287_19
.LBB287_22:
	s_or_b32 exec_lo, exec_lo, s0
.LBB287_23:
	s_or_b32 exec_lo, exec_lo, s1
.LBB287_24:
	v_mbcnt_lo_u32_b32 v26, -1, 0
	v_or_b32_e32 v10, 32, v26
	v_cmp_gt_i32_e32 vcc_lo, 32, v10
	v_cndmask_b32_e32 v10, v26, v10, vcc_lo
	v_lshlrev_b32_e32 v25, 2, v10
	ds_bpermute_b32 v10, v25, v14
	ds_bpermute_b32 v11, v25, v15
	;; [unrolled: 1-line block ×8, first 2 shown]
	s_waitcnt lgkmcnt(6)
	v_add_f64 v[10:11], v[14:15], v[10:11]
	s_waitcnt lgkmcnt(4)
	v_add_f64 v[12:13], v[12:13], v[20:21]
	v_xor_b32_e32 v20, 16, v26
	s_waitcnt lgkmcnt(2)
	v_add_f64 v[14:15], v[16:17], v[22:23]
	s_waitcnt lgkmcnt(0)
	v_add_f64 v[16:17], v[18:19], v[24:25]
	v_cmp_gt_i32_e32 vcc_lo, 32, v20
	v_cndmask_b32_e32 v18, v26, v20, vcc_lo
	v_lshlrev_b32_e32 v25, 2, v18
	ds_bpermute_b32 v18, v25, v10
	ds_bpermute_b32 v19, v25, v11
	;; [unrolled: 1-line block ×8, first 2 shown]
	s_waitcnt lgkmcnt(6)
	v_add_f64 v[10:11], v[10:11], v[18:19]
	v_xor_b32_e32 v18, 8, v26
	s_waitcnt lgkmcnt(4)
	v_add_f64 v[12:13], v[12:13], v[20:21]
	s_waitcnt lgkmcnt(2)
	v_add_f64 v[14:15], v[14:15], v[22:23]
	;; [unrolled: 2-line block ×3, first 2 shown]
	v_cmp_gt_i32_e32 vcc_lo, 32, v18
	v_cndmask_b32_e32 v18, v26, v18, vcc_lo
	v_lshlrev_b32_e32 v25, 2, v18
	ds_bpermute_b32 v18, v25, v10
	ds_bpermute_b32 v19, v25, v11
	;; [unrolled: 1-line block ×8, first 2 shown]
	s_waitcnt lgkmcnt(6)
	v_add_f64 v[10:11], v[10:11], v[18:19]
	v_xor_b32_e32 v18, 4, v26
	s_waitcnt lgkmcnt(4)
	v_add_f64 v[12:13], v[12:13], v[20:21]
	s_waitcnt lgkmcnt(2)
	v_add_f64 v[14:15], v[14:15], v[22:23]
	;; [unrolled: 2-line block ×3, first 2 shown]
	v_cmp_gt_i32_e32 vcc_lo, 32, v18
	v_cndmask_b32_e32 v18, v26, v18, vcc_lo
	v_lshlrev_b32_e32 v25, 2, v18
	ds_bpermute_b32 v18, v25, v10
	ds_bpermute_b32 v19, v25, v11
	;; [unrolled: 1-line block ×8, first 2 shown]
	s_waitcnt lgkmcnt(6)
	v_add_f64 v[10:11], v[10:11], v[18:19]
	s_waitcnt lgkmcnt(4)
	v_add_f64 v[12:13], v[12:13], v[20:21]
	;; [unrolled: 2-line block ×4, first 2 shown]
	v_xor_b32_e32 v16, 2, v26
	v_cmp_gt_i32_e32 vcc_lo, 32, v16
	v_cndmask_b32_e32 v16, v26, v16, vcc_lo
	v_lshlrev_b32_e32 v25, 2, v16
	ds_bpermute_b32 v16, v25, v10
	ds_bpermute_b32 v17, v25, v11
	;; [unrolled: 1-line block ×8, first 2 shown]
	s_waitcnt lgkmcnt(6)
	v_add_f64 v[10:11], v[10:11], v[16:17]
	s_waitcnt lgkmcnt(4)
	v_add_f64 v[16:17], v[12:13], v[20:21]
	s_waitcnt lgkmcnt(2)
	v_add_f64 v[12:13], v[14:15], v[22:23]
	s_waitcnt lgkmcnt(0)
	v_add_f64 v[14:15], v[18:19], v[24:25]
	v_xor_b32_e32 v18, 1, v26
	v_cmp_gt_i32_e32 vcc_lo, 32, v18
	v_cndmask_b32_e32 v18, v26, v18, vcc_lo
	v_cmp_eq_u32_e32 vcc_lo, 63, v0
	v_lshlrev_b32_e32 v21, 2, v18
	ds_bpermute_b32 v24, v21, v10
	ds_bpermute_b32 v25, v21, v11
	;; [unrolled: 1-line block ×8, first 2 shown]
	s_and_b32 exec_lo, exec_lo, vcc_lo
	s_cbranch_execz .LBB287_29
; %bb.25:
	v_cmp_eq_f64_e32 vcc_lo, 0, v[5:6]
	v_cmp_eq_f64_e64 s0, 0, v[7:8]
	s_waitcnt lgkmcnt(6)
	v_add_f64 v[10:11], v[10:11], v[24:25]
	s_waitcnt lgkmcnt(4)
	v_add_f64 v[16:17], v[16:17], v[22:23]
	;; [unrolled: 2-line block ×4, first 2 shown]
	s_load_dwordx2 s[2:3], s[4:5], 0x48
	s_and_b32 s0, vcc_lo, s0
	s_and_saveexec_b32 s1, s0
	s_xor_b32 s0, exec_lo, s1
	s_cbranch_execz .LBB287_27
; %bb.26:
	v_mul_f64 v[5:6], v[16:17], -v[3:4]
	v_mul_f64 v[7:8], v[1:2], v[16:17]
	v_mul_f64 v[16:17], v[14:15], -v[3:4]
	v_mul_f64 v[14:15], v[1:2], v[14:15]
	v_lshlrev_b32_e32 v9, 1, v9
	v_fma_f64 v[5:6], v[1:2], v[10:11], v[5:6]
	v_fma_f64 v[7:8], v[3:4], v[10:11], v[7:8]
	;; [unrolled: 1-line block ×4, first 2 shown]
	v_ashrrev_i32_e32 v10, 31, v9
                                        ; implicit-def: $vgpr16_vgpr17
                                        ; implicit-def: $vgpr12_vgpr13
                                        ; implicit-def: $vgpr14_vgpr15
	v_lshlrev_b64 v[9:10], 4, v[9:10]
	s_waitcnt lgkmcnt(0)
	v_add_co_u32 v9, vcc_lo, s2, v9
	v_add_co_ci_u32_e64 v10, null, s3, v10, vcc_lo
	global_store_dwordx4 v[9:10], v[5:8], off
	global_store_dwordx4 v[9:10], v[0:3], off offset:16
                                        ; implicit-def: $vgpr9
                                        ; implicit-def: $vgpr10_vgpr11
                                        ; implicit-def: $vgpr7_vgpr8
                                        ; implicit-def: $vgpr3_vgpr4
.LBB287_27:
	s_andn2_saveexec_b32 s0, s0
	s_cbranch_execz .LBB287_29
; %bb.28:
	v_lshlrev_b32_e32 v18, 1, v9
	v_mul_f64 v[28:29], v[16:17], -v[3:4]
	v_mul_f64 v[16:17], v[1:2], v[16:17]
	v_mul_f64 v[30:31], v[14:15], -v[3:4]
	v_mul_f64 v[14:15], v[1:2], v[14:15]
	v_ashrrev_i32_e32 v19, 31, v18
	v_lshlrev_b64 v[18:19], 4, v[18:19]
	s_waitcnt lgkmcnt(0)
	v_add_co_u32 v26, vcc_lo, s2, v18
	v_add_co_ci_u32_e64 v27, null, s3, v19, vcc_lo
	s_clause 0x1
	global_load_dwordx4 v[18:21], v[26:27], off
	global_load_dwordx4 v[22:25], v[26:27], off offset:16
	v_fma_f64 v[28:29], v[1:2], v[10:11], v[28:29]
	v_fma_f64 v[9:10], v[3:4], v[10:11], v[16:17]
	;; [unrolled: 1-line block ×4, first 2 shown]
	s_waitcnt vmcnt(1)
	v_fma_f64 v[11:12], v[5:6], v[18:19], v[28:29]
	v_fma_f64 v[9:10], v[7:8], v[18:19], v[9:10]
	s_waitcnt vmcnt(0)
	v_fma_f64 v[13:14], v[5:6], v[22:23], v[0:1]
	v_fma_f64 v[15:16], v[7:8], v[22:23], v[2:3]
	v_fma_f64 v[0:1], -v[7:8], v[20:21], v[11:12]
	v_fma_f64 v[2:3], v[5:6], v[20:21], v[9:10]
	v_fma_f64 v[7:8], -v[7:8], v[24:25], v[13:14]
	v_fma_f64 v[9:10], v[5:6], v[24:25], v[15:16]
	global_store_dwordx4 v[26:27], v[0:3], off
	global_store_dwordx4 v[26:27], v[7:10], off offset:16
.LBB287_29:
	s_endpgm
	.section	.rodata,"a",@progbits
	.p2align	6, 0x0
	.amdhsa_kernel _ZN9rocsparseL19gebsrmvn_2xn_kernelILj128ELj13ELj64E21rocsparse_complex_numIdEEEvi20rocsparse_direction_NS_24const_host_device_scalarIT2_EEPKiS8_PKS5_SA_S6_PS5_21rocsparse_index_base_b
		.amdhsa_group_segment_fixed_size 0
		.amdhsa_private_segment_fixed_size 0
		.amdhsa_kernarg_size 88
		.amdhsa_user_sgpr_count 6
		.amdhsa_user_sgpr_private_segment_buffer 1
		.amdhsa_user_sgpr_dispatch_ptr 0
		.amdhsa_user_sgpr_queue_ptr 0
		.amdhsa_user_sgpr_kernarg_segment_ptr 1
		.amdhsa_user_sgpr_dispatch_id 0
		.amdhsa_user_sgpr_flat_scratch_init 0
		.amdhsa_user_sgpr_private_segment_size 0
		.amdhsa_wavefront_size32 1
		.amdhsa_uses_dynamic_stack 0
		.amdhsa_system_sgpr_private_segment_wavefront_offset 0
		.amdhsa_system_sgpr_workgroup_id_x 1
		.amdhsa_system_sgpr_workgroup_id_y 0
		.amdhsa_system_sgpr_workgroup_id_z 0
		.amdhsa_system_sgpr_workgroup_info 0
		.amdhsa_system_vgpr_workitem_id 0
		.amdhsa_next_free_vgpr 70
		.amdhsa_next_free_sgpr 16
		.amdhsa_reserve_vcc 1
		.amdhsa_reserve_flat_scratch 0
		.amdhsa_float_round_mode_32 0
		.amdhsa_float_round_mode_16_64 0
		.amdhsa_float_denorm_mode_32 3
		.amdhsa_float_denorm_mode_16_64 3
		.amdhsa_dx10_clamp 1
		.amdhsa_ieee_mode 1
		.amdhsa_fp16_overflow 0
		.amdhsa_workgroup_processor_mode 1
		.amdhsa_memory_ordered 1
		.amdhsa_forward_progress 1
		.amdhsa_shared_vgpr_count 0
		.amdhsa_exception_fp_ieee_invalid_op 0
		.amdhsa_exception_fp_denorm_src 0
		.amdhsa_exception_fp_ieee_div_zero 0
		.amdhsa_exception_fp_ieee_overflow 0
		.amdhsa_exception_fp_ieee_underflow 0
		.amdhsa_exception_fp_ieee_inexact 0
		.amdhsa_exception_int_div_zero 0
	.end_amdhsa_kernel
	.section	.text._ZN9rocsparseL19gebsrmvn_2xn_kernelILj128ELj13ELj64E21rocsparse_complex_numIdEEEvi20rocsparse_direction_NS_24const_host_device_scalarIT2_EEPKiS8_PKS5_SA_S6_PS5_21rocsparse_index_base_b,"axG",@progbits,_ZN9rocsparseL19gebsrmvn_2xn_kernelILj128ELj13ELj64E21rocsparse_complex_numIdEEEvi20rocsparse_direction_NS_24const_host_device_scalarIT2_EEPKiS8_PKS5_SA_S6_PS5_21rocsparse_index_base_b,comdat
.Lfunc_end287:
	.size	_ZN9rocsparseL19gebsrmvn_2xn_kernelILj128ELj13ELj64E21rocsparse_complex_numIdEEEvi20rocsparse_direction_NS_24const_host_device_scalarIT2_EEPKiS8_PKS5_SA_S6_PS5_21rocsparse_index_base_b, .Lfunc_end287-_ZN9rocsparseL19gebsrmvn_2xn_kernelILj128ELj13ELj64E21rocsparse_complex_numIdEEEvi20rocsparse_direction_NS_24const_host_device_scalarIT2_EEPKiS8_PKS5_SA_S6_PS5_21rocsparse_index_base_b
                                        ; -- End function
	.set _ZN9rocsparseL19gebsrmvn_2xn_kernelILj128ELj13ELj64E21rocsparse_complex_numIdEEEvi20rocsparse_direction_NS_24const_host_device_scalarIT2_EEPKiS8_PKS5_SA_S6_PS5_21rocsparse_index_base_b.num_vgpr, 70
	.set _ZN9rocsparseL19gebsrmvn_2xn_kernelILj128ELj13ELj64E21rocsparse_complex_numIdEEEvi20rocsparse_direction_NS_24const_host_device_scalarIT2_EEPKiS8_PKS5_SA_S6_PS5_21rocsparse_index_base_b.num_agpr, 0
	.set _ZN9rocsparseL19gebsrmvn_2xn_kernelILj128ELj13ELj64E21rocsparse_complex_numIdEEEvi20rocsparse_direction_NS_24const_host_device_scalarIT2_EEPKiS8_PKS5_SA_S6_PS5_21rocsparse_index_base_b.numbered_sgpr, 16
	.set _ZN9rocsparseL19gebsrmvn_2xn_kernelILj128ELj13ELj64E21rocsparse_complex_numIdEEEvi20rocsparse_direction_NS_24const_host_device_scalarIT2_EEPKiS8_PKS5_SA_S6_PS5_21rocsparse_index_base_b.num_named_barrier, 0
	.set _ZN9rocsparseL19gebsrmvn_2xn_kernelILj128ELj13ELj64E21rocsparse_complex_numIdEEEvi20rocsparse_direction_NS_24const_host_device_scalarIT2_EEPKiS8_PKS5_SA_S6_PS5_21rocsparse_index_base_b.private_seg_size, 0
	.set _ZN9rocsparseL19gebsrmvn_2xn_kernelILj128ELj13ELj64E21rocsparse_complex_numIdEEEvi20rocsparse_direction_NS_24const_host_device_scalarIT2_EEPKiS8_PKS5_SA_S6_PS5_21rocsparse_index_base_b.uses_vcc, 1
	.set _ZN9rocsparseL19gebsrmvn_2xn_kernelILj128ELj13ELj64E21rocsparse_complex_numIdEEEvi20rocsparse_direction_NS_24const_host_device_scalarIT2_EEPKiS8_PKS5_SA_S6_PS5_21rocsparse_index_base_b.uses_flat_scratch, 0
	.set _ZN9rocsparseL19gebsrmvn_2xn_kernelILj128ELj13ELj64E21rocsparse_complex_numIdEEEvi20rocsparse_direction_NS_24const_host_device_scalarIT2_EEPKiS8_PKS5_SA_S6_PS5_21rocsparse_index_base_b.has_dyn_sized_stack, 0
	.set _ZN9rocsparseL19gebsrmvn_2xn_kernelILj128ELj13ELj64E21rocsparse_complex_numIdEEEvi20rocsparse_direction_NS_24const_host_device_scalarIT2_EEPKiS8_PKS5_SA_S6_PS5_21rocsparse_index_base_b.has_recursion, 0
	.set _ZN9rocsparseL19gebsrmvn_2xn_kernelILj128ELj13ELj64E21rocsparse_complex_numIdEEEvi20rocsparse_direction_NS_24const_host_device_scalarIT2_EEPKiS8_PKS5_SA_S6_PS5_21rocsparse_index_base_b.has_indirect_call, 0
	.section	.AMDGPU.csdata,"",@progbits
; Kernel info:
; codeLenInByte = 3344
; TotalNumSgprs: 18
; NumVgprs: 70
; ScratchSize: 0
; MemoryBound: 0
; FloatMode: 240
; IeeeMode: 1
; LDSByteSize: 0 bytes/workgroup (compile time only)
; SGPRBlocks: 0
; VGPRBlocks: 8
; NumSGPRsForWavesPerEU: 18
; NumVGPRsForWavesPerEU: 70
; Occupancy: 12
; WaveLimiterHint : 1
; COMPUTE_PGM_RSRC2:SCRATCH_EN: 0
; COMPUTE_PGM_RSRC2:USER_SGPR: 6
; COMPUTE_PGM_RSRC2:TRAP_HANDLER: 0
; COMPUTE_PGM_RSRC2:TGID_X_EN: 1
; COMPUTE_PGM_RSRC2:TGID_Y_EN: 0
; COMPUTE_PGM_RSRC2:TGID_Z_EN: 0
; COMPUTE_PGM_RSRC2:TIDIG_COMP_CNT: 0
	.section	.text._ZN9rocsparseL19gebsrmvn_2xn_kernelILj128ELj14ELj4E21rocsparse_complex_numIdEEEvi20rocsparse_direction_NS_24const_host_device_scalarIT2_EEPKiS8_PKS5_SA_S6_PS5_21rocsparse_index_base_b,"axG",@progbits,_ZN9rocsparseL19gebsrmvn_2xn_kernelILj128ELj14ELj4E21rocsparse_complex_numIdEEEvi20rocsparse_direction_NS_24const_host_device_scalarIT2_EEPKiS8_PKS5_SA_S6_PS5_21rocsparse_index_base_b,comdat
	.globl	_ZN9rocsparseL19gebsrmvn_2xn_kernelILj128ELj14ELj4E21rocsparse_complex_numIdEEEvi20rocsparse_direction_NS_24const_host_device_scalarIT2_EEPKiS8_PKS5_SA_S6_PS5_21rocsparse_index_base_b ; -- Begin function _ZN9rocsparseL19gebsrmvn_2xn_kernelILj128ELj14ELj4E21rocsparse_complex_numIdEEEvi20rocsparse_direction_NS_24const_host_device_scalarIT2_EEPKiS8_PKS5_SA_S6_PS5_21rocsparse_index_base_b
	.p2align	8
	.type	_ZN9rocsparseL19gebsrmvn_2xn_kernelILj128ELj14ELj4E21rocsparse_complex_numIdEEEvi20rocsparse_direction_NS_24const_host_device_scalarIT2_EEPKiS8_PKS5_SA_S6_PS5_21rocsparse_index_base_b,@function
_ZN9rocsparseL19gebsrmvn_2xn_kernelILj128ELj14ELj4E21rocsparse_complex_numIdEEEvi20rocsparse_direction_NS_24const_host_device_scalarIT2_EEPKiS8_PKS5_SA_S6_PS5_21rocsparse_index_base_b: ; @_ZN9rocsparseL19gebsrmvn_2xn_kernelILj128ELj14ELj4E21rocsparse_complex_numIdEEEvi20rocsparse_direction_NS_24const_host_device_scalarIT2_EEPKiS8_PKS5_SA_S6_PS5_21rocsparse_index_base_b
; %bb.0:
	s_clause 0x1
	s_load_dwordx2 s[2:3], s[4:5], 0x50
	s_load_dwordx2 s[0:1], s[4:5], 0x8
	s_add_u32 s7, s4, 8
	s_addc_u32 s10, s5, 0
	s_add_u32 s11, s4, 56
	s_addc_u32 s12, s5, 0
	s_load_dwordx2 s[8:9], s[4:5], 0x38
	s_waitcnt lgkmcnt(0)
	s_bitcmp1_b32 s3, 0
	s_cselect_b32 s0, s7, s0
	s_cselect_b32 s1, s10, s1
	v_mov_b32_e32 v1, s0
	v_mov_b32_e32 v2, s1
	s_cselect_b32 s0, s11, s8
	s_cselect_b32 s1, s12, s9
	v_mov_b32_e32 v5, s0
	v_mov_b32_e32 v6, s1
	flat_load_dwordx4 v[1:4], v[1:2]
	flat_load_dwordx4 v[5:8], v[5:6]
	s_waitcnt vmcnt(1) lgkmcnt(1)
	v_cmp_eq_f64_e32 vcc_lo, 0, v[1:2]
	v_cmp_eq_f64_e64 s0, 0, v[3:4]
	s_and_b32 s3, vcc_lo, s0
	s_mov_b32 s0, -1
	s_and_saveexec_b32 s1, s3
	s_cbranch_execz .LBB288_2
; %bb.1:
	s_waitcnt vmcnt(0) lgkmcnt(0)
	v_cmp_neq_f64_e32 vcc_lo, 1.0, v[5:6]
	v_cmp_neq_f64_e64 s0, 0, v[7:8]
	s_or_b32 s0, vcc_lo, s0
	s_orn2_b32 s0, s0, exec_lo
.LBB288_2:
	s_or_b32 exec_lo, exec_lo, s1
	s_and_saveexec_b32 s1, s0
	s_cbranch_execz .LBB288_25
; %bb.3:
	s_load_dwordx2 s[0:1], s[4:5], 0x0
	v_lshrrev_b32_e32 v9, 2, v0
	v_lshl_or_b32 v9, s6, 5, v9
	s_waitcnt lgkmcnt(0)
	v_cmp_gt_i32_e32 vcc_lo, s0, v9
	s_and_b32 exec_lo, exec_lo, vcc_lo
	s_cbranch_execz .LBB288_25
; %bb.4:
	s_load_dwordx8 s[8:15], s[4:5], 0x18
	v_ashrrev_i32_e32 v10, 31, v9
	v_and_b32_e32 v0, 3, v0
	s_cmp_lg_u32 s1, 0
	v_lshlrev_b64 v[10:11], 2, v[9:10]
	s_waitcnt lgkmcnt(0)
	v_add_co_u32 v10, vcc_lo, s8, v10
	v_add_co_ci_u32_e64 v11, null, s9, v11, vcc_lo
	global_load_dwordx2 v[11:12], v[10:11], off
	s_waitcnt vmcnt(0)
	v_subrev_nc_u32_e32 v10, s2, v11
	v_subrev_nc_u32_e32 v24, s2, v12
	v_add_nc_u32_e32 v10, v10, v0
	v_cmp_lt_i32_e64 s0, v10, v24
	s_cbranch_scc0 .LBB288_12
; %bb.5:
	v_mov_b32_e32 v12, 0
	v_mov_b32_e32 v18, 0
	;; [unrolled: 1-line block ×8, first 2 shown]
	s_and_saveexec_b32 s1, s0
	s_cbranch_execz .LBB288_11
; %bb.6:
	v_mul_lo_u32 v25, v10, 28
	v_mov_b32_e32 v12, 0
	v_mov_b32_e32 v18, 0
	;; [unrolled: 1-line block ×10, first 2 shown]
	s_mov_b32 s3, 0
.LBB288_7:                              ; =>This Loop Header: Depth=1
                                        ;     Child Loop BB288_8 Depth 2
	v_ashrrev_i32_e32 v23, 31, v22
	s_mov_b32 s6, 0
	v_lshlrev_b64 v[26:27], 2, v[22:23]
	v_add_co_u32 v26, vcc_lo, s10, v26
	v_add_co_ci_u32_e64 v27, null, s11, v27, vcc_lo
	global_load_dword v20, v[26:27], off
	s_waitcnt vmcnt(0)
	v_subrev_nc_u32_e32 v20, s2, v20
	v_mul_lo_u32 v23, v20, 14
	v_mov_b32_e32 v20, v25
.LBB288_8:                              ;   Parent Loop BB288_7 Depth=1
                                        ; =>  This Inner Loop Header: Depth=2
	v_add_nc_u32_e32 v26, s6, v23
	v_mov_b32_e32 v27, v21
	v_lshlrev_b64 v[28:29], 4, v[20:21]
	v_add_nc_u32_e32 v20, 4, v20
	s_add_i32 s6, s6, 2
	v_lshlrev_b64 v[26:27], 4, v[26:27]
	s_cmp_eq_u32 s6, 14
	v_add_co_u32 v46, vcc_lo, s12, v28
	v_add_co_ci_u32_e64 v47, null, s13, v29, vcc_lo
	v_add_co_u32 v38, vcc_lo, s14, v26
	v_add_co_ci_u32_e64 v39, null, s15, v27, vcc_lo
	s_clause 0x1
	global_load_dwordx4 v[26:29], v[46:47], off offset:16
	global_load_dwordx4 v[30:33], v[46:47], off
	s_clause 0x1
	global_load_dwordx4 v[34:37], v[38:39], off
	global_load_dwordx4 v[38:41], v[38:39], off offset:16
	s_clause 0x1
	global_load_dwordx4 v[42:45], v[46:47], off offset:32
	global_load_dwordx4 v[46:49], v[46:47], off offset:48
	s_waitcnt vmcnt(3)
	v_fma_f64 v[18:19], v[30:31], v[34:35], v[18:19]
	v_fma_f64 v[12:13], v[32:33], v[34:35], v[12:13]
	;; [unrolled: 1-line block ×4, first 2 shown]
	v_fma_f64 v[18:19], -v[32:33], v[36:37], v[18:19]
	v_fma_f64 v[12:13], v[30:31], v[36:37], v[12:13]
	v_fma_f64 v[16:17], -v[28:29], v[36:37], v[16:17]
	v_fma_f64 v[14:15], v[26:27], v[36:37], v[14:15]
	s_waitcnt vmcnt(1)
	v_fma_f64 v[18:19], v[42:43], v[38:39], v[18:19]
	v_fma_f64 v[12:13], v[44:45], v[38:39], v[12:13]
	s_waitcnt vmcnt(0)
	v_fma_f64 v[16:17], v[46:47], v[38:39], v[16:17]
	v_fma_f64 v[14:15], v[48:49], v[38:39], v[14:15]
	v_fma_f64 v[18:19], -v[44:45], v[40:41], v[18:19]
	v_fma_f64 v[12:13], v[42:43], v[40:41], v[12:13]
	v_fma_f64 v[16:17], -v[48:49], v[40:41], v[16:17]
	v_fma_f64 v[14:15], v[46:47], v[40:41], v[14:15]
	s_cbranch_scc0 .LBB288_8
; %bb.9:                                ;   in Loop: Header=BB288_7 Depth=1
	v_add_nc_u32_e32 v22, 4, v22
	v_add_nc_u32_e32 v25, 0x70, v25
	v_cmp_ge_i32_e32 vcc_lo, v22, v24
	s_or_b32 s3, vcc_lo, s3
	s_andn2_b32 exec_lo, exec_lo, s3
	s_cbranch_execnz .LBB288_7
; %bb.10:
	s_or_b32 exec_lo, exec_lo, s3
.LBB288_11:
	s_or_b32 exec_lo, exec_lo, s1
	s_cbranch_execz .LBB288_13
	s_branch .LBB288_20
.LBB288_12:
                                        ; implicit-def: $vgpr12_vgpr13
                                        ; implicit-def: $vgpr18_vgpr19
                                        ; implicit-def: $vgpr16_vgpr17
                                        ; implicit-def: $vgpr14_vgpr15
.LBB288_13:
	v_mov_b32_e32 v12, 0
	v_mov_b32_e32 v18, 0
	;; [unrolled: 1-line block ×8, first 2 shown]
	s_and_saveexec_b32 s1, s0
	s_cbranch_execz .LBB288_19
; %bb.14:
	v_mul_lo_u32 v11, v11, 28
	v_mul_lo_u32 v22, v10, 28
	s_mul_i32 s0, s2, 28
	v_mov_b32_e32 v12, 0
	v_mov_b32_e32 v18, 0
	;; [unrolled: 1-line block ×5, first 2 shown]
	v_mad_u32_u24 v11, v0, 28, v11
	v_mov_b32_e32 v19, 0
	v_mov_b32_e32 v17, 0
	;; [unrolled: 1-line block ×4, first 2 shown]
	v_subrev_nc_u32_e32 v23, s0, v11
	s_mov_b32 s0, 0
.LBB288_15:                             ; =>This Loop Header: Depth=1
                                        ;     Child Loop BB288_16 Depth 2
	v_ashrrev_i32_e32 v11, 31, v10
	s_mov_b32 s3, 0
	v_lshlrev_b64 v[25:26], 2, v[10:11]
	v_add_co_u32 v25, vcc_lo, s10, v25
	v_add_co_ci_u32_e64 v26, null, s11, v26, vcc_lo
	global_load_dword v11, v[25:26], off
	s_waitcnt vmcnt(0)
	v_subrev_nc_u32_e32 v11, s2, v11
	v_mul_lo_u32 v11, v11, 14
.LBB288_16:                             ;   Parent Loop BB288_15 Depth=1
                                        ; =>  This Inner Loop Header: Depth=2
	v_add_nc_u32_e32 v20, s3, v23
	v_lshlrev_b64 v[25:26], 4, v[20:21]
	v_add_nc_u32_e32 v20, s3, v11
	v_lshlrev_b64 v[29:30], 4, v[20:21]
	v_add3_u32 v20, v22, s3, 14
	v_add_co_u32 v31, vcc_lo, s12, v25
	v_add_co_ci_u32_e64 v32, null, s13, v26, vcc_lo
	v_lshlrev_b64 v[33:34], 4, v[20:21]
	v_add_co_u32 v37, vcc_lo, s14, v29
	v_add_co_ci_u32_e64 v38, null, s15, v30, vcc_lo
	global_load_dwordx4 v[25:28], v[31:32], off offset:16
	v_add_co_u32 v45, vcc_lo, s12, v33
	v_add_co_ci_u32_e64 v46, null, s13, v34, vcc_lo
	global_load_dwordx4 v[29:32], v[31:32], off
	s_clause 0x1
	global_load_dwordx4 v[33:36], v[37:38], off
	global_load_dwordx4 v[37:40], v[37:38], off offset:16
	s_clause 0x1
	global_load_dwordx4 v[41:44], v[45:46], off
	global_load_dwordx4 v[45:48], v[45:46], off offset:16
	s_add_i32 s3, s3, 2
	s_cmp_eq_u32 s3, 14
	s_waitcnt vmcnt(3)
	v_fma_f64 v[18:19], v[29:30], v[33:34], v[18:19]
	v_fma_f64 v[12:13], v[31:32], v[33:34], v[12:13]
	s_waitcnt vmcnt(1)
	v_fma_f64 v[16:17], v[41:42], v[33:34], v[16:17]
	v_fma_f64 v[14:15], v[43:44], v[33:34], v[14:15]
	v_fma_f64 v[18:19], -v[31:32], v[35:36], v[18:19]
	v_fma_f64 v[12:13], v[29:30], v[35:36], v[12:13]
	v_fma_f64 v[16:17], -v[43:44], v[35:36], v[16:17]
	v_fma_f64 v[14:15], v[41:42], v[35:36], v[14:15]
	v_fma_f64 v[18:19], v[25:26], v[37:38], v[18:19]
	;; [unrolled: 1-line block ×3, first 2 shown]
	s_waitcnt vmcnt(0)
	v_fma_f64 v[16:17], v[45:46], v[37:38], v[16:17]
	v_fma_f64 v[14:15], v[47:48], v[37:38], v[14:15]
	v_fma_f64 v[18:19], -v[27:28], v[39:40], v[18:19]
	v_fma_f64 v[12:13], v[25:26], v[39:40], v[12:13]
	v_fma_f64 v[16:17], -v[47:48], v[39:40], v[16:17]
	v_fma_f64 v[14:15], v[45:46], v[39:40], v[14:15]
	s_cbranch_scc0 .LBB288_16
; %bb.17:                               ;   in Loop: Header=BB288_15 Depth=1
	v_add_nc_u32_e32 v10, 4, v10
	v_add_nc_u32_e32 v22, 0x70, v22
	;; [unrolled: 1-line block ×3, first 2 shown]
	v_cmp_ge_i32_e32 vcc_lo, v10, v24
	s_or_b32 s0, vcc_lo, s0
	s_andn2_b32 exec_lo, exec_lo, s0
	s_cbranch_execnz .LBB288_15
; %bb.18:
	s_or_b32 exec_lo, exec_lo, s0
.LBB288_19:
	s_or_b32 exec_lo, exec_lo, s1
.LBB288_20:
	v_mbcnt_lo_u32_b32 v26, -1, 0
	v_xor_b32_e32 v10, 2, v26
	v_cmp_gt_i32_e32 vcc_lo, 32, v10
	v_cndmask_b32_e32 v10, v26, v10, vcc_lo
	v_lshlrev_b32_e32 v25, 2, v10
	ds_bpermute_b32 v10, v25, v18
	ds_bpermute_b32 v11, v25, v19
	;; [unrolled: 1-line block ×8, first 2 shown]
	s_waitcnt lgkmcnt(6)
	v_add_f64 v[10:11], v[18:19], v[10:11]
	s_waitcnt lgkmcnt(4)
	v_add_f64 v[18:19], v[12:13], v[20:21]
	;; [unrolled: 2-line block ×3, first 2 shown]
	v_xor_b32_e32 v16, 1, v26
	s_waitcnt lgkmcnt(0)
	v_add_f64 v[14:15], v[14:15], v[24:25]
	v_cmp_gt_i32_e32 vcc_lo, 32, v16
	v_cndmask_b32_e32 v16, v26, v16, vcc_lo
	v_cmp_eq_u32_e32 vcc_lo, 3, v0
	v_lshlrev_b32_e32 v23, 2, v16
	ds_bpermute_b32 v24, v23, v10
	ds_bpermute_b32 v25, v23, v11
	;; [unrolled: 1-line block ×8, first 2 shown]
	s_and_b32 exec_lo, exec_lo, vcc_lo
	s_cbranch_execz .LBB288_25
; %bb.21:
	v_cmp_eq_f64_e32 vcc_lo, 0, v[5:6]
	v_cmp_eq_f64_e64 s0, 0, v[7:8]
	s_waitcnt lgkmcnt(6)
	v_add_f64 v[10:11], v[10:11], v[24:25]
	s_waitcnt lgkmcnt(4)
	v_add_f64 v[16:17], v[18:19], v[16:17]
	;; [unrolled: 2-line block ×4, first 2 shown]
	s_load_dwordx2 s[2:3], s[4:5], 0x48
	s_and_b32 s0, vcc_lo, s0
	s_and_saveexec_b32 s1, s0
	s_xor_b32 s0, exec_lo, s1
	s_cbranch_execz .LBB288_23
; %bb.22:
	v_mul_f64 v[5:6], v[16:17], -v[3:4]
	v_mul_f64 v[7:8], v[1:2], v[16:17]
	v_mul_f64 v[16:17], v[14:15], -v[3:4]
	v_mul_f64 v[14:15], v[1:2], v[14:15]
	v_lshlrev_b32_e32 v9, 1, v9
	v_fma_f64 v[5:6], v[1:2], v[10:11], v[5:6]
	v_fma_f64 v[7:8], v[3:4], v[10:11], v[7:8]
	;; [unrolled: 1-line block ×4, first 2 shown]
	v_ashrrev_i32_e32 v10, 31, v9
                                        ; implicit-def: $vgpr16_vgpr17
                                        ; implicit-def: $vgpr12_vgpr13
                                        ; implicit-def: $vgpr14_vgpr15
	v_lshlrev_b64 v[9:10], 4, v[9:10]
	s_waitcnt lgkmcnt(0)
	v_add_co_u32 v9, vcc_lo, s2, v9
	v_add_co_ci_u32_e64 v10, null, s3, v10, vcc_lo
	global_store_dwordx4 v[9:10], v[5:8], off
	global_store_dwordx4 v[9:10], v[0:3], off offset:16
                                        ; implicit-def: $vgpr9
                                        ; implicit-def: $vgpr10_vgpr11
                                        ; implicit-def: $vgpr7_vgpr8
                                        ; implicit-def: $vgpr3_vgpr4
.LBB288_23:
	s_andn2_saveexec_b32 s0, s0
	s_cbranch_execz .LBB288_25
; %bb.24:
	v_lshlrev_b32_e32 v18, 1, v9
	v_mul_f64 v[28:29], v[16:17], -v[3:4]
	v_mul_f64 v[16:17], v[1:2], v[16:17]
	v_mul_f64 v[30:31], v[14:15], -v[3:4]
	v_mul_f64 v[14:15], v[1:2], v[14:15]
	v_ashrrev_i32_e32 v19, 31, v18
	v_lshlrev_b64 v[18:19], 4, v[18:19]
	s_waitcnt lgkmcnt(0)
	v_add_co_u32 v26, vcc_lo, s2, v18
	v_add_co_ci_u32_e64 v27, null, s3, v19, vcc_lo
	s_clause 0x1
	global_load_dwordx4 v[18:21], v[26:27], off
	global_load_dwordx4 v[22:25], v[26:27], off offset:16
	v_fma_f64 v[28:29], v[1:2], v[10:11], v[28:29]
	v_fma_f64 v[9:10], v[3:4], v[10:11], v[16:17]
	;; [unrolled: 1-line block ×4, first 2 shown]
	s_waitcnt vmcnt(1)
	v_fma_f64 v[11:12], v[5:6], v[18:19], v[28:29]
	v_fma_f64 v[9:10], v[7:8], v[18:19], v[9:10]
	s_waitcnt vmcnt(0)
	v_fma_f64 v[13:14], v[5:6], v[22:23], v[0:1]
	v_fma_f64 v[15:16], v[7:8], v[22:23], v[2:3]
	v_fma_f64 v[0:1], -v[7:8], v[20:21], v[11:12]
	v_fma_f64 v[2:3], v[5:6], v[20:21], v[9:10]
	v_fma_f64 v[7:8], -v[7:8], v[24:25], v[13:14]
	v_fma_f64 v[9:10], v[5:6], v[24:25], v[15:16]
	global_store_dwordx4 v[26:27], v[0:3], off
	global_store_dwordx4 v[26:27], v[7:10], off offset:16
.LBB288_25:
	s_endpgm
	.section	.rodata,"a",@progbits
	.p2align	6, 0x0
	.amdhsa_kernel _ZN9rocsparseL19gebsrmvn_2xn_kernelILj128ELj14ELj4E21rocsparse_complex_numIdEEEvi20rocsparse_direction_NS_24const_host_device_scalarIT2_EEPKiS8_PKS5_SA_S6_PS5_21rocsparse_index_base_b
		.amdhsa_group_segment_fixed_size 0
		.amdhsa_private_segment_fixed_size 0
		.amdhsa_kernarg_size 88
		.amdhsa_user_sgpr_count 6
		.amdhsa_user_sgpr_private_segment_buffer 1
		.amdhsa_user_sgpr_dispatch_ptr 0
		.amdhsa_user_sgpr_queue_ptr 0
		.amdhsa_user_sgpr_kernarg_segment_ptr 1
		.amdhsa_user_sgpr_dispatch_id 0
		.amdhsa_user_sgpr_flat_scratch_init 0
		.amdhsa_user_sgpr_private_segment_size 0
		.amdhsa_wavefront_size32 1
		.amdhsa_uses_dynamic_stack 0
		.amdhsa_system_sgpr_private_segment_wavefront_offset 0
		.amdhsa_system_sgpr_workgroup_id_x 1
		.amdhsa_system_sgpr_workgroup_id_y 0
		.amdhsa_system_sgpr_workgroup_id_z 0
		.amdhsa_system_sgpr_workgroup_info 0
		.amdhsa_system_vgpr_workitem_id 0
		.amdhsa_next_free_vgpr 50
		.amdhsa_next_free_sgpr 16
		.amdhsa_reserve_vcc 1
		.amdhsa_reserve_flat_scratch 0
		.amdhsa_float_round_mode_32 0
		.amdhsa_float_round_mode_16_64 0
		.amdhsa_float_denorm_mode_32 3
		.amdhsa_float_denorm_mode_16_64 3
		.amdhsa_dx10_clamp 1
		.amdhsa_ieee_mode 1
		.amdhsa_fp16_overflow 0
		.amdhsa_workgroup_processor_mode 1
		.amdhsa_memory_ordered 1
		.amdhsa_forward_progress 1
		.amdhsa_shared_vgpr_count 0
		.amdhsa_exception_fp_ieee_invalid_op 0
		.amdhsa_exception_fp_denorm_src 0
		.amdhsa_exception_fp_ieee_div_zero 0
		.amdhsa_exception_fp_ieee_overflow 0
		.amdhsa_exception_fp_ieee_underflow 0
		.amdhsa_exception_fp_ieee_inexact 0
		.amdhsa_exception_int_div_zero 0
	.end_amdhsa_kernel
	.section	.text._ZN9rocsparseL19gebsrmvn_2xn_kernelILj128ELj14ELj4E21rocsparse_complex_numIdEEEvi20rocsparse_direction_NS_24const_host_device_scalarIT2_EEPKiS8_PKS5_SA_S6_PS5_21rocsparse_index_base_b,"axG",@progbits,_ZN9rocsparseL19gebsrmvn_2xn_kernelILj128ELj14ELj4E21rocsparse_complex_numIdEEEvi20rocsparse_direction_NS_24const_host_device_scalarIT2_EEPKiS8_PKS5_SA_S6_PS5_21rocsparse_index_base_b,comdat
.Lfunc_end288:
	.size	_ZN9rocsparseL19gebsrmvn_2xn_kernelILj128ELj14ELj4E21rocsparse_complex_numIdEEEvi20rocsparse_direction_NS_24const_host_device_scalarIT2_EEPKiS8_PKS5_SA_S6_PS5_21rocsparse_index_base_b, .Lfunc_end288-_ZN9rocsparseL19gebsrmvn_2xn_kernelILj128ELj14ELj4E21rocsparse_complex_numIdEEEvi20rocsparse_direction_NS_24const_host_device_scalarIT2_EEPKiS8_PKS5_SA_S6_PS5_21rocsparse_index_base_b
                                        ; -- End function
	.set _ZN9rocsparseL19gebsrmvn_2xn_kernelILj128ELj14ELj4E21rocsparse_complex_numIdEEEvi20rocsparse_direction_NS_24const_host_device_scalarIT2_EEPKiS8_PKS5_SA_S6_PS5_21rocsparse_index_base_b.num_vgpr, 50
	.set _ZN9rocsparseL19gebsrmvn_2xn_kernelILj128ELj14ELj4E21rocsparse_complex_numIdEEEvi20rocsparse_direction_NS_24const_host_device_scalarIT2_EEPKiS8_PKS5_SA_S6_PS5_21rocsparse_index_base_b.num_agpr, 0
	.set _ZN9rocsparseL19gebsrmvn_2xn_kernelILj128ELj14ELj4E21rocsparse_complex_numIdEEEvi20rocsparse_direction_NS_24const_host_device_scalarIT2_EEPKiS8_PKS5_SA_S6_PS5_21rocsparse_index_base_b.numbered_sgpr, 16
	.set _ZN9rocsparseL19gebsrmvn_2xn_kernelILj128ELj14ELj4E21rocsparse_complex_numIdEEEvi20rocsparse_direction_NS_24const_host_device_scalarIT2_EEPKiS8_PKS5_SA_S6_PS5_21rocsparse_index_base_b.num_named_barrier, 0
	.set _ZN9rocsparseL19gebsrmvn_2xn_kernelILj128ELj14ELj4E21rocsparse_complex_numIdEEEvi20rocsparse_direction_NS_24const_host_device_scalarIT2_EEPKiS8_PKS5_SA_S6_PS5_21rocsparse_index_base_b.private_seg_size, 0
	.set _ZN9rocsparseL19gebsrmvn_2xn_kernelILj128ELj14ELj4E21rocsparse_complex_numIdEEEvi20rocsparse_direction_NS_24const_host_device_scalarIT2_EEPKiS8_PKS5_SA_S6_PS5_21rocsparse_index_base_b.uses_vcc, 1
	.set _ZN9rocsparseL19gebsrmvn_2xn_kernelILj128ELj14ELj4E21rocsparse_complex_numIdEEEvi20rocsparse_direction_NS_24const_host_device_scalarIT2_EEPKiS8_PKS5_SA_S6_PS5_21rocsparse_index_base_b.uses_flat_scratch, 0
	.set _ZN9rocsparseL19gebsrmvn_2xn_kernelILj128ELj14ELj4E21rocsparse_complex_numIdEEEvi20rocsparse_direction_NS_24const_host_device_scalarIT2_EEPKiS8_PKS5_SA_S6_PS5_21rocsparse_index_base_b.has_dyn_sized_stack, 0
	.set _ZN9rocsparseL19gebsrmvn_2xn_kernelILj128ELj14ELj4E21rocsparse_complex_numIdEEEvi20rocsparse_direction_NS_24const_host_device_scalarIT2_EEPKiS8_PKS5_SA_S6_PS5_21rocsparse_index_base_b.has_recursion, 0
	.set _ZN9rocsparseL19gebsrmvn_2xn_kernelILj128ELj14ELj4E21rocsparse_complex_numIdEEEvi20rocsparse_direction_NS_24const_host_device_scalarIT2_EEPKiS8_PKS5_SA_S6_PS5_21rocsparse_index_base_b.has_indirect_call, 0
	.section	.AMDGPU.csdata,"",@progbits
; Kernel info:
; codeLenInByte = 1912
; TotalNumSgprs: 18
; NumVgprs: 50
; ScratchSize: 0
; MemoryBound: 0
; FloatMode: 240
; IeeeMode: 1
; LDSByteSize: 0 bytes/workgroup (compile time only)
; SGPRBlocks: 0
; VGPRBlocks: 6
; NumSGPRsForWavesPerEU: 18
; NumVGPRsForWavesPerEU: 50
; Occupancy: 16
; WaveLimiterHint : 1
; COMPUTE_PGM_RSRC2:SCRATCH_EN: 0
; COMPUTE_PGM_RSRC2:USER_SGPR: 6
; COMPUTE_PGM_RSRC2:TRAP_HANDLER: 0
; COMPUTE_PGM_RSRC2:TGID_X_EN: 1
; COMPUTE_PGM_RSRC2:TGID_Y_EN: 0
; COMPUTE_PGM_RSRC2:TGID_Z_EN: 0
; COMPUTE_PGM_RSRC2:TIDIG_COMP_CNT: 0
	.section	.text._ZN9rocsparseL19gebsrmvn_2xn_kernelILj128ELj14ELj8E21rocsparse_complex_numIdEEEvi20rocsparse_direction_NS_24const_host_device_scalarIT2_EEPKiS8_PKS5_SA_S6_PS5_21rocsparse_index_base_b,"axG",@progbits,_ZN9rocsparseL19gebsrmvn_2xn_kernelILj128ELj14ELj8E21rocsparse_complex_numIdEEEvi20rocsparse_direction_NS_24const_host_device_scalarIT2_EEPKiS8_PKS5_SA_S6_PS5_21rocsparse_index_base_b,comdat
	.globl	_ZN9rocsparseL19gebsrmvn_2xn_kernelILj128ELj14ELj8E21rocsparse_complex_numIdEEEvi20rocsparse_direction_NS_24const_host_device_scalarIT2_EEPKiS8_PKS5_SA_S6_PS5_21rocsparse_index_base_b ; -- Begin function _ZN9rocsparseL19gebsrmvn_2xn_kernelILj128ELj14ELj8E21rocsparse_complex_numIdEEEvi20rocsparse_direction_NS_24const_host_device_scalarIT2_EEPKiS8_PKS5_SA_S6_PS5_21rocsparse_index_base_b
	.p2align	8
	.type	_ZN9rocsparseL19gebsrmvn_2xn_kernelILj128ELj14ELj8E21rocsparse_complex_numIdEEEvi20rocsparse_direction_NS_24const_host_device_scalarIT2_EEPKiS8_PKS5_SA_S6_PS5_21rocsparse_index_base_b,@function
_ZN9rocsparseL19gebsrmvn_2xn_kernelILj128ELj14ELj8E21rocsparse_complex_numIdEEEvi20rocsparse_direction_NS_24const_host_device_scalarIT2_EEPKiS8_PKS5_SA_S6_PS5_21rocsparse_index_base_b: ; @_ZN9rocsparseL19gebsrmvn_2xn_kernelILj128ELj14ELj8E21rocsparse_complex_numIdEEEvi20rocsparse_direction_NS_24const_host_device_scalarIT2_EEPKiS8_PKS5_SA_S6_PS5_21rocsparse_index_base_b
; %bb.0:
	s_clause 0x1
	s_load_dwordx2 s[2:3], s[4:5], 0x50
	s_load_dwordx2 s[0:1], s[4:5], 0x8
	s_add_u32 s7, s4, 8
	s_addc_u32 s10, s5, 0
	s_add_u32 s11, s4, 56
	s_addc_u32 s12, s5, 0
	s_load_dwordx2 s[8:9], s[4:5], 0x38
	s_waitcnt lgkmcnt(0)
	s_bitcmp1_b32 s3, 0
	s_cselect_b32 s0, s7, s0
	s_cselect_b32 s1, s10, s1
	v_mov_b32_e32 v1, s0
	v_mov_b32_e32 v2, s1
	s_cselect_b32 s0, s11, s8
	s_cselect_b32 s1, s12, s9
	v_mov_b32_e32 v5, s0
	v_mov_b32_e32 v6, s1
	flat_load_dwordx4 v[1:4], v[1:2]
	flat_load_dwordx4 v[5:8], v[5:6]
	s_waitcnt vmcnt(1) lgkmcnt(1)
	v_cmp_eq_f64_e32 vcc_lo, 0, v[1:2]
	v_cmp_eq_f64_e64 s0, 0, v[3:4]
	s_and_b32 s3, vcc_lo, s0
	s_mov_b32 s0, -1
	s_and_saveexec_b32 s1, s3
	s_cbranch_execz .LBB289_2
; %bb.1:
	s_waitcnt vmcnt(0) lgkmcnt(0)
	v_cmp_neq_f64_e32 vcc_lo, 1.0, v[5:6]
	v_cmp_neq_f64_e64 s0, 0, v[7:8]
	s_or_b32 s0, vcc_lo, s0
	s_orn2_b32 s0, s0, exec_lo
.LBB289_2:
	s_or_b32 exec_lo, exec_lo, s1
	s_and_saveexec_b32 s1, s0
	s_cbranch_execz .LBB289_25
; %bb.3:
	s_load_dwordx2 s[0:1], s[4:5], 0x0
	v_lshrrev_b32_e32 v9, 3, v0
	v_lshl_or_b32 v9, s6, 4, v9
	s_waitcnt lgkmcnt(0)
	v_cmp_gt_i32_e32 vcc_lo, s0, v9
	s_and_b32 exec_lo, exec_lo, vcc_lo
	s_cbranch_execz .LBB289_25
; %bb.4:
	s_load_dwordx8 s[8:15], s[4:5], 0x18
	v_ashrrev_i32_e32 v10, 31, v9
	v_and_b32_e32 v0, 7, v0
	s_cmp_lg_u32 s1, 0
	v_lshlrev_b64 v[10:11], 2, v[9:10]
	s_waitcnt lgkmcnt(0)
	v_add_co_u32 v10, vcc_lo, s8, v10
	v_add_co_ci_u32_e64 v11, null, s9, v11, vcc_lo
	global_load_dwordx2 v[15:16], v[10:11], off
	s_waitcnt vmcnt(0)
	v_subrev_nc_u32_e32 v10, s2, v15
	v_subrev_nc_u32_e32 v24, s2, v16
	v_add_nc_u32_e32 v14, v10, v0
	v_cmp_lt_i32_e64 s0, v14, v24
	s_cbranch_scc0 .LBB289_12
; %bb.5:
	v_mov_b32_e32 v10, 0
	v_mov_b32_e32 v18, 0
	;; [unrolled: 1-line block ×8, first 2 shown]
	s_and_saveexec_b32 s1, s0
	s_cbranch_execz .LBB289_11
; %bb.6:
	v_mul_lo_u32 v25, v14, 28
	v_mov_b32_e32 v10, 0
	v_mov_b32_e32 v18, 0
	;; [unrolled: 1-line block ×10, first 2 shown]
	s_mov_b32 s3, 0
.LBB289_7:                              ; =>This Loop Header: Depth=1
                                        ;     Child Loop BB289_8 Depth 2
	v_ashrrev_i32_e32 v23, 31, v22
	s_mov_b32 s6, 0
	v_lshlrev_b64 v[26:27], 2, v[22:23]
	v_add_co_u32 v26, vcc_lo, s10, v26
	v_add_co_ci_u32_e64 v27, null, s11, v27, vcc_lo
	global_load_dword v20, v[26:27], off
	s_waitcnt vmcnt(0)
	v_subrev_nc_u32_e32 v20, s2, v20
	v_mul_lo_u32 v23, v20, 14
	v_mov_b32_e32 v20, v25
.LBB289_8:                              ;   Parent Loop BB289_7 Depth=1
                                        ; =>  This Inner Loop Header: Depth=2
	v_add_nc_u32_e32 v26, s6, v23
	v_mov_b32_e32 v27, v21
	v_lshlrev_b64 v[28:29], 4, v[20:21]
	v_add_nc_u32_e32 v20, 4, v20
	s_add_i32 s6, s6, 2
	v_lshlrev_b64 v[26:27], 4, v[26:27]
	s_cmp_eq_u32 s6, 14
	v_add_co_u32 v46, vcc_lo, s12, v28
	v_add_co_ci_u32_e64 v47, null, s13, v29, vcc_lo
	v_add_co_u32 v38, vcc_lo, s14, v26
	v_add_co_ci_u32_e64 v39, null, s15, v27, vcc_lo
	s_clause 0x1
	global_load_dwordx4 v[26:29], v[46:47], off offset:16
	global_load_dwordx4 v[30:33], v[46:47], off
	s_clause 0x1
	global_load_dwordx4 v[34:37], v[38:39], off
	global_load_dwordx4 v[38:41], v[38:39], off offset:16
	s_clause 0x1
	global_load_dwordx4 v[42:45], v[46:47], off offset:32
	global_load_dwordx4 v[46:49], v[46:47], off offset:48
	s_waitcnt vmcnt(3)
	v_fma_f64 v[18:19], v[30:31], v[34:35], v[18:19]
	v_fma_f64 v[10:11], v[32:33], v[34:35], v[10:11]
	;; [unrolled: 1-line block ×4, first 2 shown]
	v_fma_f64 v[18:19], -v[32:33], v[36:37], v[18:19]
	v_fma_f64 v[10:11], v[30:31], v[36:37], v[10:11]
	v_fma_f64 v[16:17], -v[28:29], v[36:37], v[16:17]
	v_fma_f64 v[12:13], v[26:27], v[36:37], v[12:13]
	s_waitcnt vmcnt(1)
	v_fma_f64 v[18:19], v[42:43], v[38:39], v[18:19]
	v_fma_f64 v[10:11], v[44:45], v[38:39], v[10:11]
	s_waitcnt vmcnt(0)
	v_fma_f64 v[16:17], v[46:47], v[38:39], v[16:17]
	v_fma_f64 v[12:13], v[48:49], v[38:39], v[12:13]
	v_fma_f64 v[18:19], -v[44:45], v[40:41], v[18:19]
	v_fma_f64 v[10:11], v[42:43], v[40:41], v[10:11]
	v_fma_f64 v[16:17], -v[48:49], v[40:41], v[16:17]
	v_fma_f64 v[12:13], v[46:47], v[40:41], v[12:13]
	s_cbranch_scc0 .LBB289_8
; %bb.9:                                ;   in Loop: Header=BB289_7 Depth=1
	v_add_nc_u32_e32 v22, 8, v22
	v_add_nc_u32_e32 v25, 0xe0, v25
	v_cmp_ge_i32_e32 vcc_lo, v22, v24
	s_or_b32 s3, vcc_lo, s3
	s_andn2_b32 exec_lo, exec_lo, s3
	s_cbranch_execnz .LBB289_7
; %bb.10:
	s_or_b32 exec_lo, exec_lo, s3
.LBB289_11:
	s_or_b32 exec_lo, exec_lo, s1
	s_cbranch_execz .LBB289_13
	s_branch .LBB289_20
.LBB289_12:
                                        ; implicit-def: $vgpr10_vgpr11
                                        ; implicit-def: $vgpr18_vgpr19
                                        ; implicit-def: $vgpr16_vgpr17
                                        ; implicit-def: $vgpr12_vgpr13
.LBB289_13:
	v_mov_b32_e32 v10, 0
	v_mov_b32_e32 v18, 0
	;; [unrolled: 1-line block ×8, first 2 shown]
	s_and_saveexec_b32 s1, s0
	s_cbranch_execz .LBB289_19
; %bb.14:
	v_mul_lo_u32 v10, v15, 28
	v_mul_lo_u32 v22, v14, 28
	s_mul_i32 s0, s2, 28
	v_mov_b32_e32 v18, 0
	v_mov_b32_e32 v16, 0
	;; [unrolled: 1-line block ×5, first 2 shown]
	v_mad_u32_u24 v15, v0, 28, v10
	v_mov_b32_e32 v10, 0
	v_mov_b32_e32 v11, 0
	;; [unrolled: 1-line block ×4, first 2 shown]
	v_subrev_nc_u32_e32 v23, s0, v15
	s_mov_b32 s0, 0
.LBB289_15:                             ; =>This Loop Header: Depth=1
                                        ;     Child Loop BB289_16 Depth 2
	v_ashrrev_i32_e32 v15, 31, v14
	s_mov_b32 s3, 0
	v_lshlrev_b64 v[25:26], 2, v[14:15]
	v_add_co_u32 v25, vcc_lo, s10, v25
	v_add_co_ci_u32_e64 v26, null, s11, v26, vcc_lo
	global_load_dword v15, v[25:26], off
	s_waitcnt vmcnt(0)
	v_subrev_nc_u32_e32 v15, s2, v15
	v_mul_lo_u32 v15, v15, 14
.LBB289_16:                             ;   Parent Loop BB289_15 Depth=1
                                        ; =>  This Inner Loop Header: Depth=2
	v_add_nc_u32_e32 v20, s3, v23
	v_lshlrev_b64 v[25:26], 4, v[20:21]
	v_add_nc_u32_e32 v20, s3, v15
	v_lshlrev_b64 v[29:30], 4, v[20:21]
	v_add3_u32 v20, v22, s3, 14
	v_add_co_u32 v31, vcc_lo, s12, v25
	v_add_co_ci_u32_e64 v32, null, s13, v26, vcc_lo
	v_lshlrev_b64 v[33:34], 4, v[20:21]
	v_add_co_u32 v37, vcc_lo, s14, v29
	v_add_co_ci_u32_e64 v38, null, s15, v30, vcc_lo
	global_load_dwordx4 v[25:28], v[31:32], off offset:16
	v_add_co_u32 v45, vcc_lo, s12, v33
	v_add_co_ci_u32_e64 v46, null, s13, v34, vcc_lo
	global_load_dwordx4 v[29:32], v[31:32], off
	s_clause 0x1
	global_load_dwordx4 v[33:36], v[37:38], off
	global_load_dwordx4 v[37:40], v[37:38], off offset:16
	s_clause 0x1
	global_load_dwordx4 v[41:44], v[45:46], off
	global_load_dwordx4 v[45:48], v[45:46], off offset:16
	s_add_i32 s3, s3, 2
	s_cmp_eq_u32 s3, 14
	s_waitcnt vmcnt(3)
	v_fma_f64 v[18:19], v[29:30], v[33:34], v[18:19]
	v_fma_f64 v[10:11], v[31:32], v[33:34], v[10:11]
	s_waitcnt vmcnt(1)
	v_fma_f64 v[16:17], v[41:42], v[33:34], v[16:17]
	v_fma_f64 v[12:13], v[43:44], v[33:34], v[12:13]
	v_fma_f64 v[18:19], -v[31:32], v[35:36], v[18:19]
	v_fma_f64 v[10:11], v[29:30], v[35:36], v[10:11]
	v_fma_f64 v[16:17], -v[43:44], v[35:36], v[16:17]
	v_fma_f64 v[12:13], v[41:42], v[35:36], v[12:13]
	v_fma_f64 v[18:19], v[25:26], v[37:38], v[18:19]
	v_fma_f64 v[10:11], v[27:28], v[37:38], v[10:11]
	s_waitcnt vmcnt(0)
	v_fma_f64 v[16:17], v[45:46], v[37:38], v[16:17]
	v_fma_f64 v[12:13], v[47:48], v[37:38], v[12:13]
	v_fma_f64 v[18:19], -v[27:28], v[39:40], v[18:19]
	v_fma_f64 v[10:11], v[25:26], v[39:40], v[10:11]
	v_fma_f64 v[16:17], -v[47:48], v[39:40], v[16:17]
	v_fma_f64 v[12:13], v[45:46], v[39:40], v[12:13]
	s_cbranch_scc0 .LBB289_16
; %bb.17:                               ;   in Loop: Header=BB289_15 Depth=1
	v_add_nc_u32_e32 v14, 8, v14
	v_add_nc_u32_e32 v22, 0xe0, v22
	;; [unrolled: 1-line block ×3, first 2 shown]
	v_cmp_ge_i32_e32 vcc_lo, v14, v24
	s_or_b32 s0, vcc_lo, s0
	s_andn2_b32 exec_lo, exec_lo, s0
	s_cbranch_execnz .LBB289_15
; %bb.18:
	s_or_b32 exec_lo, exec_lo, s0
.LBB289_19:
	s_or_b32 exec_lo, exec_lo, s1
.LBB289_20:
	v_mbcnt_lo_u32_b32 v28, -1, 0
	v_xor_b32_e32 v14, 4, v28
	v_cmp_gt_i32_e32 vcc_lo, 32, v14
	v_cndmask_b32_e32 v14, v28, v14, vcc_lo
	v_lshlrev_b32_e32 v25, 2, v14
	ds_bpermute_b32 v14, v25, v18
	ds_bpermute_b32 v15, v25, v19
	;; [unrolled: 1-line block ×8, first 2 shown]
	s_waitcnt lgkmcnt(6)
	v_add_f64 v[14:15], v[18:19], v[14:15]
	s_waitcnt lgkmcnt(4)
	v_add_f64 v[18:19], v[10:11], v[20:21]
	v_xor_b32_e32 v10, 2, v28
	s_waitcnt lgkmcnt(2)
	v_add_f64 v[20:21], v[16:17], v[22:23]
	s_waitcnt lgkmcnt(0)
	v_add_f64 v[22:23], v[12:13], v[24:25]
	v_cmp_gt_i32_e32 vcc_lo, 32, v10
	v_cndmask_b32_e32 v10, v28, v10, vcc_lo
	v_lshlrev_b32_e32 v16, 2, v10
	ds_bpermute_b32 v10, v16, v14
	ds_bpermute_b32 v11, v16, v15
	;; [unrolled: 1-line block ×8, first 2 shown]
	s_waitcnt lgkmcnt(6)
	v_add_f64 v[10:11], v[14:15], v[10:11]
	s_waitcnt lgkmcnt(4)
	v_add_f64 v[16:17], v[18:19], v[12:13]
	v_xor_b32_e32 v18, 1, v28
	s_waitcnt lgkmcnt(2)
	v_add_f64 v[12:13], v[20:21], v[24:25]
	s_waitcnt lgkmcnt(0)
	v_add_f64 v[14:15], v[22:23], v[26:27]
	v_cmp_gt_i32_e32 vcc_lo, 32, v18
	v_cndmask_b32_e32 v18, v28, v18, vcc_lo
	v_cmp_eq_u32_e32 vcc_lo, 7, v0
	v_lshlrev_b32_e32 v21, 2, v18
	ds_bpermute_b32 v24, v21, v10
	ds_bpermute_b32 v25, v21, v11
	ds_bpermute_b32 v22, v21, v16
	ds_bpermute_b32 v23, v21, v17
	ds_bpermute_b32 v18, v21, v12
	ds_bpermute_b32 v19, v21, v13
	ds_bpermute_b32 v20, v21, v14
	ds_bpermute_b32 v21, v21, v15
	s_and_b32 exec_lo, exec_lo, vcc_lo
	s_cbranch_execz .LBB289_25
; %bb.21:
	v_cmp_eq_f64_e32 vcc_lo, 0, v[5:6]
	v_cmp_eq_f64_e64 s0, 0, v[7:8]
	s_waitcnt lgkmcnt(6)
	v_add_f64 v[10:11], v[10:11], v[24:25]
	s_waitcnt lgkmcnt(4)
	v_add_f64 v[16:17], v[16:17], v[22:23]
	;; [unrolled: 2-line block ×4, first 2 shown]
	s_load_dwordx2 s[2:3], s[4:5], 0x48
	s_and_b32 s0, vcc_lo, s0
	s_and_saveexec_b32 s1, s0
	s_xor_b32 s0, exec_lo, s1
	s_cbranch_execz .LBB289_23
; %bb.22:
	v_mul_f64 v[5:6], v[16:17], -v[3:4]
	v_mul_f64 v[7:8], v[1:2], v[16:17]
	v_mul_f64 v[16:17], v[14:15], -v[3:4]
	v_mul_f64 v[14:15], v[1:2], v[14:15]
	v_lshlrev_b32_e32 v9, 1, v9
	v_fma_f64 v[5:6], v[1:2], v[10:11], v[5:6]
	v_fma_f64 v[7:8], v[3:4], v[10:11], v[7:8]
	;; [unrolled: 1-line block ×4, first 2 shown]
	v_ashrrev_i32_e32 v10, 31, v9
                                        ; implicit-def: $vgpr16_vgpr17
                                        ; implicit-def: $vgpr12_vgpr13
                                        ; implicit-def: $vgpr14_vgpr15
	v_lshlrev_b64 v[9:10], 4, v[9:10]
	s_waitcnt lgkmcnt(0)
	v_add_co_u32 v9, vcc_lo, s2, v9
	v_add_co_ci_u32_e64 v10, null, s3, v10, vcc_lo
	global_store_dwordx4 v[9:10], v[5:8], off
	global_store_dwordx4 v[9:10], v[0:3], off offset:16
                                        ; implicit-def: $vgpr9
                                        ; implicit-def: $vgpr10_vgpr11
                                        ; implicit-def: $vgpr7_vgpr8
                                        ; implicit-def: $vgpr3_vgpr4
.LBB289_23:
	s_andn2_saveexec_b32 s0, s0
	s_cbranch_execz .LBB289_25
; %bb.24:
	v_lshlrev_b32_e32 v18, 1, v9
	v_mul_f64 v[28:29], v[16:17], -v[3:4]
	v_mul_f64 v[16:17], v[1:2], v[16:17]
	v_mul_f64 v[30:31], v[14:15], -v[3:4]
	v_mul_f64 v[14:15], v[1:2], v[14:15]
	v_ashrrev_i32_e32 v19, 31, v18
	v_lshlrev_b64 v[18:19], 4, v[18:19]
	s_waitcnt lgkmcnt(0)
	v_add_co_u32 v26, vcc_lo, s2, v18
	v_add_co_ci_u32_e64 v27, null, s3, v19, vcc_lo
	s_clause 0x1
	global_load_dwordx4 v[18:21], v[26:27], off
	global_load_dwordx4 v[22:25], v[26:27], off offset:16
	v_fma_f64 v[28:29], v[1:2], v[10:11], v[28:29]
	v_fma_f64 v[9:10], v[3:4], v[10:11], v[16:17]
	;; [unrolled: 1-line block ×4, first 2 shown]
	s_waitcnt vmcnt(1)
	v_fma_f64 v[11:12], v[5:6], v[18:19], v[28:29]
	v_fma_f64 v[9:10], v[7:8], v[18:19], v[9:10]
	s_waitcnt vmcnt(0)
	v_fma_f64 v[13:14], v[5:6], v[22:23], v[0:1]
	v_fma_f64 v[15:16], v[7:8], v[22:23], v[2:3]
	v_fma_f64 v[0:1], -v[7:8], v[20:21], v[11:12]
	v_fma_f64 v[2:3], v[5:6], v[20:21], v[9:10]
	v_fma_f64 v[7:8], -v[7:8], v[24:25], v[13:14]
	v_fma_f64 v[9:10], v[5:6], v[24:25], v[15:16]
	global_store_dwordx4 v[26:27], v[0:3], off
	global_store_dwordx4 v[26:27], v[7:10], off offset:16
.LBB289_25:
	s_endpgm
	.section	.rodata,"a",@progbits
	.p2align	6, 0x0
	.amdhsa_kernel _ZN9rocsparseL19gebsrmvn_2xn_kernelILj128ELj14ELj8E21rocsparse_complex_numIdEEEvi20rocsparse_direction_NS_24const_host_device_scalarIT2_EEPKiS8_PKS5_SA_S6_PS5_21rocsparse_index_base_b
		.amdhsa_group_segment_fixed_size 0
		.amdhsa_private_segment_fixed_size 0
		.amdhsa_kernarg_size 88
		.amdhsa_user_sgpr_count 6
		.amdhsa_user_sgpr_private_segment_buffer 1
		.amdhsa_user_sgpr_dispatch_ptr 0
		.amdhsa_user_sgpr_queue_ptr 0
		.amdhsa_user_sgpr_kernarg_segment_ptr 1
		.amdhsa_user_sgpr_dispatch_id 0
		.amdhsa_user_sgpr_flat_scratch_init 0
		.amdhsa_user_sgpr_private_segment_size 0
		.amdhsa_wavefront_size32 1
		.amdhsa_uses_dynamic_stack 0
		.amdhsa_system_sgpr_private_segment_wavefront_offset 0
		.amdhsa_system_sgpr_workgroup_id_x 1
		.amdhsa_system_sgpr_workgroup_id_y 0
		.amdhsa_system_sgpr_workgroup_id_z 0
		.amdhsa_system_sgpr_workgroup_info 0
		.amdhsa_system_vgpr_workitem_id 0
		.amdhsa_next_free_vgpr 50
		.amdhsa_next_free_sgpr 16
		.amdhsa_reserve_vcc 1
		.amdhsa_reserve_flat_scratch 0
		.amdhsa_float_round_mode_32 0
		.amdhsa_float_round_mode_16_64 0
		.amdhsa_float_denorm_mode_32 3
		.amdhsa_float_denorm_mode_16_64 3
		.amdhsa_dx10_clamp 1
		.amdhsa_ieee_mode 1
		.amdhsa_fp16_overflow 0
		.amdhsa_workgroup_processor_mode 1
		.amdhsa_memory_ordered 1
		.amdhsa_forward_progress 1
		.amdhsa_shared_vgpr_count 0
		.amdhsa_exception_fp_ieee_invalid_op 0
		.amdhsa_exception_fp_denorm_src 0
		.amdhsa_exception_fp_ieee_div_zero 0
		.amdhsa_exception_fp_ieee_overflow 0
		.amdhsa_exception_fp_ieee_underflow 0
		.amdhsa_exception_fp_ieee_inexact 0
		.amdhsa_exception_int_div_zero 0
	.end_amdhsa_kernel
	.section	.text._ZN9rocsparseL19gebsrmvn_2xn_kernelILj128ELj14ELj8E21rocsparse_complex_numIdEEEvi20rocsparse_direction_NS_24const_host_device_scalarIT2_EEPKiS8_PKS5_SA_S6_PS5_21rocsparse_index_base_b,"axG",@progbits,_ZN9rocsparseL19gebsrmvn_2xn_kernelILj128ELj14ELj8E21rocsparse_complex_numIdEEEvi20rocsparse_direction_NS_24const_host_device_scalarIT2_EEPKiS8_PKS5_SA_S6_PS5_21rocsparse_index_base_b,comdat
.Lfunc_end289:
	.size	_ZN9rocsparseL19gebsrmvn_2xn_kernelILj128ELj14ELj8E21rocsparse_complex_numIdEEEvi20rocsparse_direction_NS_24const_host_device_scalarIT2_EEPKiS8_PKS5_SA_S6_PS5_21rocsparse_index_base_b, .Lfunc_end289-_ZN9rocsparseL19gebsrmvn_2xn_kernelILj128ELj14ELj8E21rocsparse_complex_numIdEEEvi20rocsparse_direction_NS_24const_host_device_scalarIT2_EEPKiS8_PKS5_SA_S6_PS5_21rocsparse_index_base_b
                                        ; -- End function
	.set _ZN9rocsparseL19gebsrmvn_2xn_kernelILj128ELj14ELj8E21rocsparse_complex_numIdEEEvi20rocsparse_direction_NS_24const_host_device_scalarIT2_EEPKiS8_PKS5_SA_S6_PS5_21rocsparse_index_base_b.num_vgpr, 50
	.set _ZN9rocsparseL19gebsrmvn_2xn_kernelILj128ELj14ELj8E21rocsparse_complex_numIdEEEvi20rocsparse_direction_NS_24const_host_device_scalarIT2_EEPKiS8_PKS5_SA_S6_PS5_21rocsparse_index_base_b.num_agpr, 0
	.set _ZN9rocsparseL19gebsrmvn_2xn_kernelILj128ELj14ELj8E21rocsparse_complex_numIdEEEvi20rocsparse_direction_NS_24const_host_device_scalarIT2_EEPKiS8_PKS5_SA_S6_PS5_21rocsparse_index_base_b.numbered_sgpr, 16
	.set _ZN9rocsparseL19gebsrmvn_2xn_kernelILj128ELj14ELj8E21rocsparse_complex_numIdEEEvi20rocsparse_direction_NS_24const_host_device_scalarIT2_EEPKiS8_PKS5_SA_S6_PS5_21rocsparse_index_base_b.num_named_barrier, 0
	.set _ZN9rocsparseL19gebsrmvn_2xn_kernelILj128ELj14ELj8E21rocsparse_complex_numIdEEEvi20rocsparse_direction_NS_24const_host_device_scalarIT2_EEPKiS8_PKS5_SA_S6_PS5_21rocsparse_index_base_b.private_seg_size, 0
	.set _ZN9rocsparseL19gebsrmvn_2xn_kernelILj128ELj14ELj8E21rocsparse_complex_numIdEEEvi20rocsparse_direction_NS_24const_host_device_scalarIT2_EEPKiS8_PKS5_SA_S6_PS5_21rocsparse_index_base_b.uses_vcc, 1
	.set _ZN9rocsparseL19gebsrmvn_2xn_kernelILj128ELj14ELj8E21rocsparse_complex_numIdEEEvi20rocsparse_direction_NS_24const_host_device_scalarIT2_EEPKiS8_PKS5_SA_S6_PS5_21rocsparse_index_base_b.uses_flat_scratch, 0
	.set _ZN9rocsparseL19gebsrmvn_2xn_kernelILj128ELj14ELj8E21rocsparse_complex_numIdEEEvi20rocsparse_direction_NS_24const_host_device_scalarIT2_EEPKiS8_PKS5_SA_S6_PS5_21rocsparse_index_base_b.has_dyn_sized_stack, 0
	.set _ZN9rocsparseL19gebsrmvn_2xn_kernelILj128ELj14ELj8E21rocsparse_complex_numIdEEEvi20rocsparse_direction_NS_24const_host_device_scalarIT2_EEPKiS8_PKS5_SA_S6_PS5_21rocsparse_index_base_b.has_recursion, 0
	.set _ZN9rocsparseL19gebsrmvn_2xn_kernelILj128ELj14ELj8E21rocsparse_complex_numIdEEEvi20rocsparse_direction_NS_24const_host_device_scalarIT2_EEPKiS8_PKS5_SA_S6_PS5_21rocsparse_index_base_b.has_indirect_call, 0
	.section	.AMDGPU.csdata,"",@progbits
; Kernel info:
; codeLenInByte = 2040
; TotalNumSgprs: 18
; NumVgprs: 50
; ScratchSize: 0
; MemoryBound: 0
; FloatMode: 240
; IeeeMode: 1
; LDSByteSize: 0 bytes/workgroup (compile time only)
; SGPRBlocks: 0
; VGPRBlocks: 6
; NumSGPRsForWavesPerEU: 18
; NumVGPRsForWavesPerEU: 50
; Occupancy: 16
; WaveLimiterHint : 1
; COMPUTE_PGM_RSRC2:SCRATCH_EN: 0
; COMPUTE_PGM_RSRC2:USER_SGPR: 6
; COMPUTE_PGM_RSRC2:TRAP_HANDLER: 0
; COMPUTE_PGM_RSRC2:TGID_X_EN: 1
; COMPUTE_PGM_RSRC2:TGID_Y_EN: 0
; COMPUTE_PGM_RSRC2:TGID_Z_EN: 0
; COMPUTE_PGM_RSRC2:TIDIG_COMP_CNT: 0
	.section	.text._ZN9rocsparseL19gebsrmvn_2xn_kernelILj128ELj14ELj16E21rocsparse_complex_numIdEEEvi20rocsparse_direction_NS_24const_host_device_scalarIT2_EEPKiS8_PKS5_SA_S6_PS5_21rocsparse_index_base_b,"axG",@progbits,_ZN9rocsparseL19gebsrmvn_2xn_kernelILj128ELj14ELj16E21rocsparse_complex_numIdEEEvi20rocsparse_direction_NS_24const_host_device_scalarIT2_EEPKiS8_PKS5_SA_S6_PS5_21rocsparse_index_base_b,comdat
	.globl	_ZN9rocsparseL19gebsrmvn_2xn_kernelILj128ELj14ELj16E21rocsparse_complex_numIdEEEvi20rocsparse_direction_NS_24const_host_device_scalarIT2_EEPKiS8_PKS5_SA_S6_PS5_21rocsparse_index_base_b ; -- Begin function _ZN9rocsparseL19gebsrmvn_2xn_kernelILj128ELj14ELj16E21rocsparse_complex_numIdEEEvi20rocsparse_direction_NS_24const_host_device_scalarIT2_EEPKiS8_PKS5_SA_S6_PS5_21rocsparse_index_base_b
	.p2align	8
	.type	_ZN9rocsparseL19gebsrmvn_2xn_kernelILj128ELj14ELj16E21rocsparse_complex_numIdEEEvi20rocsparse_direction_NS_24const_host_device_scalarIT2_EEPKiS8_PKS5_SA_S6_PS5_21rocsparse_index_base_b,@function
_ZN9rocsparseL19gebsrmvn_2xn_kernelILj128ELj14ELj16E21rocsparse_complex_numIdEEEvi20rocsparse_direction_NS_24const_host_device_scalarIT2_EEPKiS8_PKS5_SA_S6_PS5_21rocsparse_index_base_b: ; @_ZN9rocsparseL19gebsrmvn_2xn_kernelILj128ELj14ELj16E21rocsparse_complex_numIdEEEvi20rocsparse_direction_NS_24const_host_device_scalarIT2_EEPKiS8_PKS5_SA_S6_PS5_21rocsparse_index_base_b
; %bb.0:
	s_clause 0x1
	s_load_dwordx2 s[2:3], s[4:5], 0x50
	s_load_dwordx2 s[0:1], s[4:5], 0x8
	s_add_u32 s7, s4, 8
	s_addc_u32 s10, s5, 0
	s_add_u32 s11, s4, 56
	s_addc_u32 s12, s5, 0
	s_load_dwordx2 s[8:9], s[4:5], 0x38
	s_waitcnt lgkmcnt(0)
	s_bitcmp1_b32 s3, 0
	s_cselect_b32 s0, s7, s0
	s_cselect_b32 s1, s10, s1
	v_mov_b32_e32 v1, s0
	v_mov_b32_e32 v2, s1
	s_cselect_b32 s0, s11, s8
	s_cselect_b32 s1, s12, s9
	v_mov_b32_e32 v5, s0
	v_mov_b32_e32 v6, s1
	flat_load_dwordx4 v[1:4], v[1:2]
	flat_load_dwordx4 v[5:8], v[5:6]
	s_waitcnt vmcnt(1) lgkmcnt(1)
	v_cmp_eq_f64_e32 vcc_lo, 0, v[1:2]
	v_cmp_eq_f64_e64 s0, 0, v[3:4]
	s_and_b32 s3, vcc_lo, s0
	s_mov_b32 s0, -1
	s_and_saveexec_b32 s1, s3
	s_cbranch_execz .LBB290_2
; %bb.1:
	s_waitcnt vmcnt(0) lgkmcnt(0)
	v_cmp_neq_f64_e32 vcc_lo, 1.0, v[5:6]
	v_cmp_neq_f64_e64 s0, 0, v[7:8]
	s_or_b32 s0, vcc_lo, s0
	s_orn2_b32 s0, s0, exec_lo
.LBB290_2:
	s_or_b32 exec_lo, exec_lo, s1
	s_and_saveexec_b32 s1, s0
	s_cbranch_execz .LBB290_25
; %bb.3:
	s_load_dwordx2 s[0:1], s[4:5], 0x0
	v_lshrrev_b32_e32 v9, 4, v0
	v_lshl_or_b32 v9, s6, 3, v9
	s_waitcnt lgkmcnt(0)
	v_cmp_gt_i32_e32 vcc_lo, s0, v9
	s_and_b32 exec_lo, exec_lo, vcc_lo
	s_cbranch_execz .LBB290_25
; %bb.4:
	s_load_dwordx8 s[8:15], s[4:5], 0x18
	v_ashrrev_i32_e32 v10, 31, v9
	v_and_b32_e32 v0, 15, v0
	s_cmp_lg_u32 s1, 0
	v_lshlrev_b64 v[10:11], 2, v[9:10]
	s_waitcnt lgkmcnt(0)
	v_add_co_u32 v10, vcc_lo, s8, v10
	v_add_co_ci_u32_e64 v11, null, s9, v11, vcc_lo
	global_load_dwordx2 v[19:20], v[10:11], off
	s_waitcnt vmcnt(0)
	v_subrev_nc_u32_e32 v10, s2, v19
	v_subrev_nc_u32_e32 v24, s2, v20
	v_add_nc_u32_e32 v18, v10, v0
	v_cmp_lt_i32_e64 s0, v18, v24
	s_cbranch_scc0 .LBB290_12
; %bb.5:
	v_mov_b32_e32 v10, 0
	v_mov_b32_e32 v16, 0
	;; [unrolled: 1-line block ×8, first 2 shown]
	s_and_saveexec_b32 s1, s0
	s_cbranch_execz .LBB290_11
; %bb.6:
	v_mul_lo_u32 v25, v18, 28
	v_mov_b32_e32 v10, 0
	v_mov_b32_e32 v16, 0
	;; [unrolled: 1-line block ×10, first 2 shown]
	s_mov_b32 s3, 0
.LBB290_7:                              ; =>This Loop Header: Depth=1
                                        ;     Child Loop BB290_8 Depth 2
	v_ashrrev_i32_e32 v23, 31, v22
	s_mov_b32 s6, 0
	v_lshlrev_b64 v[26:27], 2, v[22:23]
	v_add_co_u32 v26, vcc_lo, s10, v26
	v_add_co_ci_u32_e64 v27, null, s11, v27, vcc_lo
	global_load_dword v20, v[26:27], off
	s_waitcnt vmcnt(0)
	v_subrev_nc_u32_e32 v20, s2, v20
	v_mul_lo_u32 v23, v20, 14
	v_mov_b32_e32 v20, v25
.LBB290_8:                              ;   Parent Loop BB290_7 Depth=1
                                        ; =>  This Inner Loop Header: Depth=2
	v_add_nc_u32_e32 v26, s6, v23
	v_mov_b32_e32 v27, v21
	v_lshlrev_b64 v[28:29], 4, v[20:21]
	v_add_nc_u32_e32 v20, 4, v20
	s_add_i32 s6, s6, 2
	v_lshlrev_b64 v[26:27], 4, v[26:27]
	s_cmp_eq_u32 s6, 14
	v_add_co_u32 v46, vcc_lo, s12, v28
	v_add_co_ci_u32_e64 v47, null, s13, v29, vcc_lo
	v_add_co_u32 v38, vcc_lo, s14, v26
	v_add_co_ci_u32_e64 v39, null, s15, v27, vcc_lo
	s_clause 0x1
	global_load_dwordx4 v[26:29], v[46:47], off offset:16
	global_load_dwordx4 v[30:33], v[46:47], off
	s_clause 0x1
	global_load_dwordx4 v[34:37], v[38:39], off
	global_load_dwordx4 v[38:41], v[38:39], off offset:16
	s_clause 0x1
	global_load_dwordx4 v[42:45], v[46:47], off offset:32
	global_load_dwordx4 v[46:49], v[46:47], off offset:48
	s_waitcnt vmcnt(3)
	v_fma_f64 v[16:17], v[30:31], v[34:35], v[16:17]
	v_fma_f64 v[10:11], v[32:33], v[34:35], v[10:11]
	;; [unrolled: 1-line block ×4, first 2 shown]
	v_fma_f64 v[16:17], -v[32:33], v[36:37], v[16:17]
	v_fma_f64 v[10:11], v[30:31], v[36:37], v[10:11]
	v_fma_f64 v[14:15], -v[28:29], v[36:37], v[14:15]
	v_fma_f64 v[12:13], v[26:27], v[36:37], v[12:13]
	s_waitcnt vmcnt(1)
	v_fma_f64 v[16:17], v[42:43], v[38:39], v[16:17]
	v_fma_f64 v[10:11], v[44:45], v[38:39], v[10:11]
	s_waitcnt vmcnt(0)
	v_fma_f64 v[14:15], v[46:47], v[38:39], v[14:15]
	v_fma_f64 v[12:13], v[48:49], v[38:39], v[12:13]
	v_fma_f64 v[16:17], -v[44:45], v[40:41], v[16:17]
	v_fma_f64 v[10:11], v[42:43], v[40:41], v[10:11]
	v_fma_f64 v[14:15], -v[48:49], v[40:41], v[14:15]
	v_fma_f64 v[12:13], v[46:47], v[40:41], v[12:13]
	s_cbranch_scc0 .LBB290_8
; %bb.9:                                ;   in Loop: Header=BB290_7 Depth=1
	v_add_nc_u32_e32 v22, 16, v22
	v_add_nc_u32_e32 v25, 0x1c0, v25
	v_cmp_ge_i32_e32 vcc_lo, v22, v24
	s_or_b32 s3, vcc_lo, s3
	s_andn2_b32 exec_lo, exec_lo, s3
	s_cbranch_execnz .LBB290_7
; %bb.10:
	s_or_b32 exec_lo, exec_lo, s3
.LBB290_11:
	s_or_b32 exec_lo, exec_lo, s1
	s_cbranch_execz .LBB290_13
	s_branch .LBB290_20
.LBB290_12:
                                        ; implicit-def: $vgpr10_vgpr11
                                        ; implicit-def: $vgpr16_vgpr17
                                        ; implicit-def: $vgpr14_vgpr15
                                        ; implicit-def: $vgpr12_vgpr13
.LBB290_13:
	v_mov_b32_e32 v10, 0
	v_mov_b32_e32 v16, 0
	;; [unrolled: 1-line block ×8, first 2 shown]
	s_and_saveexec_b32 s1, s0
	s_cbranch_execz .LBB290_19
; %bb.14:
	v_mul_lo_u32 v10, v19, 28
	v_mul_lo_u32 v21, v18, 28
	s_mul_i32 s0, s2, 28
	v_mov_b32_e32 v16, 0
	v_mov_b32_e32 v14, 0
	;; [unrolled: 1-line block ×5, first 2 shown]
	v_mad_u32_u24 v19, v0, 28, v10
	v_mov_b32_e32 v10, 0
	v_mov_b32_e32 v11, 0
	;; [unrolled: 1-line block ×4, first 2 shown]
	v_subrev_nc_u32_e32 v22, s0, v19
	s_mov_b32 s0, 0
.LBB290_15:                             ; =>This Loop Header: Depth=1
                                        ;     Child Loop BB290_16 Depth 2
	v_ashrrev_i32_e32 v19, 31, v18
	s_mov_b32 s3, 0
	v_lshlrev_b64 v[25:26], 2, v[18:19]
	v_add_co_u32 v25, vcc_lo, s10, v25
	v_add_co_ci_u32_e64 v26, null, s11, v26, vcc_lo
	global_load_dword v19, v[25:26], off
	s_waitcnt vmcnt(0)
	v_subrev_nc_u32_e32 v19, s2, v19
	v_mul_lo_u32 v23, v19, 14
.LBB290_16:                             ;   Parent Loop BB290_15 Depth=1
                                        ; =>  This Inner Loop Header: Depth=2
	v_add_nc_u32_e32 v19, s3, v22
	v_lshlrev_b64 v[25:26], 4, v[19:20]
	v_add_nc_u32_e32 v19, s3, v23
	v_lshlrev_b64 v[29:30], 4, v[19:20]
	v_add3_u32 v19, v21, s3, 14
	v_add_co_u32 v31, vcc_lo, s12, v25
	v_add_co_ci_u32_e64 v32, null, s13, v26, vcc_lo
	v_lshlrev_b64 v[33:34], 4, v[19:20]
	v_add_co_u32 v37, vcc_lo, s14, v29
	v_add_co_ci_u32_e64 v38, null, s15, v30, vcc_lo
	global_load_dwordx4 v[25:28], v[31:32], off offset:16
	v_add_co_u32 v45, vcc_lo, s12, v33
	v_add_co_ci_u32_e64 v46, null, s13, v34, vcc_lo
	global_load_dwordx4 v[29:32], v[31:32], off
	s_clause 0x1
	global_load_dwordx4 v[33:36], v[37:38], off
	global_load_dwordx4 v[37:40], v[37:38], off offset:16
	s_clause 0x1
	global_load_dwordx4 v[41:44], v[45:46], off
	global_load_dwordx4 v[45:48], v[45:46], off offset:16
	s_add_i32 s3, s3, 2
	s_cmp_eq_u32 s3, 14
	s_waitcnt vmcnt(3)
	v_fma_f64 v[16:17], v[29:30], v[33:34], v[16:17]
	v_fma_f64 v[10:11], v[31:32], v[33:34], v[10:11]
	s_waitcnt vmcnt(1)
	v_fma_f64 v[14:15], v[41:42], v[33:34], v[14:15]
	v_fma_f64 v[12:13], v[43:44], v[33:34], v[12:13]
	v_fma_f64 v[16:17], -v[31:32], v[35:36], v[16:17]
	v_fma_f64 v[10:11], v[29:30], v[35:36], v[10:11]
	v_fma_f64 v[14:15], -v[43:44], v[35:36], v[14:15]
	v_fma_f64 v[12:13], v[41:42], v[35:36], v[12:13]
	v_fma_f64 v[16:17], v[25:26], v[37:38], v[16:17]
	;; [unrolled: 1-line block ×3, first 2 shown]
	s_waitcnt vmcnt(0)
	v_fma_f64 v[14:15], v[45:46], v[37:38], v[14:15]
	v_fma_f64 v[12:13], v[47:48], v[37:38], v[12:13]
	v_fma_f64 v[16:17], -v[27:28], v[39:40], v[16:17]
	v_fma_f64 v[10:11], v[25:26], v[39:40], v[10:11]
	v_fma_f64 v[14:15], -v[47:48], v[39:40], v[14:15]
	v_fma_f64 v[12:13], v[45:46], v[39:40], v[12:13]
	s_cbranch_scc0 .LBB290_16
; %bb.17:                               ;   in Loop: Header=BB290_15 Depth=1
	v_add_nc_u32_e32 v18, 16, v18
	v_add_nc_u32_e32 v21, 0x1c0, v21
	;; [unrolled: 1-line block ×3, first 2 shown]
	v_cmp_ge_i32_e32 vcc_lo, v18, v24
	s_or_b32 s0, vcc_lo, s0
	s_andn2_b32 exec_lo, exec_lo, s0
	s_cbranch_execnz .LBB290_15
; %bb.18:
	s_or_b32 exec_lo, exec_lo, s0
.LBB290_19:
	s_or_b32 exec_lo, exec_lo, s1
.LBB290_20:
	v_mbcnt_lo_u32_b32 v26, -1, 0
	v_xor_b32_e32 v18, 8, v26
	v_cmp_gt_i32_e32 vcc_lo, 32, v18
	v_cndmask_b32_e32 v18, v26, v18, vcc_lo
	v_lshlrev_b32_e32 v25, 2, v18
	ds_bpermute_b32 v18, v25, v16
	ds_bpermute_b32 v19, v25, v17
	;; [unrolled: 1-line block ×8, first 2 shown]
	s_waitcnt lgkmcnt(6)
	v_add_f64 v[16:17], v[16:17], v[18:19]
	v_xor_b32_e32 v18, 4, v26
	s_waitcnt lgkmcnt(4)
	v_add_f64 v[10:11], v[10:11], v[20:21]
	s_waitcnt lgkmcnt(2)
	v_add_f64 v[14:15], v[14:15], v[22:23]
	;; [unrolled: 2-line block ×3, first 2 shown]
	v_cmp_gt_i32_e32 vcc_lo, 32, v18
	v_cndmask_b32_e32 v18, v26, v18, vcc_lo
	v_lshlrev_b32_e32 v25, 2, v18
	ds_bpermute_b32 v18, v25, v16
	ds_bpermute_b32 v19, v25, v17
	;; [unrolled: 1-line block ×8, first 2 shown]
	s_waitcnt lgkmcnt(6)
	v_add_f64 v[16:17], v[16:17], v[18:19]
	s_waitcnt lgkmcnt(4)
	v_add_f64 v[18:19], v[10:11], v[20:21]
	v_xor_b32_e32 v10, 2, v26
	s_waitcnt lgkmcnt(2)
	v_add_f64 v[14:15], v[14:15], v[22:23]
	s_waitcnt lgkmcnt(0)
	v_add_f64 v[20:21], v[12:13], v[24:25]
	v_cmp_gt_i32_e32 vcc_lo, 32, v10
	v_cndmask_b32_e32 v10, v26, v10, vcc_lo
	v_lshlrev_b32_e32 v25, 2, v10
	ds_bpermute_b32 v10, v25, v16
	ds_bpermute_b32 v11, v25, v17
	;; [unrolled: 1-line block ×8, first 2 shown]
	s_waitcnt lgkmcnt(6)
	v_add_f64 v[10:11], v[16:17], v[10:11]
	s_waitcnt lgkmcnt(4)
	v_add_f64 v[16:17], v[18:19], v[12:13]
	v_xor_b32_e32 v18, 1, v26
	s_waitcnt lgkmcnt(2)
	v_add_f64 v[12:13], v[14:15], v[22:23]
	s_waitcnt lgkmcnt(0)
	v_add_f64 v[14:15], v[20:21], v[24:25]
	v_cmp_gt_i32_e32 vcc_lo, 32, v18
	v_cndmask_b32_e32 v18, v26, v18, vcc_lo
	v_cmp_eq_u32_e32 vcc_lo, 15, v0
	v_lshlrev_b32_e32 v21, 2, v18
	ds_bpermute_b32 v24, v21, v10
	ds_bpermute_b32 v25, v21, v11
	;; [unrolled: 1-line block ×8, first 2 shown]
	s_and_b32 exec_lo, exec_lo, vcc_lo
	s_cbranch_execz .LBB290_25
; %bb.21:
	v_cmp_eq_f64_e32 vcc_lo, 0, v[5:6]
	v_cmp_eq_f64_e64 s0, 0, v[7:8]
	s_waitcnt lgkmcnt(6)
	v_add_f64 v[10:11], v[10:11], v[24:25]
	s_waitcnt lgkmcnt(4)
	v_add_f64 v[16:17], v[16:17], v[22:23]
	;; [unrolled: 2-line block ×4, first 2 shown]
	s_load_dwordx2 s[2:3], s[4:5], 0x48
	s_and_b32 s0, vcc_lo, s0
	s_and_saveexec_b32 s1, s0
	s_xor_b32 s0, exec_lo, s1
	s_cbranch_execz .LBB290_23
; %bb.22:
	v_mul_f64 v[5:6], v[16:17], -v[3:4]
	v_mul_f64 v[7:8], v[1:2], v[16:17]
	v_mul_f64 v[16:17], v[14:15], -v[3:4]
	v_mul_f64 v[14:15], v[1:2], v[14:15]
	v_lshlrev_b32_e32 v9, 1, v9
	v_fma_f64 v[5:6], v[1:2], v[10:11], v[5:6]
	v_fma_f64 v[7:8], v[3:4], v[10:11], v[7:8]
	;; [unrolled: 1-line block ×4, first 2 shown]
	v_ashrrev_i32_e32 v10, 31, v9
                                        ; implicit-def: $vgpr16_vgpr17
                                        ; implicit-def: $vgpr12_vgpr13
                                        ; implicit-def: $vgpr14_vgpr15
	v_lshlrev_b64 v[9:10], 4, v[9:10]
	s_waitcnt lgkmcnt(0)
	v_add_co_u32 v9, vcc_lo, s2, v9
	v_add_co_ci_u32_e64 v10, null, s3, v10, vcc_lo
	global_store_dwordx4 v[9:10], v[5:8], off
	global_store_dwordx4 v[9:10], v[0:3], off offset:16
                                        ; implicit-def: $vgpr9
                                        ; implicit-def: $vgpr10_vgpr11
                                        ; implicit-def: $vgpr7_vgpr8
                                        ; implicit-def: $vgpr3_vgpr4
.LBB290_23:
	s_andn2_saveexec_b32 s0, s0
	s_cbranch_execz .LBB290_25
; %bb.24:
	v_lshlrev_b32_e32 v18, 1, v9
	v_mul_f64 v[28:29], v[16:17], -v[3:4]
	v_mul_f64 v[16:17], v[1:2], v[16:17]
	v_mul_f64 v[30:31], v[14:15], -v[3:4]
	v_mul_f64 v[14:15], v[1:2], v[14:15]
	v_ashrrev_i32_e32 v19, 31, v18
	v_lshlrev_b64 v[18:19], 4, v[18:19]
	s_waitcnt lgkmcnt(0)
	v_add_co_u32 v26, vcc_lo, s2, v18
	v_add_co_ci_u32_e64 v27, null, s3, v19, vcc_lo
	s_clause 0x1
	global_load_dwordx4 v[18:21], v[26:27], off
	global_load_dwordx4 v[22:25], v[26:27], off offset:16
	v_fma_f64 v[28:29], v[1:2], v[10:11], v[28:29]
	v_fma_f64 v[9:10], v[3:4], v[10:11], v[16:17]
	;; [unrolled: 1-line block ×4, first 2 shown]
	s_waitcnt vmcnt(1)
	v_fma_f64 v[11:12], v[5:6], v[18:19], v[28:29]
	v_fma_f64 v[9:10], v[7:8], v[18:19], v[9:10]
	s_waitcnt vmcnt(0)
	v_fma_f64 v[13:14], v[5:6], v[22:23], v[0:1]
	v_fma_f64 v[15:16], v[7:8], v[22:23], v[2:3]
	v_fma_f64 v[0:1], -v[7:8], v[20:21], v[11:12]
	v_fma_f64 v[2:3], v[5:6], v[20:21], v[9:10]
	v_fma_f64 v[7:8], -v[7:8], v[24:25], v[13:14]
	v_fma_f64 v[9:10], v[5:6], v[24:25], v[15:16]
	global_store_dwordx4 v[26:27], v[0:3], off
	global_store_dwordx4 v[26:27], v[7:10], off offset:16
.LBB290_25:
	s_endpgm
	.section	.rodata,"a",@progbits
	.p2align	6, 0x0
	.amdhsa_kernel _ZN9rocsparseL19gebsrmvn_2xn_kernelILj128ELj14ELj16E21rocsparse_complex_numIdEEEvi20rocsparse_direction_NS_24const_host_device_scalarIT2_EEPKiS8_PKS5_SA_S6_PS5_21rocsparse_index_base_b
		.amdhsa_group_segment_fixed_size 0
		.amdhsa_private_segment_fixed_size 0
		.amdhsa_kernarg_size 88
		.amdhsa_user_sgpr_count 6
		.amdhsa_user_sgpr_private_segment_buffer 1
		.amdhsa_user_sgpr_dispatch_ptr 0
		.amdhsa_user_sgpr_queue_ptr 0
		.amdhsa_user_sgpr_kernarg_segment_ptr 1
		.amdhsa_user_sgpr_dispatch_id 0
		.amdhsa_user_sgpr_flat_scratch_init 0
		.amdhsa_user_sgpr_private_segment_size 0
		.amdhsa_wavefront_size32 1
		.amdhsa_uses_dynamic_stack 0
		.amdhsa_system_sgpr_private_segment_wavefront_offset 0
		.amdhsa_system_sgpr_workgroup_id_x 1
		.amdhsa_system_sgpr_workgroup_id_y 0
		.amdhsa_system_sgpr_workgroup_id_z 0
		.amdhsa_system_sgpr_workgroup_info 0
		.amdhsa_system_vgpr_workitem_id 0
		.amdhsa_next_free_vgpr 50
		.amdhsa_next_free_sgpr 16
		.amdhsa_reserve_vcc 1
		.amdhsa_reserve_flat_scratch 0
		.amdhsa_float_round_mode_32 0
		.amdhsa_float_round_mode_16_64 0
		.amdhsa_float_denorm_mode_32 3
		.amdhsa_float_denorm_mode_16_64 3
		.amdhsa_dx10_clamp 1
		.amdhsa_ieee_mode 1
		.amdhsa_fp16_overflow 0
		.amdhsa_workgroup_processor_mode 1
		.amdhsa_memory_ordered 1
		.amdhsa_forward_progress 1
		.amdhsa_shared_vgpr_count 0
		.amdhsa_exception_fp_ieee_invalid_op 0
		.amdhsa_exception_fp_denorm_src 0
		.amdhsa_exception_fp_ieee_div_zero 0
		.amdhsa_exception_fp_ieee_overflow 0
		.amdhsa_exception_fp_ieee_underflow 0
		.amdhsa_exception_fp_ieee_inexact 0
		.amdhsa_exception_int_div_zero 0
	.end_amdhsa_kernel
	.section	.text._ZN9rocsparseL19gebsrmvn_2xn_kernelILj128ELj14ELj16E21rocsparse_complex_numIdEEEvi20rocsparse_direction_NS_24const_host_device_scalarIT2_EEPKiS8_PKS5_SA_S6_PS5_21rocsparse_index_base_b,"axG",@progbits,_ZN9rocsparseL19gebsrmvn_2xn_kernelILj128ELj14ELj16E21rocsparse_complex_numIdEEEvi20rocsparse_direction_NS_24const_host_device_scalarIT2_EEPKiS8_PKS5_SA_S6_PS5_21rocsparse_index_base_b,comdat
.Lfunc_end290:
	.size	_ZN9rocsparseL19gebsrmvn_2xn_kernelILj128ELj14ELj16E21rocsparse_complex_numIdEEEvi20rocsparse_direction_NS_24const_host_device_scalarIT2_EEPKiS8_PKS5_SA_S6_PS5_21rocsparse_index_base_b, .Lfunc_end290-_ZN9rocsparseL19gebsrmvn_2xn_kernelILj128ELj14ELj16E21rocsparse_complex_numIdEEEvi20rocsparse_direction_NS_24const_host_device_scalarIT2_EEPKiS8_PKS5_SA_S6_PS5_21rocsparse_index_base_b
                                        ; -- End function
	.set _ZN9rocsparseL19gebsrmvn_2xn_kernelILj128ELj14ELj16E21rocsparse_complex_numIdEEEvi20rocsparse_direction_NS_24const_host_device_scalarIT2_EEPKiS8_PKS5_SA_S6_PS5_21rocsparse_index_base_b.num_vgpr, 50
	.set _ZN9rocsparseL19gebsrmvn_2xn_kernelILj128ELj14ELj16E21rocsparse_complex_numIdEEEvi20rocsparse_direction_NS_24const_host_device_scalarIT2_EEPKiS8_PKS5_SA_S6_PS5_21rocsparse_index_base_b.num_agpr, 0
	.set _ZN9rocsparseL19gebsrmvn_2xn_kernelILj128ELj14ELj16E21rocsparse_complex_numIdEEEvi20rocsparse_direction_NS_24const_host_device_scalarIT2_EEPKiS8_PKS5_SA_S6_PS5_21rocsparse_index_base_b.numbered_sgpr, 16
	.set _ZN9rocsparseL19gebsrmvn_2xn_kernelILj128ELj14ELj16E21rocsparse_complex_numIdEEEvi20rocsparse_direction_NS_24const_host_device_scalarIT2_EEPKiS8_PKS5_SA_S6_PS5_21rocsparse_index_base_b.num_named_barrier, 0
	.set _ZN9rocsparseL19gebsrmvn_2xn_kernelILj128ELj14ELj16E21rocsparse_complex_numIdEEEvi20rocsparse_direction_NS_24const_host_device_scalarIT2_EEPKiS8_PKS5_SA_S6_PS5_21rocsparse_index_base_b.private_seg_size, 0
	.set _ZN9rocsparseL19gebsrmvn_2xn_kernelILj128ELj14ELj16E21rocsparse_complex_numIdEEEvi20rocsparse_direction_NS_24const_host_device_scalarIT2_EEPKiS8_PKS5_SA_S6_PS5_21rocsparse_index_base_b.uses_vcc, 1
	.set _ZN9rocsparseL19gebsrmvn_2xn_kernelILj128ELj14ELj16E21rocsparse_complex_numIdEEEvi20rocsparse_direction_NS_24const_host_device_scalarIT2_EEPKiS8_PKS5_SA_S6_PS5_21rocsparse_index_base_b.uses_flat_scratch, 0
	.set _ZN9rocsparseL19gebsrmvn_2xn_kernelILj128ELj14ELj16E21rocsparse_complex_numIdEEEvi20rocsparse_direction_NS_24const_host_device_scalarIT2_EEPKiS8_PKS5_SA_S6_PS5_21rocsparse_index_base_b.has_dyn_sized_stack, 0
	.set _ZN9rocsparseL19gebsrmvn_2xn_kernelILj128ELj14ELj16E21rocsparse_complex_numIdEEEvi20rocsparse_direction_NS_24const_host_device_scalarIT2_EEPKiS8_PKS5_SA_S6_PS5_21rocsparse_index_base_b.has_recursion, 0
	.set _ZN9rocsparseL19gebsrmvn_2xn_kernelILj128ELj14ELj16E21rocsparse_complex_numIdEEEvi20rocsparse_direction_NS_24const_host_device_scalarIT2_EEPKiS8_PKS5_SA_S6_PS5_21rocsparse_index_base_b.has_indirect_call, 0
	.section	.AMDGPU.csdata,"",@progbits
; Kernel info:
; codeLenInByte = 2168
; TotalNumSgprs: 18
; NumVgprs: 50
; ScratchSize: 0
; MemoryBound: 0
; FloatMode: 240
; IeeeMode: 1
; LDSByteSize: 0 bytes/workgroup (compile time only)
; SGPRBlocks: 0
; VGPRBlocks: 6
; NumSGPRsForWavesPerEU: 18
; NumVGPRsForWavesPerEU: 50
; Occupancy: 16
; WaveLimiterHint : 1
; COMPUTE_PGM_RSRC2:SCRATCH_EN: 0
; COMPUTE_PGM_RSRC2:USER_SGPR: 6
; COMPUTE_PGM_RSRC2:TRAP_HANDLER: 0
; COMPUTE_PGM_RSRC2:TGID_X_EN: 1
; COMPUTE_PGM_RSRC2:TGID_Y_EN: 0
; COMPUTE_PGM_RSRC2:TGID_Z_EN: 0
; COMPUTE_PGM_RSRC2:TIDIG_COMP_CNT: 0
	.section	.text._ZN9rocsparseL19gebsrmvn_2xn_kernelILj128ELj14ELj32E21rocsparse_complex_numIdEEEvi20rocsparse_direction_NS_24const_host_device_scalarIT2_EEPKiS8_PKS5_SA_S6_PS5_21rocsparse_index_base_b,"axG",@progbits,_ZN9rocsparseL19gebsrmvn_2xn_kernelILj128ELj14ELj32E21rocsparse_complex_numIdEEEvi20rocsparse_direction_NS_24const_host_device_scalarIT2_EEPKiS8_PKS5_SA_S6_PS5_21rocsparse_index_base_b,comdat
	.globl	_ZN9rocsparseL19gebsrmvn_2xn_kernelILj128ELj14ELj32E21rocsparse_complex_numIdEEEvi20rocsparse_direction_NS_24const_host_device_scalarIT2_EEPKiS8_PKS5_SA_S6_PS5_21rocsparse_index_base_b ; -- Begin function _ZN9rocsparseL19gebsrmvn_2xn_kernelILj128ELj14ELj32E21rocsparse_complex_numIdEEEvi20rocsparse_direction_NS_24const_host_device_scalarIT2_EEPKiS8_PKS5_SA_S6_PS5_21rocsparse_index_base_b
	.p2align	8
	.type	_ZN9rocsparseL19gebsrmvn_2xn_kernelILj128ELj14ELj32E21rocsparse_complex_numIdEEEvi20rocsparse_direction_NS_24const_host_device_scalarIT2_EEPKiS8_PKS5_SA_S6_PS5_21rocsparse_index_base_b,@function
_ZN9rocsparseL19gebsrmvn_2xn_kernelILj128ELj14ELj32E21rocsparse_complex_numIdEEEvi20rocsparse_direction_NS_24const_host_device_scalarIT2_EEPKiS8_PKS5_SA_S6_PS5_21rocsparse_index_base_b: ; @_ZN9rocsparseL19gebsrmvn_2xn_kernelILj128ELj14ELj32E21rocsparse_complex_numIdEEEvi20rocsparse_direction_NS_24const_host_device_scalarIT2_EEPKiS8_PKS5_SA_S6_PS5_21rocsparse_index_base_b
; %bb.0:
	s_clause 0x1
	s_load_dwordx2 s[2:3], s[4:5], 0x50
	s_load_dwordx2 s[0:1], s[4:5], 0x8
	s_add_u32 s7, s4, 8
	s_addc_u32 s10, s5, 0
	s_add_u32 s11, s4, 56
	s_addc_u32 s12, s5, 0
	s_load_dwordx2 s[8:9], s[4:5], 0x38
	s_waitcnt lgkmcnt(0)
	s_bitcmp1_b32 s3, 0
	s_cselect_b32 s0, s7, s0
	s_cselect_b32 s1, s10, s1
	v_mov_b32_e32 v1, s0
	v_mov_b32_e32 v2, s1
	s_cselect_b32 s0, s11, s8
	s_cselect_b32 s1, s12, s9
	v_mov_b32_e32 v5, s0
	v_mov_b32_e32 v6, s1
	flat_load_dwordx4 v[1:4], v[1:2]
	flat_load_dwordx4 v[5:8], v[5:6]
	s_waitcnt vmcnt(1) lgkmcnt(1)
	v_cmp_eq_f64_e32 vcc_lo, 0, v[1:2]
	v_cmp_eq_f64_e64 s0, 0, v[3:4]
	s_and_b32 s3, vcc_lo, s0
	s_mov_b32 s0, -1
	s_and_saveexec_b32 s1, s3
	s_cbranch_execz .LBB291_2
; %bb.1:
	s_waitcnt vmcnt(0) lgkmcnt(0)
	v_cmp_neq_f64_e32 vcc_lo, 1.0, v[5:6]
	v_cmp_neq_f64_e64 s0, 0, v[7:8]
	s_or_b32 s0, vcc_lo, s0
	s_orn2_b32 s0, s0, exec_lo
.LBB291_2:
	s_or_b32 exec_lo, exec_lo, s1
	s_and_saveexec_b32 s1, s0
	s_cbranch_execz .LBB291_25
; %bb.3:
	s_load_dwordx2 s[0:1], s[4:5], 0x0
	v_lshrrev_b32_e32 v9, 5, v0
	v_lshl_or_b32 v9, s6, 2, v9
	s_waitcnt lgkmcnt(0)
	v_cmp_gt_i32_e32 vcc_lo, s0, v9
	s_and_b32 exec_lo, exec_lo, vcc_lo
	s_cbranch_execz .LBB291_25
; %bb.4:
	s_load_dwordx8 s[8:15], s[4:5], 0x18
	v_ashrrev_i32_e32 v10, 31, v9
	v_and_b32_e32 v0, 31, v0
	s_cmp_lg_u32 s1, 0
	v_lshlrev_b64 v[10:11], 2, v[9:10]
	s_waitcnt lgkmcnt(0)
	v_add_co_u32 v10, vcc_lo, s8, v10
	v_add_co_ci_u32_e64 v11, null, s9, v11, vcc_lo
	global_load_dwordx2 v[19:20], v[10:11], off
	s_waitcnt vmcnt(0)
	v_subrev_nc_u32_e32 v10, s2, v19
	v_subrev_nc_u32_e32 v24, s2, v20
	v_add_nc_u32_e32 v18, v10, v0
	v_cmp_lt_i32_e64 s0, v18, v24
	s_cbranch_scc0 .LBB291_12
; %bb.5:
	v_mov_b32_e32 v10, 0
	v_mov_b32_e32 v16, 0
	v_mov_b32_e32 v14, 0
	v_mov_b32_e32 v12, 0
	v_mov_b32_e32 v11, 0
	v_mov_b32_e32 v17, 0
	v_mov_b32_e32 v15, 0
	v_mov_b32_e32 v13, 0
	s_and_saveexec_b32 s1, s0
	s_cbranch_execz .LBB291_11
; %bb.6:
	v_mul_lo_u32 v25, v18, 28
	v_mov_b32_e32 v10, 0
	v_mov_b32_e32 v16, 0
	;; [unrolled: 1-line block ×10, first 2 shown]
	s_mov_b32 s3, 0
.LBB291_7:                              ; =>This Loop Header: Depth=1
                                        ;     Child Loop BB291_8 Depth 2
	v_ashrrev_i32_e32 v23, 31, v22
	s_mov_b32 s6, 0
	v_lshlrev_b64 v[26:27], 2, v[22:23]
	v_add_co_u32 v26, vcc_lo, s10, v26
	v_add_co_ci_u32_e64 v27, null, s11, v27, vcc_lo
	global_load_dword v20, v[26:27], off
	s_waitcnt vmcnt(0)
	v_subrev_nc_u32_e32 v20, s2, v20
	v_mul_lo_u32 v23, v20, 14
	v_mov_b32_e32 v20, v25
.LBB291_8:                              ;   Parent Loop BB291_7 Depth=1
                                        ; =>  This Inner Loop Header: Depth=2
	v_add_nc_u32_e32 v26, s6, v23
	v_mov_b32_e32 v27, v21
	v_lshlrev_b64 v[28:29], 4, v[20:21]
	v_add_nc_u32_e32 v20, 4, v20
	s_add_i32 s6, s6, 2
	v_lshlrev_b64 v[26:27], 4, v[26:27]
	s_cmp_eq_u32 s6, 14
	v_add_co_u32 v46, vcc_lo, s12, v28
	v_add_co_ci_u32_e64 v47, null, s13, v29, vcc_lo
	v_add_co_u32 v38, vcc_lo, s14, v26
	v_add_co_ci_u32_e64 v39, null, s15, v27, vcc_lo
	s_clause 0x1
	global_load_dwordx4 v[26:29], v[46:47], off offset:16
	global_load_dwordx4 v[30:33], v[46:47], off
	s_clause 0x1
	global_load_dwordx4 v[34:37], v[38:39], off
	global_load_dwordx4 v[38:41], v[38:39], off offset:16
	s_clause 0x1
	global_load_dwordx4 v[42:45], v[46:47], off offset:32
	global_load_dwordx4 v[46:49], v[46:47], off offset:48
	s_waitcnt vmcnt(3)
	v_fma_f64 v[16:17], v[30:31], v[34:35], v[16:17]
	v_fma_f64 v[10:11], v[32:33], v[34:35], v[10:11]
	;; [unrolled: 1-line block ×4, first 2 shown]
	v_fma_f64 v[16:17], -v[32:33], v[36:37], v[16:17]
	v_fma_f64 v[10:11], v[30:31], v[36:37], v[10:11]
	v_fma_f64 v[14:15], -v[28:29], v[36:37], v[14:15]
	v_fma_f64 v[12:13], v[26:27], v[36:37], v[12:13]
	s_waitcnt vmcnt(1)
	v_fma_f64 v[16:17], v[42:43], v[38:39], v[16:17]
	v_fma_f64 v[10:11], v[44:45], v[38:39], v[10:11]
	s_waitcnt vmcnt(0)
	v_fma_f64 v[14:15], v[46:47], v[38:39], v[14:15]
	v_fma_f64 v[12:13], v[48:49], v[38:39], v[12:13]
	v_fma_f64 v[16:17], -v[44:45], v[40:41], v[16:17]
	v_fma_f64 v[10:11], v[42:43], v[40:41], v[10:11]
	v_fma_f64 v[14:15], -v[48:49], v[40:41], v[14:15]
	v_fma_f64 v[12:13], v[46:47], v[40:41], v[12:13]
	s_cbranch_scc0 .LBB291_8
; %bb.9:                                ;   in Loop: Header=BB291_7 Depth=1
	v_add_nc_u32_e32 v22, 32, v22
	v_add_nc_u32_e32 v25, 0x380, v25
	v_cmp_ge_i32_e32 vcc_lo, v22, v24
	s_or_b32 s3, vcc_lo, s3
	s_andn2_b32 exec_lo, exec_lo, s3
	s_cbranch_execnz .LBB291_7
; %bb.10:
	s_or_b32 exec_lo, exec_lo, s3
.LBB291_11:
	s_or_b32 exec_lo, exec_lo, s1
	s_cbranch_execz .LBB291_13
	s_branch .LBB291_20
.LBB291_12:
                                        ; implicit-def: $vgpr10_vgpr11
                                        ; implicit-def: $vgpr16_vgpr17
                                        ; implicit-def: $vgpr14_vgpr15
                                        ; implicit-def: $vgpr12_vgpr13
.LBB291_13:
	v_mov_b32_e32 v10, 0
	v_mov_b32_e32 v16, 0
	;; [unrolled: 1-line block ×8, first 2 shown]
	s_and_saveexec_b32 s1, s0
	s_cbranch_execz .LBB291_19
; %bb.14:
	v_mul_lo_u32 v10, v19, 28
	v_mul_lo_u32 v21, v18, 28
	s_mul_i32 s0, s2, 28
	v_mov_b32_e32 v16, 0
	v_mov_b32_e32 v14, 0
	v_mov_b32_e32 v12, 0
	v_mov_b32_e32 v17, 0
	v_mov_b32_e32 v15, 0
	v_mad_u32_u24 v19, v0, 28, v10
	v_mov_b32_e32 v10, 0
	v_mov_b32_e32 v11, 0
	;; [unrolled: 1-line block ×4, first 2 shown]
	v_subrev_nc_u32_e32 v22, s0, v19
	s_mov_b32 s0, 0
.LBB291_15:                             ; =>This Loop Header: Depth=1
                                        ;     Child Loop BB291_16 Depth 2
	v_ashrrev_i32_e32 v19, 31, v18
	s_mov_b32 s3, 0
	v_lshlrev_b64 v[25:26], 2, v[18:19]
	v_add_co_u32 v25, vcc_lo, s10, v25
	v_add_co_ci_u32_e64 v26, null, s11, v26, vcc_lo
	global_load_dword v19, v[25:26], off
	s_waitcnt vmcnt(0)
	v_subrev_nc_u32_e32 v19, s2, v19
	v_mul_lo_u32 v23, v19, 14
.LBB291_16:                             ;   Parent Loop BB291_15 Depth=1
                                        ; =>  This Inner Loop Header: Depth=2
	v_add_nc_u32_e32 v19, s3, v22
	v_lshlrev_b64 v[25:26], 4, v[19:20]
	v_add_nc_u32_e32 v19, s3, v23
	v_lshlrev_b64 v[29:30], 4, v[19:20]
	v_add3_u32 v19, v21, s3, 14
	v_add_co_u32 v31, vcc_lo, s12, v25
	v_add_co_ci_u32_e64 v32, null, s13, v26, vcc_lo
	v_lshlrev_b64 v[33:34], 4, v[19:20]
	v_add_co_u32 v37, vcc_lo, s14, v29
	v_add_co_ci_u32_e64 v38, null, s15, v30, vcc_lo
	global_load_dwordx4 v[25:28], v[31:32], off offset:16
	v_add_co_u32 v45, vcc_lo, s12, v33
	v_add_co_ci_u32_e64 v46, null, s13, v34, vcc_lo
	global_load_dwordx4 v[29:32], v[31:32], off
	s_clause 0x1
	global_load_dwordx4 v[33:36], v[37:38], off
	global_load_dwordx4 v[37:40], v[37:38], off offset:16
	s_clause 0x1
	global_load_dwordx4 v[41:44], v[45:46], off
	global_load_dwordx4 v[45:48], v[45:46], off offset:16
	s_add_i32 s3, s3, 2
	s_cmp_eq_u32 s3, 14
	s_waitcnt vmcnt(3)
	v_fma_f64 v[16:17], v[29:30], v[33:34], v[16:17]
	v_fma_f64 v[10:11], v[31:32], v[33:34], v[10:11]
	s_waitcnt vmcnt(1)
	v_fma_f64 v[14:15], v[41:42], v[33:34], v[14:15]
	v_fma_f64 v[12:13], v[43:44], v[33:34], v[12:13]
	v_fma_f64 v[16:17], -v[31:32], v[35:36], v[16:17]
	v_fma_f64 v[10:11], v[29:30], v[35:36], v[10:11]
	v_fma_f64 v[14:15], -v[43:44], v[35:36], v[14:15]
	v_fma_f64 v[12:13], v[41:42], v[35:36], v[12:13]
	v_fma_f64 v[16:17], v[25:26], v[37:38], v[16:17]
	;; [unrolled: 1-line block ×3, first 2 shown]
	s_waitcnt vmcnt(0)
	v_fma_f64 v[14:15], v[45:46], v[37:38], v[14:15]
	v_fma_f64 v[12:13], v[47:48], v[37:38], v[12:13]
	v_fma_f64 v[16:17], -v[27:28], v[39:40], v[16:17]
	v_fma_f64 v[10:11], v[25:26], v[39:40], v[10:11]
	v_fma_f64 v[14:15], -v[47:48], v[39:40], v[14:15]
	v_fma_f64 v[12:13], v[45:46], v[39:40], v[12:13]
	s_cbranch_scc0 .LBB291_16
; %bb.17:                               ;   in Loop: Header=BB291_15 Depth=1
	v_add_nc_u32_e32 v18, 32, v18
	v_add_nc_u32_e32 v21, 0x380, v21
	;; [unrolled: 1-line block ×3, first 2 shown]
	v_cmp_ge_i32_e32 vcc_lo, v18, v24
	s_or_b32 s0, vcc_lo, s0
	s_andn2_b32 exec_lo, exec_lo, s0
	s_cbranch_execnz .LBB291_15
; %bb.18:
	s_or_b32 exec_lo, exec_lo, s0
.LBB291_19:
	s_or_b32 exec_lo, exec_lo, s1
.LBB291_20:
	v_mbcnt_lo_u32_b32 v26, -1, 0
	v_xor_b32_e32 v18, 16, v26
	v_cmp_gt_i32_e32 vcc_lo, 32, v18
	v_cndmask_b32_e32 v18, v26, v18, vcc_lo
	v_lshlrev_b32_e32 v25, 2, v18
	ds_bpermute_b32 v18, v25, v16
	ds_bpermute_b32 v19, v25, v17
	;; [unrolled: 1-line block ×8, first 2 shown]
	s_waitcnt lgkmcnt(6)
	v_add_f64 v[16:17], v[16:17], v[18:19]
	v_xor_b32_e32 v18, 8, v26
	s_waitcnt lgkmcnt(4)
	v_add_f64 v[10:11], v[10:11], v[20:21]
	s_waitcnt lgkmcnt(2)
	v_add_f64 v[14:15], v[14:15], v[22:23]
	;; [unrolled: 2-line block ×3, first 2 shown]
	v_cmp_gt_i32_e32 vcc_lo, 32, v18
	v_cndmask_b32_e32 v18, v26, v18, vcc_lo
	v_lshlrev_b32_e32 v25, 2, v18
	ds_bpermute_b32 v18, v25, v16
	ds_bpermute_b32 v19, v25, v17
	;; [unrolled: 1-line block ×8, first 2 shown]
	s_waitcnt lgkmcnt(6)
	v_add_f64 v[16:17], v[16:17], v[18:19]
	v_xor_b32_e32 v18, 4, v26
	s_waitcnt lgkmcnt(4)
	v_add_f64 v[10:11], v[10:11], v[20:21]
	s_waitcnt lgkmcnt(2)
	v_add_f64 v[14:15], v[14:15], v[22:23]
	;; [unrolled: 2-line block ×3, first 2 shown]
	v_cmp_gt_i32_e32 vcc_lo, 32, v18
	v_cndmask_b32_e32 v18, v26, v18, vcc_lo
	v_lshlrev_b32_e32 v25, 2, v18
	ds_bpermute_b32 v18, v25, v16
	ds_bpermute_b32 v19, v25, v17
	;; [unrolled: 1-line block ×8, first 2 shown]
	s_waitcnt lgkmcnt(6)
	v_add_f64 v[16:17], v[16:17], v[18:19]
	s_waitcnt lgkmcnt(4)
	v_add_f64 v[18:19], v[10:11], v[20:21]
	v_xor_b32_e32 v10, 2, v26
	s_waitcnt lgkmcnt(2)
	v_add_f64 v[14:15], v[14:15], v[22:23]
	s_waitcnt lgkmcnt(0)
	v_add_f64 v[20:21], v[12:13], v[24:25]
	v_cmp_gt_i32_e32 vcc_lo, 32, v10
	v_cndmask_b32_e32 v10, v26, v10, vcc_lo
	v_lshlrev_b32_e32 v25, 2, v10
	ds_bpermute_b32 v10, v25, v16
	ds_bpermute_b32 v11, v25, v17
	;; [unrolled: 1-line block ×8, first 2 shown]
	s_waitcnt lgkmcnt(6)
	v_add_f64 v[10:11], v[16:17], v[10:11]
	s_waitcnt lgkmcnt(4)
	v_add_f64 v[16:17], v[18:19], v[12:13]
	v_xor_b32_e32 v18, 1, v26
	s_waitcnt lgkmcnt(2)
	v_add_f64 v[12:13], v[14:15], v[22:23]
	s_waitcnt lgkmcnt(0)
	v_add_f64 v[14:15], v[20:21], v[24:25]
	v_cmp_gt_i32_e32 vcc_lo, 32, v18
	v_cndmask_b32_e32 v18, v26, v18, vcc_lo
	v_cmp_eq_u32_e32 vcc_lo, 31, v0
	v_lshlrev_b32_e32 v21, 2, v18
	ds_bpermute_b32 v24, v21, v10
	ds_bpermute_b32 v25, v21, v11
	;; [unrolled: 1-line block ×8, first 2 shown]
	s_and_b32 exec_lo, exec_lo, vcc_lo
	s_cbranch_execz .LBB291_25
; %bb.21:
	v_cmp_eq_f64_e32 vcc_lo, 0, v[5:6]
	v_cmp_eq_f64_e64 s0, 0, v[7:8]
	s_waitcnt lgkmcnt(6)
	v_add_f64 v[10:11], v[10:11], v[24:25]
	s_waitcnt lgkmcnt(4)
	v_add_f64 v[16:17], v[16:17], v[22:23]
	;; [unrolled: 2-line block ×4, first 2 shown]
	s_load_dwordx2 s[2:3], s[4:5], 0x48
	s_and_b32 s0, vcc_lo, s0
	s_and_saveexec_b32 s1, s0
	s_xor_b32 s0, exec_lo, s1
	s_cbranch_execz .LBB291_23
; %bb.22:
	v_mul_f64 v[5:6], v[16:17], -v[3:4]
	v_mul_f64 v[7:8], v[1:2], v[16:17]
	v_mul_f64 v[16:17], v[14:15], -v[3:4]
	v_mul_f64 v[14:15], v[1:2], v[14:15]
	v_lshlrev_b32_e32 v9, 1, v9
	v_fma_f64 v[5:6], v[1:2], v[10:11], v[5:6]
	v_fma_f64 v[7:8], v[3:4], v[10:11], v[7:8]
	;; [unrolled: 1-line block ×4, first 2 shown]
	v_ashrrev_i32_e32 v10, 31, v9
                                        ; implicit-def: $vgpr16_vgpr17
                                        ; implicit-def: $vgpr12_vgpr13
                                        ; implicit-def: $vgpr14_vgpr15
	v_lshlrev_b64 v[9:10], 4, v[9:10]
	s_waitcnt lgkmcnt(0)
	v_add_co_u32 v9, vcc_lo, s2, v9
	v_add_co_ci_u32_e64 v10, null, s3, v10, vcc_lo
	global_store_dwordx4 v[9:10], v[5:8], off
	global_store_dwordx4 v[9:10], v[0:3], off offset:16
                                        ; implicit-def: $vgpr9
                                        ; implicit-def: $vgpr10_vgpr11
                                        ; implicit-def: $vgpr7_vgpr8
                                        ; implicit-def: $vgpr3_vgpr4
.LBB291_23:
	s_andn2_saveexec_b32 s0, s0
	s_cbranch_execz .LBB291_25
; %bb.24:
	v_lshlrev_b32_e32 v18, 1, v9
	v_mul_f64 v[28:29], v[16:17], -v[3:4]
	v_mul_f64 v[16:17], v[1:2], v[16:17]
	v_mul_f64 v[30:31], v[14:15], -v[3:4]
	v_mul_f64 v[14:15], v[1:2], v[14:15]
	v_ashrrev_i32_e32 v19, 31, v18
	v_lshlrev_b64 v[18:19], 4, v[18:19]
	s_waitcnt lgkmcnt(0)
	v_add_co_u32 v26, vcc_lo, s2, v18
	v_add_co_ci_u32_e64 v27, null, s3, v19, vcc_lo
	s_clause 0x1
	global_load_dwordx4 v[18:21], v[26:27], off
	global_load_dwordx4 v[22:25], v[26:27], off offset:16
	v_fma_f64 v[28:29], v[1:2], v[10:11], v[28:29]
	v_fma_f64 v[9:10], v[3:4], v[10:11], v[16:17]
	;; [unrolled: 1-line block ×4, first 2 shown]
	s_waitcnt vmcnt(1)
	v_fma_f64 v[11:12], v[5:6], v[18:19], v[28:29]
	v_fma_f64 v[9:10], v[7:8], v[18:19], v[9:10]
	s_waitcnt vmcnt(0)
	v_fma_f64 v[13:14], v[5:6], v[22:23], v[0:1]
	v_fma_f64 v[15:16], v[7:8], v[22:23], v[2:3]
	v_fma_f64 v[0:1], -v[7:8], v[20:21], v[11:12]
	v_fma_f64 v[2:3], v[5:6], v[20:21], v[9:10]
	v_fma_f64 v[7:8], -v[7:8], v[24:25], v[13:14]
	v_fma_f64 v[9:10], v[5:6], v[24:25], v[15:16]
	global_store_dwordx4 v[26:27], v[0:3], off
	global_store_dwordx4 v[26:27], v[7:10], off offset:16
.LBB291_25:
	s_endpgm
	.section	.rodata,"a",@progbits
	.p2align	6, 0x0
	.amdhsa_kernel _ZN9rocsparseL19gebsrmvn_2xn_kernelILj128ELj14ELj32E21rocsparse_complex_numIdEEEvi20rocsparse_direction_NS_24const_host_device_scalarIT2_EEPKiS8_PKS5_SA_S6_PS5_21rocsparse_index_base_b
		.amdhsa_group_segment_fixed_size 0
		.amdhsa_private_segment_fixed_size 0
		.amdhsa_kernarg_size 88
		.amdhsa_user_sgpr_count 6
		.amdhsa_user_sgpr_private_segment_buffer 1
		.amdhsa_user_sgpr_dispatch_ptr 0
		.amdhsa_user_sgpr_queue_ptr 0
		.amdhsa_user_sgpr_kernarg_segment_ptr 1
		.amdhsa_user_sgpr_dispatch_id 0
		.amdhsa_user_sgpr_flat_scratch_init 0
		.amdhsa_user_sgpr_private_segment_size 0
		.amdhsa_wavefront_size32 1
		.amdhsa_uses_dynamic_stack 0
		.amdhsa_system_sgpr_private_segment_wavefront_offset 0
		.amdhsa_system_sgpr_workgroup_id_x 1
		.amdhsa_system_sgpr_workgroup_id_y 0
		.amdhsa_system_sgpr_workgroup_id_z 0
		.amdhsa_system_sgpr_workgroup_info 0
		.amdhsa_system_vgpr_workitem_id 0
		.amdhsa_next_free_vgpr 50
		.amdhsa_next_free_sgpr 16
		.amdhsa_reserve_vcc 1
		.amdhsa_reserve_flat_scratch 0
		.amdhsa_float_round_mode_32 0
		.amdhsa_float_round_mode_16_64 0
		.amdhsa_float_denorm_mode_32 3
		.amdhsa_float_denorm_mode_16_64 3
		.amdhsa_dx10_clamp 1
		.amdhsa_ieee_mode 1
		.amdhsa_fp16_overflow 0
		.amdhsa_workgroup_processor_mode 1
		.amdhsa_memory_ordered 1
		.amdhsa_forward_progress 1
		.amdhsa_shared_vgpr_count 0
		.amdhsa_exception_fp_ieee_invalid_op 0
		.amdhsa_exception_fp_denorm_src 0
		.amdhsa_exception_fp_ieee_div_zero 0
		.amdhsa_exception_fp_ieee_overflow 0
		.amdhsa_exception_fp_ieee_underflow 0
		.amdhsa_exception_fp_ieee_inexact 0
		.amdhsa_exception_int_div_zero 0
	.end_amdhsa_kernel
	.section	.text._ZN9rocsparseL19gebsrmvn_2xn_kernelILj128ELj14ELj32E21rocsparse_complex_numIdEEEvi20rocsparse_direction_NS_24const_host_device_scalarIT2_EEPKiS8_PKS5_SA_S6_PS5_21rocsparse_index_base_b,"axG",@progbits,_ZN9rocsparseL19gebsrmvn_2xn_kernelILj128ELj14ELj32E21rocsparse_complex_numIdEEEvi20rocsparse_direction_NS_24const_host_device_scalarIT2_EEPKiS8_PKS5_SA_S6_PS5_21rocsparse_index_base_b,comdat
.Lfunc_end291:
	.size	_ZN9rocsparseL19gebsrmvn_2xn_kernelILj128ELj14ELj32E21rocsparse_complex_numIdEEEvi20rocsparse_direction_NS_24const_host_device_scalarIT2_EEPKiS8_PKS5_SA_S6_PS5_21rocsparse_index_base_b, .Lfunc_end291-_ZN9rocsparseL19gebsrmvn_2xn_kernelILj128ELj14ELj32E21rocsparse_complex_numIdEEEvi20rocsparse_direction_NS_24const_host_device_scalarIT2_EEPKiS8_PKS5_SA_S6_PS5_21rocsparse_index_base_b
                                        ; -- End function
	.set _ZN9rocsparseL19gebsrmvn_2xn_kernelILj128ELj14ELj32E21rocsparse_complex_numIdEEEvi20rocsparse_direction_NS_24const_host_device_scalarIT2_EEPKiS8_PKS5_SA_S6_PS5_21rocsparse_index_base_b.num_vgpr, 50
	.set _ZN9rocsparseL19gebsrmvn_2xn_kernelILj128ELj14ELj32E21rocsparse_complex_numIdEEEvi20rocsparse_direction_NS_24const_host_device_scalarIT2_EEPKiS8_PKS5_SA_S6_PS5_21rocsparse_index_base_b.num_agpr, 0
	.set _ZN9rocsparseL19gebsrmvn_2xn_kernelILj128ELj14ELj32E21rocsparse_complex_numIdEEEvi20rocsparse_direction_NS_24const_host_device_scalarIT2_EEPKiS8_PKS5_SA_S6_PS5_21rocsparse_index_base_b.numbered_sgpr, 16
	.set _ZN9rocsparseL19gebsrmvn_2xn_kernelILj128ELj14ELj32E21rocsparse_complex_numIdEEEvi20rocsparse_direction_NS_24const_host_device_scalarIT2_EEPKiS8_PKS5_SA_S6_PS5_21rocsparse_index_base_b.num_named_barrier, 0
	.set _ZN9rocsparseL19gebsrmvn_2xn_kernelILj128ELj14ELj32E21rocsparse_complex_numIdEEEvi20rocsparse_direction_NS_24const_host_device_scalarIT2_EEPKiS8_PKS5_SA_S6_PS5_21rocsparse_index_base_b.private_seg_size, 0
	.set _ZN9rocsparseL19gebsrmvn_2xn_kernelILj128ELj14ELj32E21rocsparse_complex_numIdEEEvi20rocsparse_direction_NS_24const_host_device_scalarIT2_EEPKiS8_PKS5_SA_S6_PS5_21rocsparse_index_base_b.uses_vcc, 1
	.set _ZN9rocsparseL19gebsrmvn_2xn_kernelILj128ELj14ELj32E21rocsparse_complex_numIdEEEvi20rocsparse_direction_NS_24const_host_device_scalarIT2_EEPKiS8_PKS5_SA_S6_PS5_21rocsparse_index_base_b.uses_flat_scratch, 0
	.set _ZN9rocsparseL19gebsrmvn_2xn_kernelILj128ELj14ELj32E21rocsparse_complex_numIdEEEvi20rocsparse_direction_NS_24const_host_device_scalarIT2_EEPKiS8_PKS5_SA_S6_PS5_21rocsparse_index_base_b.has_dyn_sized_stack, 0
	.set _ZN9rocsparseL19gebsrmvn_2xn_kernelILj128ELj14ELj32E21rocsparse_complex_numIdEEEvi20rocsparse_direction_NS_24const_host_device_scalarIT2_EEPKiS8_PKS5_SA_S6_PS5_21rocsparse_index_base_b.has_recursion, 0
	.set _ZN9rocsparseL19gebsrmvn_2xn_kernelILj128ELj14ELj32E21rocsparse_complex_numIdEEEvi20rocsparse_direction_NS_24const_host_device_scalarIT2_EEPKiS8_PKS5_SA_S6_PS5_21rocsparse_index_base_b.has_indirect_call, 0
	.section	.AMDGPU.csdata,"",@progbits
; Kernel info:
; codeLenInByte = 2296
; TotalNumSgprs: 18
; NumVgprs: 50
; ScratchSize: 0
; MemoryBound: 0
; FloatMode: 240
; IeeeMode: 1
; LDSByteSize: 0 bytes/workgroup (compile time only)
; SGPRBlocks: 0
; VGPRBlocks: 6
; NumSGPRsForWavesPerEU: 18
; NumVGPRsForWavesPerEU: 50
; Occupancy: 16
; WaveLimiterHint : 1
; COMPUTE_PGM_RSRC2:SCRATCH_EN: 0
; COMPUTE_PGM_RSRC2:USER_SGPR: 6
; COMPUTE_PGM_RSRC2:TRAP_HANDLER: 0
; COMPUTE_PGM_RSRC2:TGID_X_EN: 1
; COMPUTE_PGM_RSRC2:TGID_Y_EN: 0
; COMPUTE_PGM_RSRC2:TGID_Z_EN: 0
; COMPUTE_PGM_RSRC2:TIDIG_COMP_CNT: 0
	.section	.text._ZN9rocsparseL19gebsrmvn_2xn_kernelILj128ELj14ELj64E21rocsparse_complex_numIdEEEvi20rocsparse_direction_NS_24const_host_device_scalarIT2_EEPKiS8_PKS5_SA_S6_PS5_21rocsparse_index_base_b,"axG",@progbits,_ZN9rocsparseL19gebsrmvn_2xn_kernelILj128ELj14ELj64E21rocsparse_complex_numIdEEEvi20rocsparse_direction_NS_24const_host_device_scalarIT2_EEPKiS8_PKS5_SA_S6_PS5_21rocsparse_index_base_b,comdat
	.globl	_ZN9rocsparseL19gebsrmvn_2xn_kernelILj128ELj14ELj64E21rocsparse_complex_numIdEEEvi20rocsparse_direction_NS_24const_host_device_scalarIT2_EEPKiS8_PKS5_SA_S6_PS5_21rocsparse_index_base_b ; -- Begin function _ZN9rocsparseL19gebsrmvn_2xn_kernelILj128ELj14ELj64E21rocsparse_complex_numIdEEEvi20rocsparse_direction_NS_24const_host_device_scalarIT2_EEPKiS8_PKS5_SA_S6_PS5_21rocsparse_index_base_b
	.p2align	8
	.type	_ZN9rocsparseL19gebsrmvn_2xn_kernelILj128ELj14ELj64E21rocsparse_complex_numIdEEEvi20rocsparse_direction_NS_24const_host_device_scalarIT2_EEPKiS8_PKS5_SA_S6_PS5_21rocsparse_index_base_b,@function
_ZN9rocsparseL19gebsrmvn_2xn_kernelILj128ELj14ELj64E21rocsparse_complex_numIdEEEvi20rocsparse_direction_NS_24const_host_device_scalarIT2_EEPKiS8_PKS5_SA_S6_PS5_21rocsparse_index_base_b: ; @_ZN9rocsparseL19gebsrmvn_2xn_kernelILj128ELj14ELj64E21rocsparse_complex_numIdEEEvi20rocsparse_direction_NS_24const_host_device_scalarIT2_EEPKiS8_PKS5_SA_S6_PS5_21rocsparse_index_base_b
; %bb.0:
	s_clause 0x1
	s_load_dwordx2 s[2:3], s[4:5], 0x50
	s_load_dwordx2 s[0:1], s[4:5], 0x8
	s_add_u32 s7, s4, 8
	s_addc_u32 s10, s5, 0
	s_add_u32 s11, s4, 56
	s_addc_u32 s12, s5, 0
	s_load_dwordx2 s[8:9], s[4:5], 0x38
	s_waitcnt lgkmcnt(0)
	s_bitcmp1_b32 s3, 0
	s_cselect_b32 s0, s7, s0
	s_cselect_b32 s1, s10, s1
	v_mov_b32_e32 v1, s0
	v_mov_b32_e32 v2, s1
	s_cselect_b32 s0, s11, s8
	s_cselect_b32 s1, s12, s9
	v_mov_b32_e32 v5, s0
	v_mov_b32_e32 v6, s1
	flat_load_dwordx4 v[1:4], v[1:2]
	flat_load_dwordx4 v[5:8], v[5:6]
	s_waitcnt vmcnt(1) lgkmcnt(1)
	v_cmp_eq_f64_e32 vcc_lo, 0, v[1:2]
	v_cmp_eq_f64_e64 s0, 0, v[3:4]
	s_and_b32 s3, vcc_lo, s0
	s_mov_b32 s0, -1
	s_and_saveexec_b32 s1, s3
	s_cbranch_execz .LBB292_2
; %bb.1:
	s_waitcnt vmcnt(0) lgkmcnt(0)
	v_cmp_neq_f64_e32 vcc_lo, 1.0, v[5:6]
	v_cmp_neq_f64_e64 s0, 0, v[7:8]
	s_or_b32 s0, vcc_lo, s0
	s_orn2_b32 s0, s0, exec_lo
.LBB292_2:
	s_or_b32 exec_lo, exec_lo, s1
	s_and_saveexec_b32 s1, s0
	s_cbranch_execz .LBB292_25
; %bb.3:
	s_load_dwordx2 s[0:1], s[4:5], 0x0
	v_lshrrev_b32_e32 v9, 6, v0
	v_lshl_or_b32 v9, s6, 1, v9
	s_waitcnt lgkmcnt(0)
	v_cmp_gt_i32_e32 vcc_lo, s0, v9
	s_and_b32 exec_lo, exec_lo, vcc_lo
	s_cbranch_execz .LBB292_25
; %bb.4:
	s_load_dwordx8 s[8:15], s[4:5], 0x18
	v_ashrrev_i32_e32 v10, 31, v9
	v_and_b32_e32 v0, 63, v0
	s_cmp_lg_u32 s1, 0
	v_lshlrev_b64 v[10:11], 2, v[9:10]
	s_waitcnt lgkmcnt(0)
	v_add_co_u32 v10, vcc_lo, s8, v10
	v_add_co_ci_u32_e64 v11, null, s9, v11, vcc_lo
	global_load_dwordx2 v[19:20], v[10:11], off
	s_waitcnt vmcnt(0)
	v_subrev_nc_u32_e32 v10, s2, v19
	v_subrev_nc_u32_e32 v24, s2, v20
	v_add_nc_u32_e32 v18, v10, v0
	v_cmp_lt_i32_e64 s0, v18, v24
	s_cbranch_scc0 .LBB292_12
; %bb.5:
	v_mov_b32_e32 v10, 0
	v_mov_b32_e32 v16, 0
	;; [unrolled: 1-line block ×8, first 2 shown]
	s_and_saveexec_b32 s1, s0
	s_cbranch_execz .LBB292_11
; %bb.6:
	v_mul_lo_u32 v25, v18, 28
	v_mov_b32_e32 v10, 0
	v_mov_b32_e32 v16, 0
	;; [unrolled: 1-line block ×10, first 2 shown]
	s_mov_b32 s3, 0
.LBB292_7:                              ; =>This Loop Header: Depth=1
                                        ;     Child Loop BB292_8 Depth 2
	v_ashrrev_i32_e32 v23, 31, v22
	s_mov_b32 s6, 0
	v_lshlrev_b64 v[26:27], 2, v[22:23]
	v_add_co_u32 v26, vcc_lo, s10, v26
	v_add_co_ci_u32_e64 v27, null, s11, v27, vcc_lo
	global_load_dword v20, v[26:27], off
	s_waitcnt vmcnt(0)
	v_subrev_nc_u32_e32 v20, s2, v20
	v_mul_lo_u32 v23, v20, 14
	v_mov_b32_e32 v20, v25
.LBB292_8:                              ;   Parent Loop BB292_7 Depth=1
                                        ; =>  This Inner Loop Header: Depth=2
	v_add_nc_u32_e32 v26, s6, v23
	v_mov_b32_e32 v27, v21
	v_lshlrev_b64 v[28:29], 4, v[20:21]
	v_add_nc_u32_e32 v20, 4, v20
	s_add_i32 s6, s6, 2
	v_lshlrev_b64 v[26:27], 4, v[26:27]
	s_cmp_eq_u32 s6, 14
	v_add_co_u32 v46, vcc_lo, s12, v28
	v_add_co_ci_u32_e64 v47, null, s13, v29, vcc_lo
	v_add_co_u32 v38, vcc_lo, s14, v26
	v_add_co_ci_u32_e64 v39, null, s15, v27, vcc_lo
	s_clause 0x1
	global_load_dwordx4 v[26:29], v[46:47], off offset:16
	global_load_dwordx4 v[30:33], v[46:47], off
	s_clause 0x1
	global_load_dwordx4 v[34:37], v[38:39], off
	global_load_dwordx4 v[38:41], v[38:39], off offset:16
	s_clause 0x1
	global_load_dwordx4 v[42:45], v[46:47], off offset:32
	global_load_dwordx4 v[46:49], v[46:47], off offset:48
	s_waitcnt vmcnt(3)
	v_fma_f64 v[16:17], v[30:31], v[34:35], v[16:17]
	v_fma_f64 v[10:11], v[32:33], v[34:35], v[10:11]
	;; [unrolled: 1-line block ×4, first 2 shown]
	v_fma_f64 v[16:17], -v[32:33], v[36:37], v[16:17]
	v_fma_f64 v[10:11], v[30:31], v[36:37], v[10:11]
	v_fma_f64 v[14:15], -v[28:29], v[36:37], v[14:15]
	v_fma_f64 v[12:13], v[26:27], v[36:37], v[12:13]
	s_waitcnt vmcnt(1)
	v_fma_f64 v[16:17], v[42:43], v[38:39], v[16:17]
	v_fma_f64 v[10:11], v[44:45], v[38:39], v[10:11]
	s_waitcnt vmcnt(0)
	v_fma_f64 v[14:15], v[46:47], v[38:39], v[14:15]
	v_fma_f64 v[12:13], v[48:49], v[38:39], v[12:13]
	v_fma_f64 v[16:17], -v[44:45], v[40:41], v[16:17]
	v_fma_f64 v[10:11], v[42:43], v[40:41], v[10:11]
	v_fma_f64 v[14:15], -v[48:49], v[40:41], v[14:15]
	v_fma_f64 v[12:13], v[46:47], v[40:41], v[12:13]
	s_cbranch_scc0 .LBB292_8
; %bb.9:                                ;   in Loop: Header=BB292_7 Depth=1
	v_add_nc_u32_e32 v22, 64, v22
	v_add_nc_u32_e32 v25, 0x700, v25
	v_cmp_ge_i32_e32 vcc_lo, v22, v24
	s_or_b32 s3, vcc_lo, s3
	s_andn2_b32 exec_lo, exec_lo, s3
	s_cbranch_execnz .LBB292_7
; %bb.10:
	s_or_b32 exec_lo, exec_lo, s3
.LBB292_11:
	s_or_b32 exec_lo, exec_lo, s1
	s_cbranch_execz .LBB292_13
	s_branch .LBB292_20
.LBB292_12:
                                        ; implicit-def: $vgpr10_vgpr11
                                        ; implicit-def: $vgpr16_vgpr17
                                        ; implicit-def: $vgpr14_vgpr15
                                        ; implicit-def: $vgpr12_vgpr13
.LBB292_13:
	v_mov_b32_e32 v10, 0
	v_mov_b32_e32 v16, 0
	;; [unrolled: 1-line block ×8, first 2 shown]
	s_and_saveexec_b32 s1, s0
	s_cbranch_execz .LBB292_19
; %bb.14:
	v_mul_lo_u32 v10, v19, 28
	v_mul_lo_u32 v21, v18, 28
	s_mul_i32 s0, s2, 28
	v_mov_b32_e32 v16, 0
	v_mov_b32_e32 v14, 0
	;; [unrolled: 1-line block ×5, first 2 shown]
	v_mad_u32_u24 v19, v0, 28, v10
	v_mov_b32_e32 v10, 0
	v_mov_b32_e32 v11, 0
	;; [unrolled: 1-line block ×4, first 2 shown]
	v_subrev_nc_u32_e32 v22, s0, v19
	s_mov_b32 s0, 0
.LBB292_15:                             ; =>This Loop Header: Depth=1
                                        ;     Child Loop BB292_16 Depth 2
	v_ashrrev_i32_e32 v19, 31, v18
	s_mov_b32 s3, 0
	v_lshlrev_b64 v[25:26], 2, v[18:19]
	v_add_co_u32 v25, vcc_lo, s10, v25
	v_add_co_ci_u32_e64 v26, null, s11, v26, vcc_lo
	global_load_dword v19, v[25:26], off
	s_waitcnt vmcnt(0)
	v_subrev_nc_u32_e32 v19, s2, v19
	v_mul_lo_u32 v23, v19, 14
.LBB292_16:                             ;   Parent Loop BB292_15 Depth=1
                                        ; =>  This Inner Loop Header: Depth=2
	v_add_nc_u32_e32 v19, s3, v22
	v_lshlrev_b64 v[25:26], 4, v[19:20]
	v_add_nc_u32_e32 v19, s3, v23
	v_lshlrev_b64 v[29:30], 4, v[19:20]
	v_add3_u32 v19, v21, s3, 14
	v_add_co_u32 v31, vcc_lo, s12, v25
	v_add_co_ci_u32_e64 v32, null, s13, v26, vcc_lo
	v_lshlrev_b64 v[33:34], 4, v[19:20]
	v_add_co_u32 v37, vcc_lo, s14, v29
	v_add_co_ci_u32_e64 v38, null, s15, v30, vcc_lo
	global_load_dwordx4 v[25:28], v[31:32], off offset:16
	v_add_co_u32 v45, vcc_lo, s12, v33
	v_add_co_ci_u32_e64 v46, null, s13, v34, vcc_lo
	global_load_dwordx4 v[29:32], v[31:32], off
	s_clause 0x1
	global_load_dwordx4 v[33:36], v[37:38], off
	global_load_dwordx4 v[37:40], v[37:38], off offset:16
	s_clause 0x1
	global_load_dwordx4 v[41:44], v[45:46], off
	global_load_dwordx4 v[45:48], v[45:46], off offset:16
	s_add_i32 s3, s3, 2
	s_cmp_eq_u32 s3, 14
	s_waitcnt vmcnt(3)
	v_fma_f64 v[16:17], v[29:30], v[33:34], v[16:17]
	v_fma_f64 v[10:11], v[31:32], v[33:34], v[10:11]
	s_waitcnt vmcnt(1)
	v_fma_f64 v[14:15], v[41:42], v[33:34], v[14:15]
	v_fma_f64 v[12:13], v[43:44], v[33:34], v[12:13]
	v_fma_f64 v[16:17], -v[31:32], v[35:36], v[16:17]
	v_fma_f64 v[10:11], v[29:30], v[35:36], v[10:11]
	v_fma_f64 v[14:15], -v[43:44], v[35:36], v[14:15]
	v_fma_f64 v[12:13], v[41:42], v[35:36], v[12:13]
	v_fma_f64 v[16:17], v[25:26], v[37:38], v[16:17]
	;; [unrolled: 1-line block ×3, first 2 shown]
	s_waitcnt vmcnt(0)
	v_fma_f64 v[14:15], v[45:46], v[37:38], v[14:15]
	v_fma_f64 v[12:13], v[47:48], v[37:38], v[12:13]
	v_fma_f64 v[16:17], -v[27:28], v[39:40], v[16:17]
	v_fma_f64 v[10:11], v[25:26], v[39:40], v[10:11]
	v_fma_f64 v[14:15], -v[47:48], v[39:40], v[14:15]
	v_fma_f64 v[12:13], v[45:46], v[39:40], v[12:13]
	s_cbranch_scc0 .LBB292_16
; %bb.17:                               ;   in Loop: Header=BB292_15 Depth=1
	v_add_nc_u32_e32 v18, 64, v18
	v_add_nc_u32_e32 v21, 0x700, v21
	;; [unrolled: 1-line block ×3, first 2 shown]
	v_cmp_ge_i32_e32 vcc_lo, v18, v24
	s_or_b32 s0, vcc_lo, s0
	s_andn2_b32 exec_lo, exec_lo, s0
	s_cbranch_execnz .LBB292_15
; %bb.18:
	s_or_b32 exec_lo, exec_lo, s0
.LBB292_19:
	s_or_b32 exec_lo, exec_lo, s1
.LBB292_20:
	v_mbcnt_lo_u32_b32 v26, -1, 0
	v_or_b32_e32 v18, 32, v26
	v_cmp_gt_i32_e32 vcc_lo, 32, v18
	v_cndmask_b32_e32 v18, v26, v18, vcc_lo
	v_lshlrev_b32_e32 v25, 2, v18
	ds_bpermute_b32 v18, v25, v16
	ds_bpermute_b32 v19, v25, v17
	ds_bpermute_b32 v20, v25, v10
	ds_bpermute_b32 v21, v25, v11
	ds_bpermute_b32 v22, v25, v14
	ds_bpermute_b32 v23, v25, v15
	ds_bpermute_b32 v24, v25, v12
	ds_bpermute_b32 v25, v25, v13
	s_waitcnt lgkmcnt(6)
	v_add_f64 v[16:17], v[16:17], v[18:19]
	v_xor_b32_e32 v18, 16, v26
	s_waitcnt lgkmcnt(4)
	v_add_f64 v[10:11], v[10:11], v[20:21]
	s_waitcnt lgkmcnt(2)
	v_add_f64 v[14:15], v[14:15], v[22:23]
	s_waitcnt lgkmcnt(0)
	v_add_f64 v[12:13], v[12:13], v[24:25]
	v_cmp_gt_i32_e32 vcc_lo, 32, v18
	v_cndmask_b32_e32 v18, v26, v18, vcc_lo
	v_lshlrev_b32_e32 v25, 2, v18
	ds_bpermute_b32 v18, v25, v16
	ds_bpermute_b32 v19, v25, v17
	ds_bpermute_b32 v20, v25, v10
	ds_bpermute_b32 v21, v25, v11
	ds_bpermute_b32 v22, v25, v14
	ds_bpermute_b32 v23, v25, v15
	ds_bpermute_b32 v24, v25, v12
	ds_bpermute_b32 v25, v25, v13
	s_waitcnt lgkmcnt(6)
	v_add_f64 v[16:17], v[16:17], v[18:19]
	v_xor_b32_e32 v18, 8, v26
	s_waitcnt lgkmcnt(4)
	v_add_f64 v[10:11], v[10:11], v[20:21]
	s_waitcnt lgkmcnt(2)
	v_add_f64 v[14:15], v[14:15], v[22:23]
	s_waitcnt lgkmcnt(0)
	v_add_f64 v[12:13], v[12:13], v[24:25]
	;; [unrolled: 20-line block ×3, first 2 shown]
	v_cmp_gt_i32_e32 vcc_lo, 32, v18
	v_cndmask_b32_e32 v18, v26, v18, vcc_lo
	v_lshlrev_b32_e32 v25, 2, v18
	ds_bpermute_b32 v18, v25, v16
	ds_bpermute_b32 v19, v25, v17
	;; [unrolled: 1-line block ×8, first 2 shown]
	s_waitcnt lgkmcnt(6)
	v_add_f64 v[16:17], v[16:17], v[18:19]
	s_waitcnt lgkmcnt(4)
	v_add_f64 v[18:19], v[10:11], v[20:21]
	v_xor_b32_e32 v10, 2, v26
	s_waitcnt lgkmcnt(2)
	v_add_f64 v[14:15], v[14:15], v[22:23]
	s_waitcnt lgkmcnt(0)
	v_add_f64 v[20:21], v[12:13], v[24:25]
	v_cmp_gt_i32_e32 vcc_lo, 32, v10
	v_cndmask_b32_e32 v10, v26, v10, vcc_lo
	v_lshlrev_b32_e32 v25, 2, v10
	ds_bpermute_b32 v10, v25, v16
	ds_bpermute_b32 v11, v25, v17
	;; [unrolled: 1-line block ×8, first 2 shown]
	s_waitcnt lgkmcnt(6)
	v_add_f64 v[10:11], v[16:17], v[10:11]
	s_waitcnt lgkmcnt(4)
	v_add_f64 v[16:17], v[18:19], v[12:13]
	v_xor_b32_e32 v18, 1, v26
	s_waitcnt lgkmcnt(2)
	v_add_f64 v[12:13], v[14:15], v[22:23]
	s_waitcnt lgkmcnt(0)
	v_add_f64 v[14:15], v[20:21], v[24:25]
	v_cmp_gt_i32_e32 vcc_lo, 32, v18
	v_cndmask_b32_e32 v18, v26, v18, vcc_lo
	v_cmp_eq_u32_e32 vcc_lo, 63, v0
	v_lshlrev_b32_e32 v21, 2, v18
	ds_bpermute_b32 v24, v21, v10
	ds_bpermute_b32 v25, v21, v11
	;; [unrolled: 1-line block ×8, first 2 shown]
	s_and_b32 exec_lo, exec_lo, vcc_lo
	s_cbranch_execz .LBB292_25
; %bb.21:
	v_cmp_eq_f64_e32 vcc_lo, 0, v[5:6]
	v_cmp_eq_f64_e64 s0, 0, v[7:8]
	s_waitcnt lgkmcnt(6)
	v_add_f64 v[10:11], v[10:11], v[24:25]
	s_waitcnt lgkmcnt(4)
	v_add_f64 v[16:17], v[16:17], v[22:23]
	;; [unrolled: 2-line block ×4, first 2 shown]
	s_load_dwordx2 s[2:3], s[4:5], 0x48
	s_and_b32 s0, vcc_lo, s0
	s_and_saveexec_b32 s1, s0
	s_xor_b32 s0, exec_lo, s1
	s_cbranch_execz .LBB292_23
; %bb.22:
	v_mul_f64 v[5:6], v[16:17], -v[3:4]
	v_mul_f64 v[7:8], v[1:2], v[16:17]
	v_mul_f64 v[16:17], v[14:15], -v[3:4]
	v_mul_f64 v[14:15], v[1:2], v[14:15]
	v_lshlrev_b32_e32 v9, 1, v9
	v_fma_f64 v[5:6], v[1:2], v[10:11], v[5:6]
	v_fma_f64 v[7:8], v[3:4], v[10:11], v[7:8]
	v_fma_f64 v[0:1], v[1:2], v[12:13], v[16:17]
	v_fma_f64 v[2:3], v[3:4], v[12:13], v[14:15]
	v_ashrrev_i32_e32 v10, 31, v9
                                        ; implicit-def: $vgpr16_vgpr17
                                        ; implicit-def: $vgpr12_vgpr13
                                        ; implicit-def: $vgpr14_vgpr15
	v_lshlrev_b64 v[9:10], 4, v[9:10]
	s_waitcnt lgkmcnt(0)
	v_add_co_u32 v9, vcc_lo, s2, v9
	v_add_co_ci_u32_e64 v10, null, s3, v10, vcc_lo
	global_store_dwordx4 v[9:10], v[5:8], off
	global_store_dwordx4 v[9:10], v[0:3], off offset:16
                                        ; implicit-def: $vgpr9
                                        ; implicit-def: $vgpr10_vgpr11
                                        ; implicit-def: $vgpr7_vgpr8
                                        ; implicit-def: $vgpr3_vgpr4
.LBB292_23:
	s_andn2_saveexec_b32 s0, s0
	s_cbranch_execz .LBB292_25
; %bb.24:
	v_lshlrev_b32_e32 v18, 1, v9
	v_mul_f64 v[28:29], v[16:17], -v[3:4]
	v_mul_f64 v[16:17], v[1:2], v[16:17]
	v_mul_f64 v[30:31], v[14:15], -v[3:4]
	v_mul_f64 v[14:15], v[1:2], v[14:15]
	v_ashrrev_i32_e32 v19, 31, v18
	v_lshlrev_b64 v[18:19], 4, v[18:19]
	s_waitcnt lgkmcnt(0)
	v_add_co_u32 v26, vcc_lo, s2, v18
	v_add_co_ci_u32_e64 v27, null, s3, v19, vcc_lo
	s_clause 0x1
	global_load_dwordx4 v[18:21], v[26:27], off
	global_load_dwordx4 v[22:25], v[26:27], off offset:16
	v_fma_f64 v[28:29], v[1:2], v[10:11], v[28:29]
	v_fma_f64 v[9:10], v[3:4], v[10:11], v[16:17]
	;; [unrolled: 1-line block ×4, first 2 shown]
	s_waitcnt vmcnt(1)
	v_fma_f64 v[11:12], v[5:6], v[18:19], v[28:29]
	v_fma_f64 v[9:10], v[7:8], v[18:19], v[9:10]
	s_waitcnt vmcnt(0)
	v_fma_f64 v[13:14], v[5:6], v[22:23], v[0:1]
	v_fma_f64 v[15:16], v[7:8], v[22:23], v[2:3]
	v_fma_f64 v[0:1], -v[7:8], v[20:21], v[11:12]
	v_fma_f64 v[2:3], v[5:6], v[20:21], v[9:10]
	v_fma_f64 v[7:8], -v[7:8], v[24:25], v[13:14]
	v_fma_f64 v[9:10], v[5:6], v[24:25], v[15:16]
	global_store_dwordx4 v[26:27], v[0:3], off
	global_store_dwordx4 v[26:27], v[7:10], off offset:16
.LBB292_25:
	s_endpgm
	.section	.rodata,"a",@progbits
	.p2align	6, 0x0
	.amdhsa_kernel _ZN9rocsparseL19gebsrmvn_2xn_kernelILj128ELj14ELj64E21rocsparse_complex_numIdEEEvi20rocsparse_direction_NS_24const_host_device_scalarIT2_EEPKiS8_PKS5_SA_S6_PS5_21rocsparse_index_base_b
		.amdhsa_group_segment_fixed_size 0
		.amdhsa_private_segment_fixed_size 0
		.amdhsa_kernarg_size 88
		.amdhsa_user_sgpr_count 6
		.amdhsa_user_sgpr_private_segment_buffer 1
		.amdhsa_user_sgpr_dispatch_ptr 0
		.amdhsa_user_sgpr_queue_ptr 0
		.amdhsa_user_sgpr_kernarg_segment_ptr 1
		.amdhsa_user_sgpr_dispatch_id 0
		.amdhsa_user_sgpr_flat_scratch_init 0
		.amdhsa_user_sgpr_private_segment_size 0
		.amdhsa_wavefront_size32 1
		.amdhsa_uses_dynamic_stack 0
		.amdhsa_system_sgpr_private_segment_wavefront_offset 0
		.amdhsa_system_sgpr_workgroup_id_x 1
		.amdhsa_system_sgpr_workgroup_id_y 0
		.amdhsa_system_sgpr_workgroup_id_z 0
		.amdhsa_system_sgpr_workgroup_info 0
		.amdhsa_system_vgpr_workitem_id 0
		.amdhsa_next_free_vgpr 50
		.amdhsa_next_free_sgpr 16
		.amdhsa_reserve_vcc 1
		.amdhsa_reserve_flat_scratch 0
		.amdhsa_float_round_mode_32 0
		.amdhsa_float_round_mode_16_64 0
		.amdhsa_float_denorm_mode_32 3
		.amdhsa_float_denorm_mode_16_64 3
		.amdhsa_dx10_clamp 1
		.amdhsa_ieee_mode 1
		.amdhsa_fp16_overflow 0
		.amdhsa_workgroup_processor_mode 1
		.amdhsa_memory_ordered 1
		.amdhsa_forward_progress 1
		.amdhsa_shared_vgpr_count 0
		.amdhsa_exception_fp_ieee_invalid_op 0
		.amdhsa_exception_fp_denorm_src 0
		.amdhsa_exception_fp_ieee_div_zero 0
		.amdhsa_exception_fp_ieee_overflow 0
		.amdhsa_exception_fp_ieee_underflow 0
		.amdhsa_exception_fp_ieee_inexact 0
		.amdhsa_exception_int_div_zero 0
	.end_amdhsa_kernel
	.section	.text._ZN9rocsparseL19gebsrmvn_2xn_kernelILj128ELj14ELj64E21rocsparse_complex_numIdEEEvi20rocsparse_direction_NS_24const_host_device_scalarIT2_EEPKiS8_PKS5_SA_S6_PS5_21rocsparse_index_base_b,"axG",@progbits,_ZN9rocsparseL19gebsrmvn_2xn_kernelILj128ELj14ELj64E21rocsparse_complex_numIdEEEvi20rocsparse_direction_NS_24const_host_device_scalarIT2_EEPKiS8_PKS5_SA_S6_PS5_21rocsparse_index_base_b,comdat
.Lfunc_end292:
	.size	_ZN9rocsparseL19gebsrmvn_2xn_kernelILj128ELj14ELj64E21rocsparse_complex_numIdEEEvi20rocsparse_direction_NS_24const_host_device_scalarIT2_EEPKiS8_PKS5_SA_S6_PS5_21rocsparse_index_base_b, .Lfunc_end292-_ZN9rocsparseL19gebsrmvn_2xn_kernelILj128ELj14ELj64E21rocsparse_complex_numIdEEEvi20rocsparse_direction_NS_24const_host_device_scalarIT2_EEPKiS8_PKS5_SA_S6_PS5_21rocsparse_index_base_b
                                        ; -- End function
	.set _ZN9rocsparseL19gebsrmvn_2xn_kernelILj128ELj14ELj64E21rocsparse_complex_numIdEEEvi20rocsparse_direction_NS_24const_host_device_scalarIT2_EEPKiS8_PKS5_SA_S6_PS5_21rocsparse_index_base_b.num_vgpr, 50
	.set _ZN9rocsparseL19gebsrmvn_2xn_kernelILj128ELj14ELj64E21rocsparse_complex_numIdEEEvi20rocsparse_direction_NS_24const_host_device_scalarIT2_EEPKiS8_PKS5_SA_S6_PS5_21rocsparse_index_base_b.num_agpr, 0
	.set _ZN9rocsparseL19gebsrmvn_2xn_kernelILj128ELj14ELj64E21rocsparse_complex_numIdEEEvi20rocsparse_direction_NS_24const_host_device_scalarIT2_EEPKiS8_PKS5_SA_S6_PS5_21rocsparse_index_base_b.numbered_sgpr, 16
	.set _ZN9rocsparseL19gebsrmvn_2xn_kernelILj128ELj14ELj64E21rocsparse_complex_numIdEEEvi20rocsparse_direction_NS_24const_host_device_scalarIT2_EEPKiS8_PKS5_SA_S6_PS5_21rocsparse_index_base_b.num_named_barrier, 0
	.set _ZN9rocsparseL19gebsrmvn_2xn_kernelILj128ELj14ELj64E21rocsparse_complex_numIdEEEvi20rocsparse_direction_NS_24const_host_device_scalarIT2_EEPKiS8_PKS5_SA_S6_PS5_21rocsparse_index_base_b.private_seg_size, 0
	.set _ZN9rocsparseL19gebsrmvn_2xn_kernelILj128ELj14ELj64E21rocsparse_complex_numIdEEEvi20rocsparse_direction_NS_24const_host_device_scalarIT2_EEPKiS8_PKS5_SA_S6_PS5_21rocsparse_index_base_b.uses_vcc, 1
	.set _ZN9rocsparseL19gebsrmvn_2xn_kernelILj128ELj14ELj64E21rocsparse_complex_numIdEEEvi20rocsparse_direction_NS_24const_host_device_scalarIT2_EEPKiS8_PKS5_SA_S6_PS5_21rocsparse_index_base_b.uses_flat_scratch, 0
	.set _ZN9rocsparseL19gebsrmvn_2xn_kernelILj128ELj14ELj64E21rocsparse_complex_numIdEEEvi20rocsparse_direction_NS_24const_host_device_scalarIT2_EEPKiS8_PKS5_SA_S6_PS5_21rocsparse_index_base_b.has_dyn_sized_stack, 0
	.set _ZN9rocsparseL19gebsrmvn_2xn_kernelILj128ELj14ELj64E21rocsparse_complex_numIdEEEvi20rocsparse_direction_NS_24const_host_device_scalarIT2_EEPKiS8_PKS5_SA_S6_PS5_21rocsparse_index_base_b.has_recursion, 0
	.set _ZN9rocsparseL19gebsrmvn_2xn_kernelILj128ELj14ELj64E21rocsparse_complex_numIdEEEvi20rocsparse_direction_NS_24const_host_device_scalarIT2_EEPKiS8_PKS5_SA_S6_PS5_21rocsparse_index_base_b.has_indirect_call, 0
	.section	.AMDGPU.csdata,"",@progbits
; Kernel info:
; codeLenInByte = 2424
; TotalNumSgprs: 18
; NumVgprs: 50
; ScratchSize: 0
; MemoryBound: 0
; FloatMode: 240
; IeeeMode: 1
; LDSByteSize: 0 bytes/workgroup (compile time only)
; SGPRBlocks: 0
; VGPRBlocks: 6
; NumSGPRsForWavesPerEU: 18
; NumVGPRsForWavesPerEU: 50
; Occupancy: 16
; WaveLimiterHint : 1
; COMPUTE_PGM_RSRC2:SCRATCH_EN: 0
; COMPUTE_PGM_RSRC2:USER_SGPR: 6
; COMPUTE_PGM_RSRC2:TRAP_HANDLER: 0
; COMPUTE_PGM_RSRC2:TGID_X_EN: 1
; COMPUTE_PGM_RSRC2:TGID_Y_EN: 0
; COMPUTE_PGM_RSRC2:TGID_Z_EN: 0
; COMPUTE_PGM_RSRC2:TIDIG_COMP_CNT: 0
	.section	.text._ZN9rocsparseL19gebsrmvn_2xn_kernelILj128ELj15ELj4E21rocsparse_complex_numIdEEEvi20rocsparse_direction_NS_24const_host_device_scalarIT2_EEPKiS8_PKS5_SA_S6_PS5_21rocsparse_index_base_b,"axG",@progbits,_ZN9rocsparseL19gebsrmvn_2xn_kernelILj128ELj15ELj4E21rocsparse_complex_numIdEEEvi20rocsparse_direction_NS_24const_host_device_scalarIT2_EEPKiS8_PKS5_SA_S6_PS5_21rocsparse_index_base_b,comdat
	.globl	_ZN9rocsparseL19gebsrmvn_2xn_kernelILj128ELj15ELj4E21rocsparse_complex_numIdEEEvi20rocsparse_direction_NS_24const_host_device_scalarIT2_EEPKiS8_PKS5_SA_S6_PS5_21rocsparse_index_base_b ; -- Begin function _ZN9rocsparseL19gebsrmvn_2xn_kernelILj128ELj15ELj4E21rocsparse_complex_numIdEEEvi20rocsparse_direction_NS_24const_host_device_scalarIT2_EEPKiS8_PKS5_SA_S6_PS5_21rocsparse_index_base_b
	.p2align	8
	.type	_ZN9rocsparseL19gebsrmvn_2xn_kernelILj128ELj15ELj4E21rocsparse_complex_numIdEEEvi20rocsparse_direction_NS_24const_host_device_scalarIT2_EEPKiS8_PKS5_SA_S6_PS5_21rocsparse_index_base_b,@function
_ZN9rocsparseL19gebsrmvn_2xn_kernelILj128ELj15ELj4E21rocsparse_complex_numIdEEEvi20rocsparse_direction_NS_24const_host_device_scalarIT2_EEPKiS8_PKS5_SA_S6_PS5_21rocsparse_index_base_b: ; @_ZN9rocsparseL19gebsrmvn_2xn_kernelILj128ELj15ELj4E21rocsparse_complex_numIdEEEvi20rocsparse_direction_NS_24const_host_device_scalarIT2_EEPKiS8_PKS5_SA_S6_PS5_21rocsparse_index_base_b
; %bb.0:
	s_clause 0x1
	s_load_dwordx2 s[2:3], s[4:5], 0x50
	s_load_dwordx2 s[0:1], s[4:5], 0x8
	s_add_u32 s7, s4, 8
	s_addc_u32 s10, s5, 0
	s_add_u32 s11, s4, 56
	s_addc_u32 s12, s5, 0
	s_load_dwordx2 s[8:9], s[4:5], 0x38
	s_waitcnt lgkmcnt(0)
	s_bitcmp1_b32 s3, 0
	s_cselect_b32 s0, s7, s0
	s_cselect_b32 s1, s10, s1
	v_mov_b32_e32 v1, s0
	v_mov_b32_e32 v2, s1
	s_cselect_b32 s0, s11, s8
	s_cselect_b32 s1, s12, s9
	v_mov_b32_e32 v5, s0
	v_mov_b32_e32 v6, s1
	flat_load_dwordx4 v[1:4], v[1:2]
	flat_load_dwordx4 v[5:8], v[5:6]
	s_waitcnt vmcnt(1) lgkmcnt(1)
	v_cmp_eq_f64_e32 vcc_lo, 0, v[1:2]
	v_cmp_eq_f64_e64 s0, 0, v[3:4]
	s_and_b32 s3, vcc_lo, s0
	s_mov_b32 s0, -1
	s_and_saveexec_b32 s1, s3
	s_cbranch_execz .LBB293_2
; %bb.1:
	s_waitcnt vmcnt(0) lgkmcnt(0)
	v_cmp_neq_f64_e32 vcc_lo, 1.0, v[5:6]
	v_cmp_neq_f64_e64 s0, 0, v[7:8]
	s_or_b32 s0, vcc_lo, s0
	s_orn2_b32 s0, s0, exec_lo
.LBB293_2:
	s_or_b32 exec_lo, exec_lo, s1
	s_and_saveexec_b32 s1, s0
	s_cbranch_execz .LBB293_25
; %bb.3:
	s_load_dwordx2 s[0:1], s[4:5], 0x0
	v_lshrrev_b32_e32 v9, 2, v0
	v_lshl_or_b32 v9, s6, 5, v9
	s_waitcnt lgkmcnt(0)
	v_cmp_gt_i32_e32 vcc_lo, s0, v9
	s_and_b32 exec_lo, exec_lo, vcc_lo
	s_cbranch_execz .LBB293_25
; %bb.4:
	s_load_dwordx8 s[8:15], s[4:5], 0x18
	v_ashrrev_i32_e32 v10, 31, v9
	v_and_b32_e32 v0, 3, v0
	s_cmp_lg_u32 s1, 0
	v_lshlrev_b64 v[10:11], 2, v[9:10]
	s_waitcnt lgkmcnt(0)
	v_add_co_u32 v10, vcc_lo, s8, v10
	v_add_co_ci_u32_e64 v11, null, s9, v11, vcc_lo
	global_load_dwordx2 v[11:12], v[10:11], off
	s_waitcnt vmcnt(0)
	v_subrev_nc_u32_e32 v10, s2, v11
	v_subrev_nc_u32_e32 v24, s2, v12
	v_add_nc_u32_e32 v10, v10, v0
	v_cmp_lt_i32_e64 s0, v10, v24
	s_cbranch_scc0 .LBB293_12
; %bb.5:
	v_mov_b32_e32 v12, 0
	v_mov_b32_e32 v14, 0
	;; [unrolled: 1-line block ×8, first 2 shown]
	s_and_saveexec_b32 s1, s0
	s_cbranch_execz .LBB293_11
; %bb.6:
	v_mul_lo_u32 v25, v10, 30
	v_mov_b32_e32 v12, 0
	v_mov_b32_e32 v14, 0
	v_mov_b32_e32 v16, 0
	v_mov_b32_e32 v18, 0
	v_mov_b32_e32 v13, 0
	v_mov_b32_e32 v21, 0
	v_mov_b32_e32 v15, 0
	v_mov_b32_e32 v17, 0
	v_mov_b32_e32 v19, 0
	v_mov_b32_e32 v22, v10
	s_mov_b32 s3, 0
.LBB293_7:                              ; =>This Loop Header: Depth=1
                                        ;     Child Loop BB293_8 Depth 2
	v_ashrrev_i32_e32 v23, 31, v22
	s_mov_b32 s6, 0
	v_lshlrev_b64 v[26:27], 2, v[22:23]
	v_add_co_u32 v26, vcc_lo, s10, v26
	v_add_co_ci_u32_e64 v27, null, s11, v27, vcc_lo
	global_load_dword v20, v[26:27], off
	s_waitcnt vmcnt(0)
	v_subrev_nc_u32_e32 v20, s2, v20
	v_mul_lo_u32 v23, v20, 15
	v_mov_b32_e32 v20, v25
.LBB293_8:                              ;   Parent Loop BB293_7 Depth=1
                                        ; =>  This Inner Loop Header: Depth=2
	v_add_nc_u32_e32 v50, s6, v23
	v_mov_b32_e32 v51, v21
	v_lshlrev_b64 v[26:27], 4, v[20:21]
	v_add_nc_u32_e32 v38, 2, v20
	v_mov_b32_e32 v39, v21
	v_mov_b32_e32 v41, v21
	v_lshlrev_b64 v[28:29], 4, v[50:51]
	v_add_nc_u32_e32 v40, 1, v50
	v_add_co_u32 v30, vcc_lo, s12, v26
	v_add_co_ci_u32_e64 v31, null, s13, v27, vcc_lo
	v_add_co_u32 v34, vcc_lo, s14, v28
	v_add_co_ci_u32_e64 v35, null, s15, v29, vcc_lo
	s_clause 0x1
	global_load_dwordx4 v[26:29], v[30:31], off offset:16
	global_load_dwordx4 v[30:33], v[30:31], off
	global_load_dwordx4 v[34:37], v[34:35], off
	v_lshlrev_b64 v[38:39], 4, v[38:39]
	v_lshlrev_b64 v[40:41], 4, v[40:41]
	v_add_nc_u32_e32 v51, 4, v20
	v_mov_b32_e32 v52, v21
	v_mov_b32_e32 v54, v21
	v_add_nc_u32_e32 v53, 2, v50
	v_add_co_u32 v42, vcc_lo, s12, v38
	v_add_co_ci_u32_e64 v43, null, s13, v39, vcc_lo
	v_add_co_u32 v46, vcc_lo, s14, v40
	v_add_co_ci_u32_e64 v47, null, s15, v41, vcc_lo
	s_clause 0x1
	global_load_dwordx4 v[38:41], v[42:43], off offset:16
	global_load_dwordx4 v[42:45], v[42:43], off
	global_load_dwordx4 v[46:49], v[46:47], off
	v_lshlrev_b64 v[50:51], 4, v[51:52]
	v_lshlrev_b64 v[52:53], 4, v[53:54]
	v_add_nc_u32_e32 v20, 6, v20
	s_add_i32 s6, s6, 3
	s_cmp_eq_u32 s6, 15
	v_add_co_u32 v54, vcc_lo, s12, v50
	v_add_co_ci_u32_e64 v55, null, s13, v51, vcc_lo
	v_add_co_u32 v58, vcc_lo, s14, v52
	v_add_co_ci_u32_e64 v59, null, s15, v53, vcc_lo
	s_clause 0x1
	global_load_dwordx4 v[50:53], v[54:55], off offset:16
	global_load_dwordx4 v[54:57], v[54:55], off
	global_load_dwordx4 v[58:61], v[58:59], off
	s_waitcnt vmcnt(6)
	v_fma_f64 v[14:15], v[30:31], v[34:35], v[14:15]
	v_fma_f64 v[12:13], v[32:33], v[34:35], v[12:13]
	v_fma_f64 v[16:17], v[26:27], v[34:35], v[16:17]
	v_fma_f64 v[18:19], v[28:29], v[34:35], v[18:19]
	v_fma_f64 v[14:15], -v[32:33], v[36:37], v[14:15]
	v_fma_f64 v[12:13], v[30:31], v[36:37], v[12:13]
	v_fma_f64 v[16:17], -v[28:29], v[36:37], v[16:17]
	v_fma_f64 v[18:19], v[26:27], v[36:37], v[18:19]
	s_waitcnt vmcnt(3)
	v_fma_f64 v[14:15], v[42:43], v[46:47], v[14:15]
	v_fma_f64 v[12:13], v[44:45], v[46:47], v[12:13]
	v_fma_f64 v[16:17], v[38:39], v[46:47], v[16:17]
	v_fma_f64 v[18:19], v[40:41], v[46:47], v[18:19]
	v_fma_f64 v[14:15], -v[44:45], v[48:49], v[14:15]
	v_fma_f64 v[12:13], v[42:43], v[48:49], v[12:13]
	v_fma_f64 v[16:17], -v[40:41], v[48:49], v[16:17]
	v_fma_f64 v[18:19], v[38:39], v[48:49], v[18:19]
	;; [unrolled: 9-line block ×3, first 2 shown]
	s_cbranch_scc0 .LBB293_8
; %bb.9:                                ;   in Loop: Header=BB293_7 Depth=1
	v_add_nc_u32_e32 v22, 4, v22
	v_add_nc_u32_e32 v25, 0x78, v25
	v_cmp_ge_i32_e32 vcc_lo, v22, v24
	s_or_b32 s3, vcc_lo, s3
	s_andn2_b32 exec_lo, exec_lo, s3
	s_cbranch_execnz .LBB293_7
; %bb.10:
	s_or_b32 exec_lo, exec_lo, s3
.LBB293_11:
	s_or_b32 exec_lo, exec_lo, s1
	s_cbranch_execz .LBB293_13
	s_branch .LBB293_20
.LBB293_12:
                                        ; implicit-def: $vgpr12_vgpr13
                                        ; implicit-def: $vgpr14_vgpr15
                                        ; implicit-def: $vgpr16_vgpr17
                                        ; implicit-def: $vgpr18_vgpr19
.LBB293_13:
	v_mov_b32_e32 v12, 0
	v_mov_b32_e32 v14, 0
	;; [unrolled: 1-line block ×8, first 2 shown]
	s_and_saveexec_b32 s1, s0
	s_cbranch_execz .LBB293_19
; %bb.14:
	v_mul_lo_u32 v11, v11, 30
	v_mul_lo_u32 v22, v10, 30
	s_mul_i32 s0, s2, 30
	v_mov_b32_e32 v12, 0
	v_mov_b32_e32 v14, 0
	;; [unrolled: 1-line block ×5, first 2 shown]
	v_mad_u32_u24 v11, v0, 30, v11
	v_mov_b32_e32 v15, 0
	v_mov_b32_e32 v17, 0
	;; [unrolled: 1-line block ×4, first 2 shown]
	v_subrev_nc_u32_e32 v23, s0, v11
	s_mov_b32 s0, 0
.LBB293_15:                             ; =>This Loop Header: Depth=1
                                        ;     Child Loop BB293_16 Depth 2
	v_ashrrev_i32_e32 v11, 31, v10
	s_mov_b32 s3, 0
	v_lshlrev_b64 v[25:26], 2, v[10:11]
	v_add_co_u32 v25, vcc_lo, s10, v25
	v_add_co_ci_u32_e64 v26, null, s11, v26, vcc_lo
	global_load_dword v11, v[25:26], off
	s_waitcnt vmcnt(0)
	v_subrev_nc_u32_e32 v11, s2, v11
	v_mul_lo_u32 v11, v11, 15
.LBB293_16:                             ;   Parent Loop BB293_15 Depth=1
                                        ; =>  This Inner Loop Header: Depth=2
	v_add_nc_u32_e32 v20, s3, v23
	v_add_nc_u32_e32 v53, s3, v22
	v_mov_b32_e32 v26, v21
	v_mov_b32_e32 v38, v21
	;; [unrolled: 1-line block ×3, first 2 shown]
	v_lshlrev_b64 v[27:28], 4, v[20:21]
	v_add_nc_u32_e32 v20, s3, v11
	v_add_nc_u32_e32 v25, 15, v53
	v_add_nc_u32_e32 v37, 1, v53
	v_add_nc_u32_e32 v41, 16, v53
	v_mov_b32_e32 v40, v21
	v_lshlrev_b64 v[29:30], 4, v[20:21]
	v_lshlrev_b64 v[25:26], 4, v[25:26]
	v_add_co_u32 v27, vcc_lo, s12, v27
	v_add_co_ci_u32_e64 v28, null, s13, v28, vcc_lo
	v_add_co_u32 v29, vcc_lo, s14, v29
	v_add_co_ci_u32_e64 v30, null, s15, v30, vcc_lo
	v_add_co_u32 v33, vcc_lo, s12, v25
	v_add_co_ci_u32_e64 v34, null, s13, v26, vcc_lo
	global_load_dwordx4 v[25:28], v[27:28], off
	global_load_dwordx4 v[29:32], v[29:30], off
	;; [unrolled: 1-line block ×3, first 2 shown]
	v_add_nc_u32_e32 v39, 1, v20
	v_lshlrev_b64 v[37:38], 4, v[37:38]
	v_lshlrev_b64 v[41:42], 4, v[41:42]
	v_add_nc_u32_e32 v20, 2, v20
	v_mov_b32_e32 v50, v21
	v_lshlrev_b64 v[39:40], 4, v[39:40]
	v_add_nc_u32_e32 v49, 2, v53
	v_add_co_u32 v37, vcc_lo, s12, v37
	v_add_co_ci_u32_e64 v38, null, s13, v38, vcc_lo
	v_add_co_u32 v41, vcc_lo, s12, v41
	v_add_co_ci_u32_e64 v42, null, s13, v42, vcc_lo
	;; [unrolled: 2-line block ×3, first 2 shown]
	s_clause 0x1
	global_load_dwordx4 v[37:40], v[37:38], off
	global_load_dwordx4 v[41:44], v[41:42], off
	;; [unrolled: 1-line block ×3, first 2 shown]
	v_lshlrev_b64 v[51:52], 4, v[20:21]
	v_add_nc_u32_e32 v20, 17, v53
	v_lshlrev_b64 v[49:50], 4, v[49:50]
	s_add_i32 s3, s3, 3
	s_cmp_eq_u32 s3, 15
	v_lshlrev_b64 v[53:54], 4, v[20:21]
	v_add_co_u32 v49, vcc_lo, s12, v49
	v_add_co_ci_u32_e64 v50, null, s13, v50, vcc_lo
	v_add_co_u32 v55, vcc_lo, s14, v51
	v_add_co_ci_u32_e64 v56, null, s15, v52, vcc_lo
	;; [unrolled: 2-line block ×3, first 2 shown]
	global_load_dwordx4 v[49:52], v[49:50], off
	global_load_dwordx4 v[53:56], v[55:56], off
	;; [unrolled: 1-line block ×3, first 2 shown]
	s_waitcnt vmcnt(7)
	v_fma_f64 v[14:15], v[25:26], v[29:30], v[14:15]
	v_fma_f64 v[12:13], v[27:28], v[29:30], v[12:13]
	s_waitcnt vmcnt(6)
	v_fma_f64 v[16:17], v[33:34], v[29:30], v[16:17]
	v_fma_f64 v[18:19], v[35:36], v[29:30], v[18:19]
	v_fma_f64 v[14:15], -v[27:28], v[31:32], v[14:15]
	v_fma_f64 v[12:13], v[25:26], v[31:32], v[12:13]
	v_fma_f64 v[16:17], -v[35:36], v[31:32], v[16:17]
	v_fma_f64 v[18:19], v[33:34], v[31:32], v[18:19]
	s_waitcnt vmcnt(3)
	v_fma_f64 v[14:15], v[37:38], v[45:46], v[14:15]
	v_fma_f64 v[12:13], v[39:40], v[45:46], v[12:13]
	v_fma_f64 v[16:17], v[41:42], v[45:46], v[16:17]
	v_fma_f64 v[18:19], v[43:44], v[45:46], v[18:19]
	v_fma_f64 v[14:15], -v[39:40], v[47:48], v[14:15]
	v_fma_f64 v[12:13], v[37:38], v[47:48], v[12:13]
	v_fma_f64 v[16:17], -v[43:44], v[47:48], v[16:17]
	v_fma_f64 v[18:19], v[41:42], v[47:48], v[18:19]
	s_waitcnt vmcnt(1)
	v_fma_f64 v[14:15], v[49:50], v[53:54], v[14:15]
	v_fma_f64 v[12:13], v[51:52], v[53:54], v[12:13]
	s_waitcnt vmcnt(0)
	v_fma_f64 v[16:17], v[57:58], v[53:54], v[16:17]
	v_fma_f64 v[18:19], v[59:60], v[53:54], v[18:19]
	v_fma_f64 v[14:15], -v[51:52], v[55:56], v[14:15]
	v_fma_f64 v[12:13], v[49:50], v[55:56], v[12:13]
	v_fma_f64 v[16:17], -v[59:60], v[55:56], v[16:17]
	v_fma_f64 v[18:19], v[57:58], v[55:56], v[18:19]
	s_cbranch_scc0 .LBB293_16
; %bb.17:                               ;   in Loop: Header=BB293_15 Depth=1
	v_add_nc_u32_e32 v10, 4, v10
	v_add_nc_u32_e32 v22, 0x78, v22
	;; [unrolled: 1-line block ×3, first 2 shown]
	v_cmp_ge_i32_e32 vcc_lo, v10, v24
	s_or_b32 s0, vcc_lo, s0
	s_andn2_b32 exec_lo, exec_lo, s0
	s_cbranch_execnz .LBB293_15
; %bb.18:
	s_or_b32 exec_lo, exec_lo, s0
.LBB293_19:
	s_or_b32 exec_lo, exec_lo, s1
.LBB293_20:
	v_mbcnt_lo_u32_b32 v26, -1, 0
	v_xor_b32_e32 v10, 2, v26
	v_cmp_gt_i32_e32 vcc_lo, 32, v10
	v_cndmask_b32_e32 v10, v26, v10, vcc_lo
	v_lshlrev_b32_e32 v25, 2, v10
	ds_bpermute_b32 v10, v25, v14
	ds_bpermute_b32 v11, v25, v15
	;; [unrolled: 1-line block ×8, first 2 shown]
	s_waitcnt lgkmcnt(6)
	v_add_f64 v[10:11], v[14:15], v[10:11]
	s_waitcnt lgkmcnt(4)
	v_add_f64 v[20:21], v[12:13], v[20:21]
	;; [unrolled: 2-line block ×3, first 2 shown]
	v_xor_b32_e32 v16, 1, v26
	s_waitcnt lgkmcnt(0)
	v_add_f64 v[14:15], v[18:19], v[24:25]
	v_cmp_gt_i32_e32 vcc_lo, 32, v16
	v_cndmask_b32_e32 v16, v26, v16, vcc_lo
	v_cmp_eq_u32_e32 vcc_lo, 3, v0
	v_lshlrev_b32_e32 v23, 2, v16
	ds_bpermute_b32 v24, v23, v10
	ds_bpermute_b32 v25, v23, v11
	ds_bpermute_b32 v16, v23, v20
	ds_bpermute_b32 v17, v23, v21
	ds_bpermute_b32 v18, v23, v12
	ds_bpermute_b32 v19, v23, v13
	ds_bpermute_b32 v22, v23, v14
	ds_bpermute_b32 v23, v23, v15
	s_and_b32 exec_lo, exec_lo, vcc_lo
	s_cbranch_execz .LBB293_25
; %bb.21:
	v_cmp_eq_f64_e32 vcc_lo, 0, v[5:6]
	v_cmp_eq_f64_e64 s0, 0, v[7:8]
	s_waitcnt lgkmcnt(6)
	v_add_f64 v[10:11], v[10:11], v[24:25]
	s_waitcnt lgkmcnt(4)
	v_add_f64 v[16:17], v[20:21], v[16:17]
	s_waitcnt lgkmcnt(2)
	v_add_f64 v[12:13], v[12:13], v[18:19]
	s_waitcnt lgkmcnt(0)
	v_add_f64 v[14:15], v[14:15], v[22:23]
	s_load_dwordx2 s[2:3], s[4:5], 0x48
	s_and_b32 s0, vcc_lo, s0
	s_and_saveexec_b32 s1, s0
	s_xor_b32 s0, exec_lo, s1
	s_cbranch_execz .LBB293_23
; %bb.22:
	v_mul_f64 v[5:6], v[16:17], -v[3:4]
	v_mul_f64 v[7:8], v[1:2], v[16:17]
	v_mul_f64 v[16:17], v[14:15], -v[3:4]
	v_mul_f64 v[14:15], v[1:2], v[14:15]
	v_lshlrev_b32_e32 v9, 1, v9
	v_fma_f64 v[5:6], v[1:2], v[10:11], v[5:6]
	v_fma_f64 v[7:8], v[3:4], v[10:11], v[7:8]
	;; [unrolled: 1-line block ×4, first 2 shown]
	v_ashrrev_i32_e32 v10, 31, v9
                                        ; implicit-def: $vgpr16_vgpr17
                                        ; implicit-def: $vgpr12_vgpr13
                                        ; implicit-def: $vgpr14_vgpr15
	v_lshlrev_b64 v[9:10], 4, v[9:10]
	s_waitcnt lgkmcnt(0)
	v_add_co_u32 v9, vcc_lo, s2, v9
	v_add_co_ci_u32_e64 v10, null, s3, v10, vcc_lo
	global_store_dwordx4 v[9:10], v[5:8], off
	global_store_dwordx4 v[9:10], v[0:3], off offset:16
                                        ; implicit-def: $vgpr9
                                        ; implicit-def: $vgpr10_vgpr11
                                        ; implicit-def: $vgpr7_vgpr8
                                        ; implicit-def: $vgpr3_vgpr4
.LBB293_23:
	s_andn2_saveexec_b32 s0, s0
	s_cbranch_execz .LBB293_25
; %bb.24:
	v_lshlrev_b32_e32 v18, 1, v9
	v_mul_f64 v[28:29], v[16:17], -v[3:4]
	v_mul_f64 v[16:17], v[1:2], v[16:17]
	v_mul_f64 v[30:31], v[14:15], -v[3:4]
	v_mul_f64 v[14:15], v[1:2], v[14:15]
	v_ashrrev_i32_e32 v19, 31, v18
	v_lshlrev_b64 v[18:19], 4, v[18:19]
	s_waitcnt lgkmcnt(0)
	v_add_co_u32 v26, vcc_lo, s2, v18
	v_add_co_ci_u32_e64 v27, null, s3, v19, vcc_lo
	s_clause 0x1
	global_load_dwordx4 v[18:21], v[26:27], off
	global_load_dwordx4 v[22:25], v[26:27], off offset:16
	v_fma_f64 v[28:29], v[1:2], v[10:11], v[28:29]
	v_fma_f64 v[9:10], v[3:4], v[10:11], v[16:17]
	;; [unrolled: 1-line block ×4, first 2 shown]
	s_waitcnt vmcnt(1)
	v_fma_f64 v[11:12], v[5:6], v[18:19], v[28:29]
	v_fma_f64 v[9:10], v[7:8], v[18:19], v[9:10]
	s_waitcnt vmcnt(0)
	v_fma_f64 v[13:14], v[5:6], v[22:23], v[0:1]
	v_fma_f64 v[15:16], v[7:8], v[22:23], v[2:3]
	v_fma_f64 v[0:1], -v[7:8], v[20:21], v[11:12]
	v_fma_f64 v[2:3], v[5:6], v[20:21], v[9:10]
	v_fma_f64 v[7:8], -v[7:8], v[24:25], v[13:14]
	v_fma_f64 v[9:10], v[5:6], v[24:25], v[15:16]
	global_store_dwordx4 v[26:27], v[0:3], off
	global_store_dwordx4 v[26:27], v[7:10], off offset:16
.LBB293_25:
	s_endpgm
	.section	.rodata,"a",@progbits
	.p2align	6, 0x0
	.amdhsa_kernel _ZN9rocsparseL19gebsrmvn_2xn_kernelILj128ELj15ELj4E21rocsparse_complex_numIdEEEvi20rocsparse_direction_NS_24const_host_device_scalarIT2_EEPKiS8_PKS5_SA_S6_PS5_21rocsparse_index_base_b
		.amdhsa_group_segment_fixed_size 0
		.amdhsa_private_segment_fixed_size 0
		.amdhsa_kernarg_size 88
		.amdhsa_user_sgpr_count 6
		.amdhsa_user_sgpr_private_segment_buffer 1
		.amdhsa_user_sgpr_dispatch_ptr 0
		.amdhsa_user_sgpr_queue_ptr 0
		.amdhsa_user_sgpr_kernarg_segment_ptr 1
		.amdhsa_user_sgpr_dispatch_id 0
		.amdhsa_user_sgpr_flat_scratch_init 0
		.amdhsa_user_sgpr_private_segment_size 0
		.amdhsa_wavefront_size32 1
		.amdhsa_uses_dynamic_stack 0
		.amdhsa_system_sgpr_private_segment_wavefront_offset 0
		.amdhsa_system_sgpr_workgroup_id_x 1
		.amdhsa_system_sgpr_workgroup_id_y 0
		.amdhsa_system_sgpr_workgroup_id_z 0
		.amdhsa_system_sgpr_workgroup_info 0
		.amdhsa_system_vgpr_workitem_id 0
		.amdhsa_next_free_vgpr 62
		.amdhsa_next_free_sgpr 16
		.amdhsa_reserve_vcc 1
		.amdhsa_reserve_flat_scratch 0
		.amdhsa_float_round_mode_32 0
		.amdhsa_float_round_mode_16_64 0
		.amdhsa_float_denorm_mode_32 3
		.amdhsa_float_denorm_mode_16_64 3
		.amdhsa_dx10_clamp 1
		.amdhsa_ieee_mode 1
		.amdhsa_fp16_overflow 0
		.amdhsa_workgroup_processor_mode 1
		.amdhsa_memory_ordered 1
		.amdhsa_forward_progress 1
		.amdhsa_shared_vgpr_count 0
		.amdhsa_exception_fp_ieee_invalid_op 0
		.amdhsa_exception_fp_denorm_src 0
		.amdhsa_exception_fp_ieee_div_zero 0
		.amdhsa_exception_fp_ieee_overflow 0
		.amdhsa_exception_fp_ieee_underflow 0
		.amdhsa_exception_fp_ieee_inexact 0
		.amdhsa_exception_int_div_zero 0
	.end_amdhsa_kernel
	.section	.text._ZN9rocsparseL19gebsrmvn_2xn_kernelILj128ELj15ELj4E21rocsparse_complex_numIdEEEvi20rocsparse_direction_NS_24const_host_device_scalarIT2_EEPKiS8_PKS5_SA_S6_PS5_21rocsparse_index_base_b,"axG",@progbits,_ZN9rocsparseL19gebsrmvn_2xn_kernelILj128ELj15ELj4E21rocsparse_complex_numIdEEEvi20rocsparse_direction_NS_24const_host_device_scalarIT2_EEPKiS8_PKS5_SA_S6_PS5_21rocsparse_index_base_b,comdat
.Lfunc_end293:
	.size	_ZN9rocsparseL19gebsrmvn_2xn_kernelILj128ELj15ELj4E21rocsparse_complex_numIdEEEvi20rocsparse_direction_NS_24const_host_device_scalarIT2_EEPKiS8_PKS5_SA_S6_PS5_21rocsparse_index_base_b, .Lfunc_end293-_ZN9rocsparseL19gebsrmvn_2xn_kernelILj128ELj15ELj4E21rocsparse_complex_numIdEEEvi20rocsparse_direction_NS_24const_host_device_scalarIT2_EEPKiS8_PKS5_SA_S6_PS5_21rocsparse_index_base_b
                                        ; -- End function
	.set _ZN9rocsparseL19gebsrmvn_2xn_kernelILj128ELj15ELj4E21rocsparse_complex_numIdEEEvi20rocsparse_direction_NS_24const_host_device_scalarIT2_EEPKiS8_PKS5_SA_S6_PS5_21rocsparse_index_base_b.num_vgpr, 62
	.set _ZN9rocsparseL19gebsrmvn_2xn_kernelILj128ELj15ELj4E21rocsparse_complex_numIdEEEvi20rocsparse_direction_NS_24const_host_device_scalarIT2_EEPKiS8_PKS5_SA_S6_PS5_21rocsparse_index_base_b.num_agpr, 0
	.set _ZN9rocsparseL19gebsrmvn_2xn_kernelILj128ELj15ELj4E21rocsparse_complex_numIdEEEvi20rocsparse_direction_NS_24const_host_device_scalarIT2_EEPKiS8_PKS5_SA_S6_PS5_21rocsparse_index_base_b.numbered_sgpr, 16
	.set _ZN9rocsparseL19gebsrmvn_2xn_kernelILj128ELj15ELj4E21rocsparse_complex_numIdEEEvi20rocsparse_direction_NS_24const_host_device_scalarIT2_EEPKiS8_PKS5_SA_S6_PS5_21rocsparse_index_base_b.num_named_barrier, 0
	.set _ZN9rocsparseL19gebsrmvn_2xn_kernelILj128ELj15ELj4E21rocsparse_complex_numIdEEEvi20rocsparse_direction_NS_24const_host_device_scalarIT2_EEPKiS8_PKS5_SA_S6_PS5_21rocsparse_index_base_b.private_seg_size, 0
	.set _ZN9rocsparseL19gebsrmvn_2xn_kernelILj128ELj15ELj4E21rocsparse_complex_numIdEEEvi20rocsparse_direction_NS_24const_host_device_scalarIT2_EEPKiS8_PKS5_SA_S6_PS5_21rocsparse_index_base_b.uses_vcc, 1
	.set _ZN9rocsparseL19gebsrmvn_2xn_kernelILj128ELj15ELj4E21rocsparse_complex_numIdEEEvi20rocsparse_direction_NS_24const_host_device_scalarIT2_EEPKiS8_PKS5_SA_S6_PS5_21rocsparse_index_base_b.uses_flat_scratch, 0
	.set _ZN9rocsparseL19gebsrmvn_2xn_kernelILj128ELj15ELj4E21rocsparse_complex_numIdEEEvi20rocsparse_direction_NS_24const_host_device_scalarIT2_EEPKiS8_PKS5_SA_S6_PS5_21rocsparse_index_base_b.has_dyn_sized_stack, 0
	.set _ZN9rocsparseL19gebsrmvn_2xn_kernelILj128ELj15ELj4E21rocsparse_complex_numIdEEEvi20rocsparse_direction_NS_24const_host_device_scalarIT2_EEPKiS8_PKS5_SA_S6_PS5_21rocsparse_index_base_b.has_recursion, 0
	.set _ZN9rocsparseL19gebsrmvn_2xn_kernelILj128ELj15ELj4E21rocsparse_complex_numIdEEEvi20rocsparse_direction_NS_24const_host_device_scalarIT2_EEPKiS8_PKS5_SA_S6_PS5_21rocsparse_index_base_b.has_indirect_call, 0
	.section	.AMDGPU.csdata,"",@progbits
; Kernel info:
; codeLenInByte = 2408
; TotalNumSgprs: 18
; NumVgprs: 62
; ScratchSize: 0
; MemoryBound: 0
; FloatMode: 240
; IeeeMode: 1
; LDSByteSize: 0 bytes/workgroup (compile time only)
; SGPRBlocks: 0
; VGPRBlocks: 7
; NumSGPRsForWavesPerEU: 18
; NumVGPRsForWavesPerEU: 62
; Occupancy: 16
; WaveLimiterHint : 1
; COMPUTE_PGM_RSRC2:SCRATCH_EN: 0
; COMPUTE_PGM_RSRC2:USER_SGPR: 6
; COMPUTE_PGM_RSRC2:TRAP_HANDLER: 0
; COMPUTE_PGM_RSRC2:TGID_X_EN: 1
; COMPUTE_PGM_RSRC2:TGID_Y_EN: 0
; COMPUTE_PGM_RSRC2:TGID_Z_EN: 0
; COMPUTE_PGM_RSRC2:TIDIG_COMP_CNT: 0
	.section	.text._ZN9rocsparseL19gebsrmvn_2xn_kernelILj128ELj15ELj8E21rocsparse_complex_numIdEEEvi20rocsparse_direction_NS_24const_host_device_scalarIT2_EEPKiS8_PKS5_SA_S6_PS5_21rocsparse_index_base_b,"axG",@progbits,_ZN9rocsparseL19gebsrmvn_2xn_kernelILj128ELj15ELj8E21rocsparse_complex_numIdEEEvi20rocsparse_direction_NS_24const_host_device_scalarIT2_EEPKiS8_PKS5_SA_S6_PS5_21rocsparse_index_base_b,comdat
	.globl	_ZN9rocsparseL19gebsrmvn_2xn_kernelILj128ELj15ELj8E21rocsparse_complex_numIdEEEvi20rocsparse_direction_NS_24const_host_device_scalarIT2_EEPKiS8_PKS5_SA_S6_PS5_21rocsparse_index_base_b ; -- Begin function _ZN9rocsparseL19gebsrmvn_2xn_kernelILj128ELj15ELj8E21rocsparse_complex_numIdEEEvi20rocsparse_direction_NS_24const_host_device_scalarIT2_EEPKiS8_PKS5_SA_S6_PS5_21rocsparse_index_base_b
	.p2align	8
	.type	_ZN9rocsparseL19gebsrmvn_2xn_kernelILj128ELj15ELj8E21rocsparse_complex_numIdEEEvi20rocsparse_direction_NS_24const_host_device_scalarIT2_EEPKiS8_PKS5_SA_S6_PS5_21rocsparse_index_base_b,@function
_ZN9rocsparseL19gebsrmvn_2xn_kernelILj128ELj15ELj8E21rocsparse_complex_numIdEEEvi20rocsparse_direction_NS_24const_host_device_scalarIT2_EEPKiS8_PKS5_SA_S6_PS5_21rocsparse_index_base_b: ; @_ZN9rocsparseL19gebsrmvn_2xn_kernelILj128ELj15ELj8E21rocsparse_complex_numIdEEEvi20rocsparse_direction_NS_24const_host_device_scalarIT2_EEPKiS8_PKS5_SA_S6_PS5_21rocsparse_index_base_b
; %bb.0:
	s_clause 0x1
	s_load_dwordx2 s[2:3], s[4:5], 0x50
	s_load_dwordx2 s[0:1], s[4:5], 0x8
	s_add_u32 s7, s4, 8
	s_addc_u32 s10, s5, 0
	s_add_u32 s11, s4, 56
	s_addc_u32 s12, s5, 0
	s_load_dwordx2 s[8:9], s[4:5], 0x38
	s_waitcnt lgkmcnt(0)
	s_bitcmp1_b32 s3, 0
	s_cselect_b32 s0, s7, s0
	s_cselect_b32 s1, s10, s1
	v_mov_b32_e32 v1, s0
	v_mov_b32_e32 v2, s1
	s_cselect_b32 s0, s11, s8
	s_cselect_b32 s1, s12, s9
	v_mov_b32_e32 v5, s0
	v_mov_b32_e32 v6, s1
	flat_load_dwordx4 v[1:4], v[1:2]
	flat_load_dwordx4 v[5:8], v[5:6]
	s_waitcnt vmcnt(1) lgkmcnt(1)
	v_cmp_eq_f64_e32 vcc_lo, 0, v[1:2]
	v_cmp_eq_f64_e64 s0, 0, v[3:4]
	s_and_b32 s3, vcc_lo, s0
	s_mov_b32 s0, -1
	s_and_saveexec_b32 s1, s3
	s_cbranch_execz .LBB294_2
; %bb.1:
	s_waitcnt vmcnt(0) lgkmcnt(0)
	v_cmp_neq_f64_e32 vcc_lo, 1.0, v[5:6]
	v_cmp_neq_f64_e64 s0, 0, v[7:8]
	s_or_b32 s0, vcc_lo, s0
	s_orn2_b32 s0, s0, exec_lo
.LBB294_2:
	s_or_b32 exec_lo, exec_lo, s1
	s_and_saveexec_b32 s1, s0
	s_cbranch_execz .LBB294_25
; %bb.3:
	s_load_dwordx2 s[0:1], s[4:5], 0x0
	v_lshrrev_b32_e32 v9, 3, v0
	v_lshl_or_b32 v9, s6, 4, v9
	s_waitcnt lgkmcnt(0)
	v_cmp_gt_i32_e32 vcc_lo, s0, v9
	s_and_b32 exec_lo, exec_lo, vcc_lo
	s_cbranch_execz .LBB294_25
; %bb.4:
	s_load_dwordx8 s[8:15], s[4:5], 0x18
	v_ashrrev_i32_e32 v10, 31, v9
	v_and_b32_e32 v0, 7, v0
	s_cmp_lg_u32 s1, 0
	v_lshlrev_b64 v[10:11], 2, v[9:10]
	s_waitcnt lgkmcnt(0)
	v_add_co_u32 v10, vcc_lo, s8, v10
	v_add_co_ci_u32_e64 v11, null, s9, v11, vcc_lo
	global_load_dwordx2 v[13:14], v[10:11], off
	s_waitcnt vmcnt(0)
	v_subrev_nc_u32_e32 v10, s2, v13
	v_subrev_nc_u32_e32 v24, s2, v14
	v_add_nc_u32_e32 v12, v10, v0
	v_cmp_lt_i32_e64 s0, v12, v24
	s_cbranch_scc0 .LBB294_12
; %bb.5:
	v_mov_b32_e32 v10, 0
	v_mov_b32_e32 v14, 0
	;; [unrolled: 1-line block ×8, first 2 shown]
	s_and_saveexec_b32 s1, s0
	s_cbranch_execz .LBB294_11
; %bb.6:
	v_mul_lo_u32 v25, v12, 30
	v_mov_b32_e32 v10, 0
	v_mov_b32_e32 v14, 0
	;; [unrolled: 1-line block ×10, first 2 shown]
	s_mov_b32 s3, 0
.LBB294_7:                              ; =>This Loop Header: Depth=1
                                        ;     Child Loop BB294_8 Depth 2
	v_ashrrev_i32_e32 v23, 31, v22
	s_mov_b32 s6, 0
	v_lshlrev_b64 v[26:27], 2, v[22:23]
	v_add_co_u32 v26, vcc_lo, s10, v26
	v_add_co_ci_u32_e64 v27, null, s11, v27, vcc_lo
	global_load_dword v20, v[26:27], off
	s_waitcnt vmcnt(0)
	v_subrev_nc_u32_e32 v20, s2, v20
	v_mul_lo_u32 v23, v20, 15
	v_mov_b32_e32 v20, v25
.LBB294_8:                              ;   Parent Loop BB294_7 Depth=1
                                        ; =>  This Inner Loop Header: Depth=2
	v_add_nc_u32_e32 v50, s6, v23
	v_mov_b32_e32 v51, v21
	v_lshlrev_b64 v[26:27], 4, v[20:21]
	v_add_nc_u32_e32 v38, 2, v20
	v_mov_b32_e32 v39, v21
	v_mov_b32_e32 v41, v21
	v_lshlrev_b64 v[28:29], 4, v[50:51]
	v_add_nc_u32_e32 v40, 1, v50
	v_add_co_u32 v30, vcc_lo, s12, v26
	v_add_co_ci_u32_e64 v31, null, s13, v27, vcc_lo
	v_add_co_u32 v34, vcc_lo, s14, v28
	v_add_co_ci_u32_e64 v35, null, s15, v29, vcc_lo
	s_clause 0x1
	global_load_dwordx4 v[26:29], v[30:31], off offset:16
	global_load_dwordx4 v[30:33], v[30:31], off
	global_load_dwordx4 v[34:37], v[34:35], off
	v_lshlrev_b64 v[38:39], 4, v[38:39]
	v_lshlrev_b64 v[40:41], 4, v[40:41]
	v_add_nc_u32_e32 v51, 4, v20
	v_mov_b32_e32 v52, v21
	v_mov_b32_e32 v54, v21
	v_add_nc_u32_e32 v53, 2, v50
	v_add_co_u32 v42, vcc_lo, s12, v38
	v_add_co_ci_u32_e64 v43, null, s13, v39, vcc_lo
	v_add_co_u32 v46, vcc_lo, s14, v40
	v_add_co_ci_u32_e64 v47, null, s15, v41, vcc_lo
	s_clause 0x1
	global_load_dwordx4 v[38:41], v[42:43], off offset:16
	global_load_dwordx4 v[42:45], v[42:43], off
	global_load_dwordx4 v[46:49], v[46:47], off
	v_lshlrev_b64 v[50:51], 4, v[51:52]
	v_lshlrev_b64 v[52:53], 4, v[53:54]
	v_add_nc_u32_e32 v20, 6, v20
	s_add_i32 s6, s6, 3
	s_cmp_eq_u32 s6, 15
	v_add_co_u32 v54, vcc_lo, s12, v50
	v_add_co_ci_u32_e64 v55, null, s13, v51, vcc_lo
	v_add_co_u32 v58, vcc_lo, s14, v52
	v_add_co_ci_u32_e64 v59, null, s15, v53, vcc_lo
	s_clause 0x1
	global_load_dwordx4 v[50:53], v[54:55], off offset:16
	global_load_dwordx4 v[54:57], v[54:55], off
	global_load_dwordx4 v[58:61], v[58:59], off
	s_waitcnt vmcnt(6)
	v_fma_f64 v[14:15], v[30:31], v[34:35], v[14:15]
	v_fma_f64 v[10:11], v[32:33], v[34:35], v[10:11]
	v_fma_f64 v[16:17], v[26:27], v[34:35], v[16:17]
	v_fma_f64 v[18:19], v[28:29], v[34:35], v[18:19]
	v_fma_f64 v[14:15], -v[32:33], v[36:37], v[14:15]
	v_fma_f64 v[10:11], v[30:31], v[36:37], v[10:11]
	v_fma_f64 v[16:17], -v[28:29], v[36:37], v[16:17]
	v_fma_f64 v[18:19], v[26:27], v[36:37], v[18:19]
	s_waitcnt vmcnt(3)
	v_fma_f64 v[14:15], v[42:43], v[46:47], v[14:15]
	v_fma_f64 v[10:11], v[44:45], v[46:47], v[10:11]
	v_fma_f64 v[16:17], v[38:39], v[46:47], v[16:17]
	v_fma_f64 v[18:19], v[40:41], v[46:47], v[18:19]
	v_fma_f64 v[14:15], -v[44:45], v[48:49], v[14:15]
	v_fma_f64 v[10:11], v[42:43], v[48:49], v[10:11]
	v_fma_f64 v[16:17], -v[40:41], v[48:49], v[16:17]
	v_fma_f64 v[18:19], v[38:39], v[48:49], v[18:19]
	;; [unrolled: 9-line block ×3, first 2 shown]
	s_cbranch_scc0 .LBB294_8
; %bb.9:                                ;   in Loop: Header=BB294_7 Depth=1
	v_add_nc_u32_e32 v22, 8, v22
	v_add_nc_u32_e32 v25, 0xf0, v25
	v_cmp_ge_i32_e32 vcc_lo, v22, v24
	s_or_b32 s3, vcc_lo, s3
	s_andn2_b32 exec_lo, exec_lo, s3
	s_cbranch_execnz .LBB294_7
; %bb.10:
	s_or_b32 exec_lo, exec_lo, s3
.LBB294_11:
	s_or_b32 exec_lo, exec_lo, s1
	s_cbranch_execz .LBB294_13
	s_branch .LBB294_20
.LBB294_12:
                                        ; implicit-def: $vgpr10_vgpr11
                                        ; implicit-def: $vgpr14_vgpr15
                                        ; implicit-def: $vgpr16_vgpr17
                                        ; implicit-def: $vgpr18_vgpr19
.LBB294_13:
	v_mov_b32_e32 v10, 0
	v_mov_b32_e32 v14, 0
	;; [unrolled: 1-line block ×8, first 2 shown]
	s_and_saveexec_b32 s1, s0
	s_cbranch_execz .LBB294_19
; %bb.14:
	v_mul_lo_u32 v10, v13, 30
	v_mul_lo_u32 v22, v12, 30
	s_mul_i32 s0, s2, 30
	v_mov_b32_e32 v14, 0
	v_mov_b32_e32 v16, 0
	;; [unrolled: 1-line block ×5, first 2 shown]
	v_mad_u32_u24 v13, v0, 30, v10
	v_mov_b32_e32 v10, 0
	v_mov_b32_e32 v11, 0
	;; [unrolled: 1-line block ×4, first 2 shown]
	v_subrev_nc_u32_e32 v23, s0, v13
	s_mov_b32 s0, 0
.LBB294_15:                             ; =>This Loop Header: Depth=1
                                        ;     Child Loop BB294_16 Depth 2
	v_ashrrev_i32_e32 v13, 31, v12
	s_mov_b32 s3, 0
	v_lshlrev_b64 v[25:26], 2, v[12:13]
	v_add_co_u32 v25, vcc_lo, s10, v25
	v_add_co_ci_u32_e64 v26, null, s11, v26, vcc_lo
	global_load_dword v13, v[25:26], off
	s_waitcnt vmcnt(0)
	v_subrev_nc_u32_e32 v13, s2, v13
	v_mul_lo_u32 v13, v13, 15
.LBB294_16:                             ;   Parent Loop BB294_15 Depth=1
                                        ; =>  This Inner Loop Header: Depth=2
	v_add_nc_u32_e32 v20, s3, v23
	v_add_nc_u32_e32 v53, s3, v22
	v_mov_b32_e32 v26, v21
	v_mov_b32_e32 v38, v21
	;; [unrolled: 1-line block ×3, first 2 shown]
	v_lshlrev_b64 v[27:28], 4, v[20:21]
	v_add_nc_u32_e32 v20, s3, v13
	v_add_nc_u32_e32 v25, 15, v53
	;; [unrolled: 1-line block ×4, first 2 shown]
	v_mov_b32_e32 v40, v21
	v_lshlrev_b64 v[29:30], 4, v[20:21]
	v_lshlrev_b64 v[25:26], 4, v[25:26]
	v_add_co_u32 v27, vcc_lo, s12, v27
	v_add_co_ci_u32_e64 v28, null, s13, v28, vcc_lo
	v_add_co_u32 v29, vcc_lo, s14, v29
	v_add_co_ci_u32_e64 v30, null, s15, v30, vcc_lo
	v_add_co_u32 v33, vcc_lo, s12, v25
	v_add_co_ci_u32_e64 v34, null, s13, v26, vcc_lo
	global_load_dwordx4 v[25:28], v[27:28], off
	global_load_dwordx4 v[29:32], v[29:30], off
	;; [unrolled: 1-line block ×3, first 2 shown]
	v_add_nc_u32_e32 v39, 1, v20
	v_lshlrev_b64 v[37:38], 4, v[37:38]
	v_lshlrev_b64 v[41:42], 4, v[41:42]
	v_add_nc_u32_e32 v20, 2, v20
	v_mov_b32_e32 v50, v21
	v_lshlrev_b64 v[39:40], 4, v[39:40]
	v_add_nc_u32_e32 v49, 2, v53
	v_add_co_u32 v37, vcc_lo, s12, v37
	v_add_co_ci_u32_e64 v38, null, s13, v38, vcc_lo
	v_add_co_u32 v41, vcc_lo, s12, v41
	v_add_co_ci_u32_e64 v42, null, s13, v42, vcc_lo
	;; [unrolled: 2-line block ×3, first 2 shown]
	s_clause 0x1
	global_load_dwordx4 v[37:40], v[37:38], off
	global_load_dwordx4 v[41:44], v[41:42], off
	;; [unrolled: 1-line block ×3, first 2 shown]
	v_lshlrev_b64 v[51:52], 4, v[20:21]
	v_add_nc_u32_e32 v20, 17, v53
	v_lshlrev_b64 v[49:50], 4, v[49:50]
	s_add_i32 s3, s3, 3
	s_cmp_eq_u32 s3, 15
	v_lshlrev_b64 v[53:54], 4, v[20:21]
	v_add_co_u32 v49, vcc_lo, s12, v49
	v_add_co_ci_u32_e64 v50, null, s13, v50, vcc_lo
	v_add_co_u32 v55, vcc_lo, s14, v51
	v_add_co_ci_u32_e64 v56, null, s15, v52, vcc_lo
	;; [unrolled: 2-line block ×3, first 2 shown]
	global_load_dwordx4 v[49:52], v[49:50], off
	global_load_dwordx4 v[53:56], v[55:56], off
	;; [unrolled: 1-line block ×3, first 2 shown]
	s_waitcnt vmcnt(7)
	v_fma_f64 v[14:15], v[25:26], v[29:30], v[14:15]
	v_fma_f64 v[10:11], v[27:28], v[29:30], v[10:11]
	s_waitcnt vmcnt(6)
	v_fma_f64 v[16:17], v[33:34], v[29:30], v[16:17]
	v_fma_f64 v[18:19], v[35:36], v[29:30], v[18:19]
	v_fma_f64 v[14:15], -v[27:28], v[31:32], v[14:15]
	v_fma_f64 v[10:11], v[25:26], v[31:32], v[10:11]
	v_fma_f64 v[16:17], -v[35:36], v[31:32], v[16:17]
	v_fma_f64 v[18:19], v[33:34], v[31:32], v[18:19]
	s_waitcnt vmcnt(3)
	v_fma_f64 v[14:15], v[37:38], v[45:46], v[14:15]
	v_fma_f64 v[10:11], v[39:40], v[45:46], v[10:11]
	;; [unrolled: 1-line block ×4, first 2 shown]
	v_fma_f64 v[14:15], -v[39:40], v[47:48], v[14:15]
	v_fma_f64 v[10:11], v[37:38], v[47:48], v[10:11]
	v_fma_f64 v[16:17], -v[43:44], v[47:48], v[16:17]
	v_fma_f64 v[18:19], v[41:42], v[47:48], v[18:19]
	s_waitcnt vmcnt(1)
	v_fma_f64 v[14:15], v[49:50], v[53:54], v[14:15]
	v_fma_f64 v[10:11], v[51:52], v[53:54], v[10:11]
	s_waitcnt vmcnt(0)
	v_fma_f64 v[16:17], v[57:58], v[53:54], v[16:17]
	v_fma_f64 v[18:19], v[59:60], v[53:54], v[18:19]
	v_fma_f64 v[14:15], -v[51:52], v[55:56], v[14:15]
	v_fma_f64 v[10:11], v[49:50], v[55:56], v[10:11]
	v_fma_f64 v[16:17], -v[59:60], v[55:56], v[16:17]
	v_fma_f64 v[18:19], v[57:58], v[55:56], v[18:19]
	s_cbranch_scc0 .LBB294_16
; %bb.17:                               ;   in Loop: Header=BB294_15 Depth=1
	v_add_nc_u32_e32 v12, 8, v12
	v_add_nc_u32_e32 v22, 0xf0, v22
	;; [unrolled: 1-line block ×3, first 2 shown]
	v_cmp_ge_i32_e32 vcc_lo, v12, v24
	s_or_b32 s0, vcc_lo, s0
	s_andn2_b32 exec_lo, exec_lo, s0
	s_cbranch_execnz .LBB294_15
; %bb.18:
	s_or_b32 exec_lo, exec_lo, s0
.LBB294_19:
	s_or_b32 exec_lo, exec_lo, s1
.LBB294_20:
	v_mbcnt_lo_u32_b32 v26, -1, 0
	v_xor_b32_e32 v12, 4, v26
	v_cmp_gt_i32_e32 vcc_lo, 32, v12
	v_cndmask_b32_e32 v12, v26, v12, vcc_lo
	v_lshlrev_b32_e32 v25, 2, v12
	ds_bpermute_b32 v12, v25, v14
	ds_bpermute_b32 v13, v25, v15
	ds_bpermute_b32 v20, v25, v10
	ds_bpermute_b32 v21, v25, v11
	ds_bpermute_b32 v22, v25, v16
	ds_bpermute_b32 v23, v25, v17
	ds_bpermute_b32 v24, v25, v18
	ds_bpermute_b32 v25, v25, v19
	s_waitcnt lgkmcnt(6)
	v_add_f64 v[12:13], v[14:15], v[12:13]
	s_waitcnt lgkmcnt(4)
	v_add_f64 v[14:15], v[10:11], v[20:21]
	v_xor_b32_e32 v10, 2, v26
	s_waitcnt lgkmcnt(2)
	v_add_f64 v[20:21], v[16:17], v[22:23]
	s_waitcnt lgkmcnt(0)
	v_add_f64 v[18:19], v[18:19], v[24:25]
	v_cmp_gt_i32_e32 vcc_lo, 32, v10
	v_cndmask_b32_e32 v10, v26, v10, vcc_lo
	v_lshlrev_b32_e32 v25, 2, v10
	ds_bpermute_b32 v10, v25, v12
	ds_bpermute_b32 v11, v25, v13
	;; [unrolled: 1-line block ×8, first 2 shown]
	s_waitcnt lgkmcnt(6)
	v_add_f64 v[10:11], v[12:13], v[10:11]
	s_waitcnt lgkmcnt(4)
	v_add_f64 v[16:17], v[14:15], v[16:17]
	s_waitcnt lgkmcnt(2)
	v_add_f64 v[12:13], v[20:21], v[22:23]
	s_waitcnt lgkmcnt(0)
	v_add_f64 v[14:15], v[18:19], v[24:25]
	v_xor_b32_e32 v18, 1, v26
	v_cmp_gt_i32_e32 vcc_lo, 32, v18
	v_cndmask_b32_e32 v18, v26, v18, vcc_lo
	v_cmp_eq_u32_e32 vcc_lo, 7, v0
	v_lshlrev_b32_e32 v21, 2, v18
	ds_bpermute_b32 v24, v21, v10
	ds_bpermute_b32 v25, v21, v11
	;; [unrolled: 1-line block ×8, first 2 shown]
	s_and_b32 exec_lo, exec_lo, vcc_lo
	s_cbranch_execz .LBB294_25
; %bb.21:
	v_cmp_eq_f64_e32 vcc_lo, 0, v[5:6]
	v_cmp_eq_f64_e64 s0, 0, v[7:8]
	s_waitcnt lgkmcnt(6)
	v_add_f64 v[10:11], v[10:11], v[24:25]
	s_waitcnt lgkmcnt(4)
	v_add_f64 v[16:17], v[16:17], v[22:23]
	;; [unrolled: 2-line block ×4, first 2 shown]
	s_load_dwordx2 s[2:3], s[4:5], 0x48
	s_and_b32 s0, vcc_lo, s0
	s_and_saveexec_b32 s1, s0
	s_xor_b32 s0, exec_lo, s1
	s_cbranch_execz .LBB294_23
; %bb.22:
	v_mul_f64 v[5:6], v[16:17], -v[3:4]
	v_mul_f64 v[7:8], v[1:2], v[16:17]
	v_mul_f64 v[16:17], v[14:15], -v[3:4]
	v_mul_f64 v[14:15], v[1:2], v[14:15]
	v_lshlrev_b32_e32 v9, 1, v9
	v_fma_f64 v[5:6], v[1:2], v[10:11], v[5:6]
	v_fma_f64 v[7:8], v[3:4], v[10:11], v[7:8]
	;; [unrolled: 1-line block ×4, first 2 shown]
	v_ashrrev_i32_e32 v10, 31, v9
                                        ; implicit-def: $vgpr16_vgpr17
                                        ; implicit-def: $vgpr12_vgpr13
                                        ; implicit-def: $vgpr14_vgpr15
	v_lshlrev_b64 v[9:10], 4, v[9:10]
	s_waitcnt lgkmcnt(0)
	v_add_co_u32 v9, vcc_lo, s2, v9
	v_add_co_ci_u32_e64 v10, null, s3, v10, vcc_lo
	global_store_dwordx4 v[9:10], v[5:8], off
	global_store_dwordx4 v[9:10], v[0:3], off offset:16
                                        ; implicit-def: $vgpr9
                                        ; implicit-def: $vgpr10_vgpr11
                                        ; implicit-def: $vgpr7_vgpr8
                                        ; implicit-def: $vgpr3_vgpr4
.LBB294_23:
	s_andn2_saveexec_b32 s0, s0
	s_cbranch_execz .LBB294_25
; %bb.24:
	v_lshlrev_b32_e32 v18, 1, v9
	v_mul_f64 v[28:29], v[16:17], -v[3:4]
	v_mul_f64 v[16:17], v[1:2], v[16:17]
	v_mul_f64 v[30:31], v[14:15], -v[3:4]
	v_mul_f64 v[14:15], v[1:2], v[14:15]
	v_ashrrev_i32_e32 v19, 31, v18
	v_lshlrev_b64 v[18:19], 4, v[18:19]
	s_waitcnt lgkmcnt(0)
	v_add_co_u32 v26, vcc_lo, s2, v18
	v_add_co_ci_u32_e64 v27, null, s3, v19, vcc_lo
	s_clause 0x1
	global_load_dwordx4 v[18:21], v[26:27], off
	global_load_dwordx4 v[22:25], v[26:27], off offset:16
	v_fma_f64 v[28:29], v[1:2], v[10:11], v[28:29]
	v_fma_f64 v[9:10], v[3:4], v[10:11], v[16:17]
	;; [unrolled: 1-line block ×4, first 2 shown]
	s_waitcnt vmcnt(1)
	v_fma_f64 v[11:12], v[5:6], v[18:19], v[28:29]
	v_fma_f64 v[9:10], v[7:8], v[18:19], v[9:10]
	s_waitcnt vmcnt(0)
	v_fma_f64 v[13:14], v[5:6], v[22:23], v[0:1]
	v_fma_f64 v[15:16], v[7:8], v[22:23], v[2:3]
	v_fma_f64 v[0:1], -v[7:8], v[20:21], v[11:12]
	v_fma_f64 v[2:3], v[5:6], v[20:21], v[9:10]
	v_fma_f64 v[7:8], -v[7:8], v[24:25], v[13:14]
	v_fma_f64 v[9:10], v[5:6], v[24:25], v[15:16]
	global_store_dwordx4 v[26:27], v[0:3], off
	global_store_dwordx4 v[26:27], v[7:10], off offset:16
.LBB294_25:
	s_endpgm
	.section	.rodata,"a",@progbits
	.p2align	6, 0x0
	.amdhsa_kernel _ZN9rocsparseL19gebsrmvn_2xn_kernelILj128ELj15ELj8E21rocsparse_complex_numIdEEEvi20rocsparse_direction_NS_24const_host_device_scalarIT2_EEPKiS8_PKS5_SA_S6_PS5_21rocsparse_index_base_b
		.amdhsa_group_segment_fixed_size 0
		.amdhsa_private_segment_fixed_size 0
		.amdhsa_kernarg_size 88
		.amdhsa_user_sgpr_count 6
		.amdhsa_user_sgpr_private_segment_buffer 1
		.amdhsa_user_sgpr_dispatch_ptr 0
		.amdhsa_user_sgpr_queue_ptr 0
		.amdhsa_user_sgpr_kernarg_segment_ptr 1
		.amdhsa_user_sgpr_dispatch_id 0
		.amdhsa_user_sgpr_flat_scratch_init 0
		.amdhsa_user_sgpr_private_segment_size 0
		.amdhsa_wavefront_size32 1
		.amdhsa_uses_dynamic_stack 0
		.amdhsa_system_sgpr_private_segment_wavefront_offset 0
		.amdhsa_system_sgpr_workgroup_id_x 1
		.amdhsa_system_sgpr_workgroup_id_y 0
		.amdhsa_system_sgpr_workgroup_id_z 0
		.amdhsa_system_sgpr_workgroup_info 0
		.amdhsa_system_vgpr_workitem_id 0
		.amdhsa_next_free_vgpr 62
		.amdhsa_next_free_sgpr 16
		.amdhsa_reserve_vcc 1
		.amdhsa_reserve_flat_scratch 0
		.amdhsa_float_round_mode_32 0
		.amdhsa_float_round_mode_16_64 0
		.amdhsa_float_denorm_mode_32 3
		.amdhsa_float_denorm_mode_16_64 3
		.amdhsa_dx10_clamp 1
		.amdhsa_ieee_mode 1
		.amdhsa_fp16_overflow 0
		.amdhsa_workgroup_processor_mode 1
		.amdhsa_memory_ordered 1
		.amdhsa_forward_progress 1
		.amdhsa_shared_vgpr_count 0
		.amdhsa_exception_fp_ieee_invalid_op 0
		.amdhsa_exception_fp_denorm_src 0
		.amdhsa_exception_fp_ieee_div_zero 0
		.amdhsa_exception_fp_ieee_overflow 0
		.amdhsa_exception_fp_ieee_underflow 0
		.amdhsa_exception_fp_ieee_inexact 0
		.amdhsa_exception_int_div_zero 0
	.end_amdhsa_kernel
	.section	.text._ZN9rocsparseL19gebsrmvn_2xn_kernelILj128ELj15ELj8E21rocsparse_complex_numIdEEEvi20rocsparse_direction_NS_24const_host_device_scalarIT2_EEPKiS8_PKS5_SA_S6_PS5_21rocsparse_index_base_b,"axG",@progbits,_ZN9rocsparseL19gebsrmvn_2xn_kernelILj128ELj15ELj8E21rocsparse_complex_numIdEEEvi20rocsparse_direction_NS_24const_host_device_scalarIT2_EEPKiS8_PKS5_SA_S6_PS5_21rocsparse_index_base_b,comdat
.Lfunc_end294:
	.size	_ZN9rocsparseL19gebsrmvn_2xn_kernelILj128ELj15ELj8E21rocsparse_complex_numIdEEEvi20rocsparse_direction_NS_24const_host_device_scalarIT2_EEPKiS8_PKS5_SA_S6_PS5_21rocsparse_index_base_b, .Lfunc_end294-_ZN9rocsparseL19gebsrmvn_2xn_kernelILj128ELj15ELj8E21rocsparse_complex_numIdEEEvi20rocsparse_direction_NS_24const_host_device_scalarIT2_EEPKiS8_PKS5_SA_S6_PS5_21rocsparse_index_base_b
                                        ; -- End function
	.set _ZN9rocsparseL19gebsrmvn_2xn_kernelILj128ELj15ELj8E21rocsparse_complex_numIdEEEvi20rocsparse_direction_NS_24const_host_device_scalarIT2_EEPKiS8_PKS5_SA_S6_PS5_21rocsparse_index_base_b.num_vgpr, 62
	.set _ZN9rocsparseL19gebsrmvn_2xn_kernelILj128ELj15ELj8E21rocsparse_complex_numIdEEEvi20rocsparse_direction_NS_24const_host_device_scalarIT2_EEPKiS8_PKS5_SA_S6_PS5_21rocsparse_index_base_b.num_agpr, 0
	.set _ZN9rocsparseL19gebsrmvn_2xn_kernelILj128ELj15ELj8E21rocsparse_complex_numIdEEEvi20rocsparse_direction_NS_24const_host_device_scalarIT2_EEPKiS8_PKS5_SA_S6_PS5_21rocsparse_index_base_b.numbered_sgpr, 16
	.set _ZN9rocsparseL19gebsrmvn_2xn_kernelILj128ELj15ELj8E21rocsparse_complex_numIdEEEvi20rocsparse_direction_NS_24const_host_device_scalarIT2_EEPKiS8_PKS5_SA_S6_PS5_21rocsparse_index_base_b.num_named_barrier, 0
	.set _ZN9rocsparseL19gebsrmvn_2xn_kernelILj128ELj15ELj8E21rocsparse_complex_numIdEEEvi20rocsparse_direction_NS_24const_host_device_scalarIT2_EEPKiS8_PKS5_SA_S6_PS5_21rocsparse_index_base_b.private_seg_size, 0
	.set _ZN9rocsparseL19gebsrmvn_2xn_kernelILj128ELj15ELj8E21rocsparse_complex_numIdEEEvi20rocsparse_direction_NS_24const_host_device_scalarIT2_EEPKiS8_PKS5_SA_S6_PS5_21rocsparse_index_base_b.uses_vcc, 1
	.set _ZN9rocsparseL19gebsrmvn_2xn_kernelILj128ELj15ELj8E21rocsparse_complex_numIdEEEvi20rocsparse_direction_NS_24const_host_device_scalarIT2_EEPKiS8_PKS5_SA_S6_PS5_21rocsparse_index_base_b.uses_flat_scratch, 0
	.set _ZN9rocsparseL19gebsrmvn_2xn_kernelILj128ELj15ELj8E21rocsparse_complex_numIdEEEvi20rocsparse_direction_NS_24const_host_device_scalarIT2_EEPKiS8_PKS5_SA_S6_PS5_21rocsparse_index_base_b.has_dyn_sized_stack, 0
	.set _ZN9rocsparseL19gebsrmvn_2xn_kernelILj128ELj15ELj8E21rocsparse_complex_numIdEEEvi20rocsparse_direction_NS_24const_host_device_scalarIT2_EEPKiS8_PKS5_SA_S6_PS5_21rocsparse_index_base_b.has_recursion, 0
	.set _ZN9rocsparseL19gebsrmvn_2xn_kernelILj128ELj15ELj8E21rocsparse_complex_numIdEEEvi20rocsparse_direction_NS_24const_host_device_scalarIT2_EEPKiS8_PKS5_SA_S6_PS5_21rocsparse_index_base_b.has_indirect_call, 0
	.section	.AMDGPU.csdata,"",@progbits
; Kernel info:
; codeLenInByte = 2536
; TotalNumSgprs: 18
; NumVgprs: 62
; ScratchSize: 0
; MemoryBound: 0
; FloatMode: 240
; IeeeMode: 1
; LDSByteSize: 0 bytes/workgroup (compile time only)
; SGPRBlocks: 0
; VGPRBlocks: 7
; NumSGPRsForWavesPerEU: 18
; NumVGPRsForWavesPerEU: 62
; Occupancy: 16
; WaveLimiterHint : 1
; COMPUTE_PGM_RSRC2:SCRATCH_EN: 0
; COMPUTE_PGM_RSRC2:USER_SGPR: 6
; COMPUTE_PGM_RSRC2:TRAP_HANDLER: 0
; COMPUTE_PGM_RSRC2:TGID_X_EN: 1
; COMPUTE_PGM_RSRC2:TGID_Y_EN: 0
; COMPUTE_PGM_RSRC2:TGID_Z_EN: 0
; COMPUTE_PGM_RSRC2:TIDIG_COMP_CNT: 0
	.section	.text._ZN9rocsparseL19gebsrmvn_2xn_kernelILj128ELj15ELj16E21rocsparse_complex_numIdEEEvi20rocsparse_direction_NS_24const_host_device_scalarIT2_EEPKiS8_PKS5_SA_S6_PS5_21rocsparse_index_base_b,"axG",@progbits,_ZN9rocsparseL19gebsrmvn_2xn_kernelILj128ELj15ELj16E21rocsparse_complex_numIdEEEvi20rocsparse_direction_NS_24const_host_device_scalarIT2_EEPKiS8_PKS5_SA_S6_PS5_21rocsparse_index_base_b,comdat
	.globl	_ZN9rocsparseL19gebsrmvn_2xn_kernelILj128ELj15ELj16E21rocsparse_complex_numIdEEEvi20rocsparse_direction_NS_24const_host_device_scalarIT2_EEPKiS8_PKS5_SA_S6_PS5_21rocsparse_index_base_b ; -- Begin function _ZN9rocsparseL19gebsrmvn_2xn_kernelILj128ELj15ELj16E21rocsparse_complex_numIdEEEvi20rocsparse_direction_NS_24const_host_device_scalarIT2_EEPKiS8_PKS5_SA_S6_PS5_21rocsparse_index_base_b
	.p2align	8
	.type	_ZN9rocsparseL19gebsrmvn_2xn_kernelILj128ELj15ELj16E21rocsparse_complex_numIdEEEvi20rocsparse_direction_NS_24const_host_device_scalarIT2_EEPKiS8_PKS5_SA_S6_PS5_21rocsparse_index_base_b,@function
_ZN9rocsparseL19gebsrmvn_2xn_kernelILj128ELj15ELj16E21rocsparse_complex_numIdEEEvi20rocsparse_direction_NS_24const_host_device_scalarIT2_EEPKiS8_PKS5_SA_S6_PS5_21rocsparse_index_base_b: ; @_ZN9rocsparseL19gebsrmvn_2xn_kernelILj128ELj15ELj16E21rocsparse_complex_numIdEEEvi20rocsparse_direction_NS_24const_host_device_scalarIT2_EEPKiS8_PKS5_SA_S6_PS5_21rocsparse_index_base_b
; %bb.0:
	s_clause 0x1
	s_load_dwordx2 s[2:3], s[4:5], 0x50
	s_load_dwordx2 s[0:1], s[4:5], 0x8
	s_add_u32 s7, s4, 8
	s_addc_u32 s10, s5, 0
	s_add_u32 s11, s4, 56
	s_addc_u32 s12, s5, 0
	s_load_dwordx2 s[8:9], s[4:5], 0x38
	s_waitcnt lgkmcnt(0)
	s_bitcmp1_b32 s3, 0
	s_cselect_b32 s0, s7, s0
	s_cselect_b32 s1, s10, s1
	v_mov_b32_e32 v1, s0
	v_mov_b32_e32 v2, s1
	s_cselect_b32 s0, s11, s8
	s_cselect_b32 s1, s12, s9
	v_mov_b32_e32 v5, s0
	v_mov_b32_e32 v6, s1
	flat_load_dwordx4 v[1:4], v[1:2]
	flat_load_dwordx4 v[5:8], v[5:6]
	s_waitcnt vmcnt(1) lgkmcnt(1)
	v_cmp_eq_f64_e32 vcc_lo, 0, v[1:2]
	v_cmp_eq_f64_e64 s0, 0, v[3:4]
	s_and_b32 s3, vcc_lo, s0
	s_mov_b32 s0, -1
	s_and_saveexec_b32 s1, s3
	s_cbranch_execz .LBB295_2
; %bb.1:
	s_waitcnt vmcnt(0) lgkmcnt(0)
	v_cmp_neq_f64_e32 vcc_lo, 1.0, v[5:6]
	v_cmp_neq_f64_e64 s0, 0, v[7:8]
	s_or_b32 s0, vcc_lo, s0
	s_orn2_b32 s0, s0, exec_lo
.LBB295_2:
	s_or_b32 exec_lo, exec_lo, s1
	s_and_saveexec_b32 s1, s0
	s_cbranch_execz .LBB295_25
; %bb.3:
	s_load_dwordx2 s[0:1], s[4:5], 0x0
	v_lshrrev_b32_e32 v9, 4, v0
	v_lshl_or_b32 v9, s6, 3, v9
	s_waitcnt lgkmcnt(0)
	v_cmp_gt_i32_e32 vcc_lo, s0, v9
	s_and_b32 exec_lo, exec_lo, vcc_lo
	s_cbranch_execz .LBB295_25
; %bb.4:
	s_load_dwordx8 s[8:15], s[4:5], 0x18
	v_ashrrev_i32_e32 v10, 31, v9
	v_and_b32_e32 v0, 15, v0
	s_cmp_lg_u32 s1, 0
	v_lshlrev_b64 v[10:11], 2, v[9:10]
	s_waitcnt lgkmcnt(0)
	v_add_co_u32 v10, vcc_lo, s8, v10
	v_add_co_ci_u32_e64 v11, null, s9, v11, vcc_lo
	global_load_dwordx2 v[15:16], v[10:11], off
	s_waitcnt vmcnt(0)
	v_subrev_nc_u32_e32 v10, s2, v15
	v_subrev_nc_u32_e32 v24, s2, v16
	v_add_nc_u32_e32 v14, v10, v0
	v_cmp_lt_i32_e64 s0, v14, v24
	s_cbranch_scc0 .LBB295_12
; %bb.5:
	v_mov_b32_e32 v10, 0
	v_mov_b32_e32 v12, 0
	v_mov_b32_e32 v16, 0
	v_mov_b32_e32 v18, 0
	v_mov_b32_e32 v11, 0
	v_mov_b32_e32 v13, 0
	v_mov_b32_e32 v17, 0
	v_mov_b32_e32 v19, 0
	s_and_saveexec_b32 s1, s0
	s_cbranch_execz .LBB295_11
; %bb.6:
	v_mul_lo_u32 v25, v14, 30
	v_mov_b32_e32 v10, 0
	v_mov_b32_e32 v12, 0
	;; [unrolled: 1-line block ×10, first 2 shown]
	s_mov_b32 s3, 0
.LBB295_7:                              ; =>This Loop Header: Depth=1
                                        ;     Child Loop BB295_8 Depth 2
	v_ashrrev_i32_e32 v23, 31, v22
	s_mov_b32 s6, 0
	v_lshlrev_b64 v[26:27], 2, v[22:23]
	v_add_co_u32 v26, vcc_lo, s10, v26
	v_add_co_ci_u32_e64 v27, null, s11, v27, vcc_lo
	global_load_dword v20, v[26:27], off
	s_waitcnt vmcnt(0)
	v_subrev_nc_u32_e32 v20, s2, v20
	v_mul_lo_u32 v23, v20, 15
	v_mov_b32_e32 v20, v25
.LBB295_8:                              ;   Parent Loop BB295_7 Depth=1
                                        ; =>  This Inner Loop Header: Depth=2
	v_add_nc_u32_e32 v50, s6, v23
	v_mov_b32_e32 v51, v21
	v_lshlrev_b64 v[26:27], 4, v[20:21]
	v_add_nc_u32_e32 v38, 2, v20
	v_mov_b32_e32 v39, v21
	v_mov_b32_e32 v41, v21
	v_lshlrev_b64 v[28:29], 4, v[50:51]
	v_add_nc_u32_e32 v40, 1, v50
	v_add_co_u32 v30, vcc_lo, s12, v26
	v_add_co_ci_u32_e64 v31, null, s13, v27, vcc_lo
	v_add_co_u32 v34, vcc_lo, s14, v28
	v_add_co_ci_u32_e64 v35, null, s15, v29, vcc_lo
	s_clause 0x1
	global_load_dwordx4 v[26:29], v[30:31], off offset:16
	global_load_dwordx4 v[30:33], v[30:31], off
	global_load_dwordx4 v[34:37], v[34:35], off
	v_lshlrev_b64 v[38:39], 4, v[38:39]
	v_lshlrev_b64 v[40:41], 4, v[40:41]
	v_add_nc_u32_e32 v51, 4, v20
	v_mov_b32_e32 v52, v21
	v_mov_b32_e32 v54, v21
	v_add_nc_u32_e32 v53, 2, v50
	v_add_co_u32 v42, vcc_lo, s12, v38
	v_add_co_ci_u32_e64 v43, null, s13, v39, vcc_lo
	v_add_co_u32 v46, vcc_lo, s14, v40
	v_add_co_ci_u32_e64 v47, null, s15, v41, vcc_lo
	s_clause 0x1
	global_load_dwordx4 v[38:41], v[42:43], off offset:16
	global_load_dwordx4 v[42:45], v[42:43], off
	global_load_dwordx4 v[46:49], v[46:47], off
	v_lshlrev_b64 v[50:51], 4, v[51:52]
	v_lshlrev_b64 v[52:53], 4, v[53:54]
	v_add_nc_u32_e32 v20, 6, v20
	s_add_i32 s6, s6, 3
	s_cmp_eq_u32 s6, 15
	v_add_co_u32 v54, vcc_lo, s12, v50
	v_add_co_ci_u32_e64 v55, null, s13, v51, vcc_lo
	v_add_co_u32 v58, vcc_lo, s14, v52
	v_add_co_ci_u32_e64 v59, null, s15, v53, vcc_lo
	s_clause 0x1
	global_load_dwordx4 v[50:53], v[54:55], off offset:16
	global_load_dwordx4 v[54:57], v[54:55], off
	global_load_dwordx4 v[58:61], v[58:59], off
	s_waitcnt vmcnt(6)
	v_fma_f64 v[12:13], v[30:31], v[34:35], v[12:13]
	v_fma_f64 v[10:11], v[32:33], v[34:35], v[10:11]
	v_fma_f64 v[16:17], v[26:27], v[34:35], v[16:17]
	v_fma_f64 v[18:19], v[28:29], v[34:35], v[18:19]
	v_fma_f64 v[12:13], -v[32:33], v[36:37], v[12:13]
	v_fma_f64 v[10:11], v[30:31], v[36:37], v[10:11]
	v_fma_f64 v[16:17], -v[28:29], v[36:37], v[16:17]
	v_fma_f64 v[18:19], v[26:27], v[36:37], v[18:19]
	s_waitcnt vmcnt(3)
	v_fma_f64 v[12:13], v[42:43], v[46:47], v[12:13]
	v_fma_f64 v[10:11], v[44:45], v[46:47], v[10:11]
	v_fma_f64 v[16:17], v[38:39], v[46:47], v[16:17]
	v_fma_f64 v[18:19], v[40:41], v[46:47], v[18:19]
	v_fma_f64 v[12:13], -v[44:45], v[48:49], v[12:13]
	v_fma_f64 v[10:11], v[42:43], v[48:49], v[10:11]
	v_fma_f64 v[16:17], -v[40:41], v[48:49], v[16:17]
	v_fma_f64 v[18:19], v[38:39], v[48:49], v[18:19]
	;; [unrolled: 9-line block ×3, first 2 shown]
	s_cbranch_scc0 .LBB295_8
; %bb.9:                                ;   in Loop: Header=BB295_7 Depth=1
	v_add_nc_u32_e32 v22, 16, v22
	v_add_nc_u32_e32 v25, 0x1e0, v25
	v_cmp_ge_i32_e32 vcc_lo, v22, v24
	s_or_b32 s3, vcc_lo, s3
	s_andn2_b32 exec_lo, exec_lo, s3
	s_cbranch_execnz .LBB295_7
; %bb.10:
	s_or_b32 exec_lo, exec_lo, s3
.LBB295_11:
	s_or_b32 exec_lo, exec_lo, s1
	s_cbranch_execz .LBB295_13
	s_branch .LBB295_20
.LBB295_12:
                                        ; implicit-def: $vgpr10_vgpr11
                                        ; implicit-def: $vgpr12_vgpr13
                                        ; implicit-def: $vgpr16_vgpr17
                                        ; implicit-def: $vgpr18_vgpr19
.LBB295_13:
	v_mov_b32_e32 v10, 0
	v_mov_b32_e32 v12, 0
	;; [unrolled: 1-line block ×8, first 2 shown]
	s_and_saveexec_b32 s1, s0
	s_cbranch_execz .LBB295_19
; %bb.14:
	v_mul_lo_u32 v10, v15, 30
	v_mul_lo_u32 v22, v14, 30
	s_mul_i32 s0, s2, 30
	v_mov_b32_e32 v12, 0
	v_mov_b32_e32 v16, 0
	;; [unrolled: 1-line block ×5, first 2 shown]
	v_mad_u32_u24 v15, v0, 30, v10
	v_mov_b32_e32 v10, 0
	v_mov_b32_e32 v11, 0
	;; [unrolled: 1-line block ×4, first 2 shown]
	v_subrev_nc_u32_e32 v23, s0, v15
	s_mov_b32 s0, 0
.LBB295_15:                             ; =>This Loop Header: Depth=1
                                        ;     Child Loop BB295_16 Depth 2
	v_ashrrev_i32_e32 v15, 31, v14
	s_mov_b32 s3, 0
	v_lshlrev_b64 v[25:26], 2, v[14:15]
	v_add_co_u32 v25, vcc_lo, s10, v25
	v_add_co_ci_u32_e64 v26, null, s11, v26, vcc_lo
	global_load_dword v15, v[25:26], off
	s_waitcnt vmcnt(0)
	v_subrev_nc_u32_e32 v15, s2, v15
	v_mul_lo_u32 v15, v15, 15
.LBB295_16:                             ;   Parent Loop BB295_15 Depth=1
                                        ; =>  This Inner Loop Header: Depth=2
	v_add_nc_u32_e32 v20, s3, v23
	v_add_nc_u32_e32 v53, s3, v22
	v_mov_b32_e32 v26, v21
	v_mov_b32_e32 v38, v21
	;; [unrolled: 1-line block ×3, first 2 shown]
	v_lshlrev_b64 v[27:28], 4, v[20:21]
	v_add_nc_u32_e32 v20, s3, v15
	v_add_nc_u32_e32 v25, 15, v53
	;; [unrolled: 1-line block ×4, first 2 shown]
	v_mov_b32_e32 v40, v21
	v_lshlrev_b64 v[29:30], 4, v[20:21]
	v_lshlrev_b64 v[25:26], 4, v[25:26]
	v_add_co_u32 v27, vcc_lo, s12, v27
	v_add_co_ci_u32_e64 v28, null, s13, v28, vcc_lo
	v_add_co_u32 v29, vcc_lo, s14, v29
	v_add_co_ci_u32_e64 v30, null, s15, v30, vcc_lo
	v_add_co_u32 v33, vcc_lo, s12, v25
	v_add_co_ci_u32_e64 v34, null, s13, v26, vcc_lo
	global_load_dwordx4 v[25:28], v[27:28], off
	global_load_dwordx4 v[29:32], v[29:30], off
	;; [unrolled: 1-line block ×3, first 2 shown]
	v_add_nc_u32_e32 v39, 1, v20
	v_lshlrev_b64 v[37:38], 4, v[37:38]
	v_lshlrev_b64 v[41:42], 4, v[41:42]
	v_add_nc_u32_e32 v20, 2, v20
	v_mov_b32_e32 v50, v21
	v_lshlrev_b64 v[39:40], 4, v[39:40]
	v_add_nc_u32_e32 v49, 2, v53
	v_add_co_u32 v37, vcc_lo, s12, v37
	v_add_co_ci_u32_e64 v38, null, s13, v38, vcc_lo
	v_add_co_u32 v41, vcc_lo, s12, v41
	v_add_co_ci_u32_e64 v42, null, s13, v42, vcc_lo
	;; [unrolled: 2-line block ×3, first 2 shown]
	s_clause 0x1
	global_load_dwordx4 v[37:40], v[37:38], off
	global_load_dwordx4 v[41:44], v[41:42], off
	;; [unrolled: 1-line block ×3, first 2 shown]
	v_lshlrev_b64 v[51:52], 4, v[20:21]
	v_add_nc_u32_e32 v20, 17, v53
	v_lshlrev_b64 v[49:50], 4, v[49:50]
	s_add_i32 s3, s3, 3
	s_cmp_eq_u32 s3, 15
	v_lshlrev_b64 v[53:54], 4, v[20:21]
	v_add_co_u32 v49, vcc_lo, s12, v49
	v_add_co_ci_u32_e64 v50, null, s13, v50, vcc_lo
	v_add_co_u32 v55, vcc_lo, s14, v51
	v_add_co_ci_u32_e64 v56, null, s15, v52, vcc_lo
	;; [unrolled: 2-line block ×3, first 2 shown]
	global_load_dwordx4 v[49:52], v[49:50], off
	global_load_dwordx4 v[53:56], v[55:56], off
	;; [unrolled: 1-line block ×3, first 2 shown]
	s_waitcnt vmcnt(7)
	v_fma_f64 v[12:13], v[25:26], v[29:30], v[12:13]
	v_fma_f64 v[10:11], v[27:28], v[29:30], v[10:11]
	s_waitcnt vmcnt(6)
	v_fma_f64 v[16:17], v[33:34], v[29:30], v[16:17]
	v_fma_f64 v[18:19], v[35:36], v[29:30], v[18:19]
	v_fma_f64 v[12:13], -v[27:28], v[31:32], v[12:13]
	v_fma_f64 v[10:11], v[25:26], v[31:32], v[10:11]
	v_fma_f64 v[16:17], -v[35:36], v[31:32], v[16:17]
	v_fma_f64 v[18:19], v[33:34], v[31:32], v[18:19]
	s_waitcnt vmcnt(3)
	v_fma_f64 v[12:13], v[37:38], v[45:46], v[12:13]
	v_fma_f64 v[10:11], v[39:40], v[45:46], v[10:11]
	;; [unrolled: 1-line block ×4, first 2 shown]
	v_fma_f64 v[12:13], -v[39:40], v[47:48], v[12:13]
	v_fma_f64 v[10:11], v[37:38], v[47:48], v[10:11]
	v_fma_f64 v[16:17], -v[43:44], v[47:48], v[16:17]
	v_fma_f64 v[18:19], v[41:42], v[47:48], v[18:19]
	s_waitcnt vmcnt(1)
	v_fma_f64 v[12:13], v[49:50], v[53:54], v[12:13]
	v_fma_f64 v[10:11], v[51:52], v[53:54], v[10:11]
	s_waitcnt vmcnt(0)
	v_fma_f64 v[16:17], v[57:58], v[53:54], v[16:17]
	v_fma_f64 v[18:19], v[59:60], v[53:54], v[18:19]
	v_fma_f64 v[12:13], -v[51:52], v[55:56], v[12:13]
	v_fma_f64 v[10:11], v[49:50], v[55:56], v[10:11]
	v_fma_f64 v[16:17], -v[59:60], v[55:56], v[16:17]
	v_fma_f64 v[18:19], v[57:58], v[55:56], v[18:19]
	s_cbranch_scc0 .LBB295_16
; %bb.17:                               ;   in Loop: Header=BB295_15 Depth=1
	v_add_nc_u32_e32 v14, 16, v14
	v_add_nc_u32_e32 v22, 0x1e0, v22
	;; [unrolled: 1-line block ×3, first 2 shown]
	v_cmp_ge_i32_e32 vcc_lo, v14, v24
	s_or_b32 s0, vcc_lo, s0
	s_andn2_b32 exec_lo, exec_lo, s0
	s_cbranch_execnz .LBB295_15
; %bb.18:
	s_or_b32 exec_lo, exec_lo, s0
.LBB295_19:
	s_or_b32 exec_lo, exec_lo, s1
.LBB295_20:
	v_mbcnt_lo_u32_b32 v26, -1, 0
	v_xor_b32_e32 v14, 8, v26
	v_cmp_gt_i32_e32 vcc_lo, 32, v14
	v_cndmask_b32_e32 v14, v26, v14, vcc_lo
	v_lshlrev_b32_e32 v25, 2, v14
	ds_bpermute_b32 v14, v25, v12
	ds_bpermute_b32 v15, v25, v13
	ds_bpermute_b32 v20, v25, v10
	ds_bpermute_b32 v21, v25, v11
	ds_bpermute_b32 v22, v25, v16
	ds_bpermute_b32 v23, v25, v17
	ds_bpermute_b32 v24, v25, v18
	ds_bpermute_b32 v25, v25, v19
	s_waitcnt lgkmcnt(6)
	v_add_f64 v[12:13], v[12:13], v[14:15]
	s_waitcnt lgkmcnt(4)
	v_add_f64 v[10:11], v[10:11], v[20:21]
	v_xor_b32_e32 v20, 4, v26
	s_waitcnt lgkmcnt(2)
	v_add_f64 v[14:15], v[16:17], v[22:23]
	s_waitcnt lgkmcnt(0)
	v_add_f64 v[16:17], v[18:19], v[24:25]
	v_cmp_gt_i32_e32 vcc_lo, 32, v20
	v_cndmask_b32_e32 v18, v26, v20, vcc_lo
	v_lshlrev_b32_e32 v25, 2, v18
	ds_bpermute_b32 v18, v25, v12
	ds_bpermute_b32 v19, v25, v13
	ds_bpermute_b32 v20, v25, v10
	ds_bpermute_b32 v21, v25, v11
	ds_bpermute_b32 v22, v25, v14
	ds_bpermute_b32 v23, v25, v15
	ds_bpermute_b32 v24, v25, v16
	ds_bpermute_b32 v25, v25, v17
	s_waitcnt lgkmcnt(6)
	v_add_f64 v[12:13], v[12:13], v[18:19]
	s_waitcnt lgkmcnt(4)
	v_add_f64 v[18:19], v[10:11], v[20:21]
	v_xor_b32_e32 v10, 2, v26
	s_waitcnt lgkmcnt(2)
	v_add_f64 v[14:15], v[14:15], v[22:23]
	s_waitcnt lgkmcnt(0)
	v_add_f64 v[20:21], v[16:17], v[24:25]
	;; [unrolled: 20-line block ×3, first 2 shown]
	v_cmp_gt_i32_e32 vcc_lo, 32, v18
	v_cndmask_b32_e32 v18, v26, v18, vcc_lo
	v_cmp_eq_u32_e32 vcc_lo, 15, v0
	v_lshlrev_b32_e32 v21, 2, v18
	ds_bpermute_b32 v24, v21, v10
	ds_bpermute_b32 v25, v21, v11
	;; [unrolled: 1-line block ×8, first 2 shown]
	s_and_b32 exec_lo, exec_lo, vcc_lo
	s_cbranch_execz .LBB295_25
; %bb.21:
	v_cmp_eq_f64_e32 vcc_lo, 0, v[5:6]
	v_cmp_eq_f64_e64 s0, 0, v[7:8]
	s_waitcnt lgkmcnt(6)
	v_add_f64 v[10:11], v[10:11], v[24:25]
	s_waitcnt lgkmcnt(4)
	v_add_f64 v[16:17], v[16:17], v[22:23]
	;; [unrolled: 2-line block ×4, first 2 shown]
	s_load_dwordx2 s[2:3], s[4:5], 0x48
	s_and_b32 s0, vcc_lo, s0
	s_and_saveexec_b32 s1, s0
	s_xor_b32 s0, exec_lo, s1
	s_cbranch_execz .LBB295_23
; %bb.22:
	v_mul_f64 v[5:6], v[16:17], -v[3:4]
	v_mul_f64 v[7:8], v[1:2], v[16:17]
	v_mul_f64 v[16:17], v[14:15], -v[3:4]
	v_mul_f64 v[14:15], v[1:2], v[14:15]
	v_lshlrev_b32_e32 v9, 1, v9
	v_fma_f64 v[5:6], v[1:2], v[10:11], v[5:6]
	v_fma_f64 v[7:8], v[3:4], v[10:11], v[7:8]
	;; [unrolled: 1-line block ×4, first 2 shown]
	v_ashrrev_i32_e32 v10, 31, v9
                                        ; implicit-def: $vgpr16_vgpr17
                                        ; implicit-def: $vgpr12_vgpr13
                                        ; implicit-def: $vgpr14_vgpr15
	v_lshlrev_b64 v[9:10], 4, v[9:10]
	s_waitcnt lgkmcnt(0)
	v_add_co_u32 v9, vcc_lo, s2, v9
	v_add_co_ci_u32_e64 v10, null, s3, v10, vcc_lo
	global_store_dwordx4 v[9:10], v[5:8], off
	global_store_dwordx4 v[9:10], v[0:3], off offset:16
                                        ; implicit-def: $vgpr9
                                        ; implicit-def: $vgpr10_vgpr11
                                        ; implicit-def: $vgpr7_vgpr8
                                        ; implicit-def: $vgpr3_vgpr4
.LBB295_23:
	s_andn2_saveexec_b32 s0, s0
	s_cbranch_execz .LBB295_25
; %bb.24:
	v_lshlrev_b32_e32 v18, 1, v9
	v_mul_f64 v[28:29], v[16:17], -v[3:4]
	v_mul_f64 v[16:17], v[1:2], v[16:17]
	v_mul_f64 v[30:31], v[14:15], -v[3:4]
	v_mul_f64 v[14:15], v[1:2], v[14:15]
	v_ashrrev_i32_e32 v19, 31, v18
	v_lshlrev_b64 v[18:19], 4, v[18:19]
	s_waitcnt lgkmcnt(0)
	v_add_co_u32 v26, vcc_lo, s2, v18
	v_add_co_ci_u32_e64 v27, null, s3, v19, vcc_lo
	s_clause 0x1
	global_load_dwordx4 v[18:21], v[26:27], off
	global_load_dwordx4 v[22:25], v[26:27], off offset:16
	v_fma_f64 v[28:29], v[1:2], v[10:11], v[28:29]
	v_fma_f64 v[9:10], v[3:4], v[10:11], v[16:17]
	;; [unrolled: 1-line block ×4, first 2 shown]
	s_waitcnt vmcnt(1)
	v_fma_f64 v[11:12], v[5:6], v[18:19], v[28:29]
	v_fma_f64 v[9:10], v[7:8], v[18:19], v[9:10]
	s_waitcnt vmcnt(0)
	v_fma_f64 v[13:14], v[5:6], v[22:23], v[0:1]
	v_fma_f64 v[15:16], v[7:8], v[22:23], v[2:3]
	v_fma_f64 v[0:1], -v[7:8], v[20:21], v[11:12]
	v_fma_f64 v[2:3], v[5:6], v[20:21], v[9:10]
	v_fma_f64 v[7:8], -v[7:8], v[24:25], v[13:14]
	v_fma_f64 v[9:10], v[5:6], v[24:25], v[15:16]
	global_store_dwordx4 v[26:27], v[0:3], off
	global_store_dwordx4 v[26:27], v[7:10], off offset:16
.LBB295_25:
	s_endpgm
	.section	.rodata,"a",@progbits
	.p2align	6, 0x0
	.amdhsa_kernel _ZN9rocsparseL19gebsrmvn_2xn_kernelILj128ELj15ELj16E21rocsparse_complex_numIdEEEvi20rocsparse_direction_NS_24const_host_device_scalarIT2_EEPKiS8_PKS5_SA_S6_PS5_21rocsparse_index_base_b
		.amdhsa_group_segment_fixed_size 0
		.amdhsa_private_segment_fixed_size 0
		.amdhsa_kernarg_size 88
		.amdhsa_user_sgpr_count 6
		.amdhsa_user_sgpr_private_segment_buffer 1
		.amdhsa_user_sgpr_dispatch_ptr 0
		.amdhsa_user_sgpr_queue_ptr 0
		.amdhsa_user_sgpr_kernarg_segment_ptr 1
		.amdhsa_user_sgpr_dispatch_id 0
		.amdhsa_user_sgpr_flat_scratch_init 0
		.amdhsa_user_sgpr_private_segment_size 0
		.amdhsa_wavefront_size32 1
		.amdhsa_uses_dynamic_stack 0
		.amdhsa_system_sgpr_private_segment_wavefront_offset 0
		.amdhsa_system_sgpr_workgroup_id_x 1
		.amdhsa_system_sgpr_workgroup_id_y 0
		.amdhsa_system_sgpr_workgroup_id_z 0
		.amdhsa_system_sgpr_workgroup_info 0
		.amdhsa_system_vgpr_workitem_id 0
		.amdhsa_next_free_vgpr 62
		.amdhsa_next_free_sgpr 16
		.amdhsa_reserve_vcc 1
		.amdhsa_reserve_flat_scratch 0
		.amdhsa_float_round_mode_32 0
		.amdhsa_float_round_mode_16_64 0
		.amdhsa_float_denorm_mode_32 3
		.amdhsa_float_denorm_mode_16_64 3
		.amdhsa_dx10_clamp 1
		.amdhsa_ieee_mode 1
		.amdhsa_fp16_overflow 0
		.amdhsa_workgroup_processor_mode 1
		.amdhsa_memory_ordered 1
		.amdhsa_forward_progress 1
		.amdhsa_shared_vgpr_count 0
		.amdhsa_exception_fp_ieee_invalid_op 0
		.amdhsa_exception_fp_denorm_src 0
		.amdhsa_exception_fp_ieee_div_zero 0
		.amdhsa_exception_fp_ieee_overflow 0
		.amdhsa_exception_fp_ieee_underflow 0
		.amdhsa_exception_fp_ieee_inexact 0
		.amdhsa_exception_int_div_zero 0
	.end_amdhsa_kernel
	.section	.text._ZN9rocsparseL19gebsrmvn_2xn_kernelILj128ELj15ELj16E21rocsparse_complex_numIdEEEvi20rocsparse_direction_NS_24const_host_device_scalarIT2_EEPKiS8_PKS5_SA_S6_PS5_21rocsparse_index_base_b,"axG",@progbits,_ZN9rocsparseL19gebsrmvn_2xn_kernelILj128ELj15ELj16E21rocsparse_complex_numIdEEEvi20rocsparse_direction_NS_24const_host_device_scalarIT2_EEPKiS8_PKS5_SA_S6_PS5_21rocsparse_index_base_b,comdat
.Lfunc_end295:
	.size	_ZN9rocsparseL19gebsrmvn_2xn_kernelILj128ELj15ELj16E21rocsparse_complex_numIdEEEvi20rocsparse_direction_NS_24const_host_device_scalarIT2_EEPKiS8_PKS5_SA_S6_PS5_21rocsparse_index_base_b, .Lfunc_end295-_ZN9rocsparseL19gebsrmvn_2xn_kernelILj128ELj15ELj16E21rocsparse_complex_numIdEEEvi20rocsparse_direction_NS_24const_host_device_scalarIT2_EEPKiS8_PKS5_SA_S6_PS5_21rocsparse_index_base_b
                                        ; -- End function
	.set _ZN9rocsparseL19gebsrmvn_2xn_kernelILj128ELj15ELj16E21rocsparse_complex_numIdEEEvi20rocsparse_direction_NS_24const_host_device_scalarIT2_EEPKiS8_PKS5_SA_S6_PS5_21rocsparse_index_base_b.num_vgpr, 62
	.set _ZN9rocsparseL19gebsrmvn_2xn_kernelILj128ELj15ELj16E21rocsparse_complex_numIdEEEvi20rocsparse_direction_NS_24const_host_device_scalarIT2_EEPKiS8_PKS5_SA_S6_PS5_21rocsparse_index_base_b.num_agpr, 0
	.set _ZN9rocsparseL19gebsrmvn_2xn_kernelILj128ELj15ELj16E21rocsparse_complex_numIdEEEvi20rocsparse_direction_NS_24const_host_device_scalarIT2_EEPKiS8_PKS5_SA_S6_PS5_21rocsparse_index_base_b.numbered_sgpr, 16
	.set _ZN9rocsparseL19gebsrmvn_2xn_kernelILj128ELj15ELj16E21rocsparse_complex_numIdEEEvi20rocsparse_direction_NS_24const_host_device_scalarIT2_EEPKiS8_PKS5_SA_S6_PS5_21rocsparse_index_base_b.num_named_barrier, 0
	.set _ZN9rocsparseL19gebsrmvn_2xn_kernelILj128ELj15ELj16E21rocsparse_complex_numIdEEEvi20rocsparse_direction_NS_24const_host_device_scalarIT2_EEPKiS8_PKS5_SA_S6_PS5_21rocsparse_index_base_b.private_seg_size, 0
	.set _ZN9rocsparseL19gebsrmvn_2xn_kernelILj128ELj15ELj16E21rocsparse_complex_numIdEEEvi20rocsparse_direction_NS_24const_host_device_scalarIT2_EEPKiS8_PKS5_SA_S6_PS5_21rocsparse_index_base_b.uses_vcc, 1
	.set _ZN9rocsparseL19gebsrmvn_2xn_kernelILj128ELj15ELj16E21rocsparse_complex_numIdEEEvi20rocsparse_direction_NS_24const_host_device_scalarIT2_EEPKiS8_PKS5_SA_S6_PS5_21rocsparse_index_base_b.uses_flat_scratch, 0
	.set _ZN9rocsparseL19gebsrmvn_2xn_kernelILj128ELj15ELj16E21rocsparse_complex_numIdEEEvi20rocsparse_direction_NS_24const_host_device_scalarIT2_EEPKiS8_PKS5_SA_S6_PS5_21rocsparse_index_base_b.has_dyn_sized_stack, 0
	.set _ZN9rocsparseL19gebsrmvn_2xn_kernelILj128ELj15ELj16E21rocsparse_complex_numIdEEEvi20rocsparse_direction_NS_24const_host_device_scalarIT2_EEPKiS8_PKS5_SA_S6_PS5_21rocsparse_index_base_b.has_recursion, 0
	.set _ZN9rocsparseL19gebsrmvn_2xn_kernelILj128ELj15ELj16E21rocsparse_complex_numIdEEEvi20rocsparse_direction_NS_24const_host_device_scalarIT2_EEPKiS8_PKS5_SA_S6_PS5_21rocsparse_index_base_b.has_indirect_call, 0
	.section	.AMDGPU.csdata,"",@progbits
; Kernel info:
; codeLenInByte = 2664
; TotalNumSgprs: 18
; NumVgprs: 62
; ScratchSize: 0
; MemoryBound: 0
; FloatMode: 240
; IeeeMode: 1
; LDSByteSize: 0 bytes/workgroup (compile time only)
; SGPRBlocks: 0
; VGPRBlocks: 7
; NumSGPRsForWavesPerEU: 18
; NumVGPRsForWavesPerEU: 62
; Occupancy: 16
; WaveLimiterHint : 1
; COMPUTE_PGM_RSRC2:SCRATCH_EN: 0
; COMPUTE_PGM_RSRC2:USER_SGPR: 6
; COMPUTE_PGM_RSRC2:TRAP_HANDLER: 0
; COMPUTE_PGM_RSRC2:TGID_X_EN: 1
; COMPUTE_PGM_RSRC2:TGID_Y_EN: 0
; COMPUTE_PGM_RSRC2:TGID_Z_EN: 0
; COMPUTE_PGM_RSRC2:TIDIG_COMP_CNT: 0
	.section	.text._ZN9rocsparseL19gebsrmvn_2xn_kernelILj128ELj15ELj32E21rocsparse_complex_numIdEEEvi20rocsparse_direction_NS_24const_host_device_scalarIT2_EEPKiS8_PKS5_SA_S6_PS5_21rocsparse_index_base_b,"axG",@progbits,_ZN9rocsparseL19gebsrmvn_2xn_kernelILj128ELj15ELj32E21rocsparse_complex_numIdEEEvi20rocsparse_direction_NS_24const_host_device_scalarIT2_EEPKiS8_PKS5_SA_S6_PS5_21rocsparse_index_base_b,comdat
	.globl	_ZN9rocsparseL19gebsrmvn_2xn_kernelILj128ELj15ELj32E21rocsparse_complex_numIdEEEvi20rocsparse_direction_NS_24const_host_device_scalarIT2_EEPKiS8_PKS5_SA_S6_PS5_21rocsparse_index_base_b ; -- Begin function _ZN9rocsparseL19gebsrmvn_2xn_kernelILj128ELj15ELj32E21rocsparse_complex_numIdEEEvi20rocsparse_direction_NS_24const_host_device_scalarIT2_EEPKiS8_PKS5_SA_S6_PS5_21rocsparse_index_base_b
	.p2align	8
	.type	_ZN9rocsparseL19gebsrmvn_2xn_kernelILj128ELj15ELj32E21rocsparse_complex_numIdEEEvi20rocsparse_direction_NS_24const_host_device_scalarIT2_EEPKiS8_PKS5_SA_S6_PS5_21rocsparse_index_base_b,@function
_ZN9rocsparseL19gebsrmvn_2xn_kernelILj128ELj15ELj32E21rocsparse_complex_numIdEEEvi20rocsparse_direction_NS_24const_host_device_scalarIT2_EEPKiS8_PKS5_SA_S6_PS5_21rocsparse_index_base_b: ; @_ZN9rocsparseL19gebsrmvn_2xn_kernelILj128ELj15ELj32E21rocsparse_complex_numIdEEEvi20rocsparse_direction_NS_24const_host_device_scalarIT2_EEPKiS8_PKS5_SA_S6_PS5_21rocsparse_index_base_b
; %bb.0:
	s_clause 0x1
	s_load_dwordx2 s[2:3], s[4:5], 0x50
	s_load_dwordx2 s[0:1], s[4:5], 0x8
	s_add_u32 s7, s4, 8
	s_addc_u32 s10, s5, 0
	s_add_u32 s11, s4, 56
	s_addc_u32 s12, s5, 0
	s_load_dwordx2 s[8:9], s[4:5], 0x38
	s_waitcnt lgkmcnt(0)
	s_bitcmp1_b32 s3, 0
	s_cselect_b32 s0, s7, s0
	s_cselect_b32 s1, s10, s1
	v_mov_b32_e32 v1, s0
	v_mov_b32_e32 v2, s1
	s_cselect_b32 s0, s11, s8
	s_cselect_b32 s1, s12, s9
	v_mov_b32_e32 v5, s0
	v_mov_b32_e32 v6, s1
	flat_load_dwordx4 v[1:4], v[1:2]
	flat_load_dwordx4 v[5:8], v[5:6]
	s_waitcnt vmcnt(1) lgkmcnt(1)
	v_cmp_eq_f64_e32 vcc_lo, 0, v[1:2]
	v_cmp_eq_f64_e64 s0, 0, v[3:4]
	s_and_b32 s3, vcc_lo, s0
	s_mov_b32 s0, -1
	s_and_saveexec_b32 s1, s3
	s_cbranch_execz .LBB296_2
; %bb.1:
	s_waitcnt vmcnt(0) lgkmcnt(0)
	v_cmp_neq_f64_e32 vcc_lo, 1.0, v[5:6]
	v_cmp_neq_f64_e64 s0, 0, v[7:8]
	s_or_b32 s0, vcc_lo, s0
	s_orn2_b32 s0, s0, exec_lo
.LBB296_2:
	s_or_b32 exec_lo, exec_lo, s1
	s_and_saveexec_b32 s1, s0
	s_cbranch_execz .LBB296_25
; %bb.3:
	s_load_dwordx2 s[0:1], s[4:5], 0x0
	v_lshrrev_b32_e32 v9, 5, v0
	v_lshl_or_b32 v9, s6, 2, v9
	s_waitcnt lgkmcnt(0)
	v_cmp_gt_i32_e32 vcc_lo, s0, v9
	s_and_b32 exec_lo, exec_lo, vcc_lo
	s_cbranch_execz .LBB296_25
; %bb.4:
	s_load_dwordx8 s[8:15], s[4:5], 0x18
	v_ashrrev_i32_e32 v10, 31, v9
	v_and_b32_e32 v0, 31, v0
	s_cmp_lg_u32 s1, 0
	v_lshlrev_b64 v[10:11], 2, v[9:10]
	s_waitcnt lgkmcnt(0)
	v_add_co_u32 v10, vcc_lo, s8, v10
	v_add_co_ci_u32_e64 v11, null, s9, v11, vcc_lo
	global_load_dwordx2 v[19:20], v[10:11], off
	s_waitcnt vmcnt(0)
	v_subrev_nc_u32_e32 v10, s2, v19
	v_subrev_nc_u32_e32 v24, s2, v20
	v_add_nc_u32_e32 v18, v10, v0
	v_cmp_lt_i32_e64 s0, v18, v24
	s_cbranch_scc0 .LBB296_12
; %bb.5:
	v_mov_b32_e32 v10, 0
	v_mov_b32_e32 v12, 0
	;; [unrolled: 1-line block ×8, first 2 shown]
	s_and_saveexec_b32 s1, s0
	s_cbranch_execz .LBB296_11
; %bb.6:
	v_mul_lo_u32 v25, v18, 30
	v_mov_b32_e32 v10, 0
	v_mov_b32_e32 v12, 0
	;; [unrolled: 1-line block ×10, first 2 shown]
	s_mov_b32 s3, 0
.LBB296_7:                              ; =>This Loop Header: Depth=1
                                        ;     Child Loop BB296_8 Depth 2
	v_ashrrev_i32_e32 v23, 31, v22
	s_mov_b32 s6, 0
	v_lshlrev_b64 v[26:27], 2, v[22:23]
	v_add_co_u32 v26, vcc_lo, s10, v26
	v_add_co_ci_u32_e64 v27, null, s11, v27, vcc_lo
	global_load_dword v20, v[26:27], off
	s_waitcnt vmcnt(0)
	v_subrev_nc_u32_e32 v20, s2, v20
	v_mul_lo_u32 v23, v20, 15
	v_mov_b32_e32 v20, v25
.LBB296_8:                              ;   Parent Loop BB296_7 Depth=1
                                        ; =>  This Inner Loop Header: Depth=2
	v_add_nc_u32_e32 v50, s6, v23
	v_mov_b32_e32 v51, v21
	v_lshlrev_b64 v[26:27], 4, v[20:21]
	v_add_nc_u32_e32 v38, 2, v20
	v_mov_b32_e32 v39, v21
	v_mov_b32_e32 v41, v21
	v_lshlrev_b64 v[28:29], 4, v[50:51]
	v_add_nc_u32_e32 v40, 1, v50
	v_add_co_u32 v30, vcc_lo, s12, v26
	v_add_co_ci_u32_e64 v31, null, s13, v27, vcc_lo
	v_add_co_u32 v34, vcc_lo, s14, v28
	v_add_co_ci_u32_e64 v35, null, s15, v29, vcc_lo
	s_clause 0x1
	global_load_dwordx4 v[26:29], v[30:31], off offset:16
	global_load_dwordx4 v[30:33], v[30:31], off
	global_load_dwordx4 v[34:37], v[34:35], off
	v_lshlrev_b64 v[38:39], 4, v[38:39]
	v_lshlrev_b64 v[40:41], 4, v[40:41]
	v_add_nc_u32_e32 v51, 4, v20
	v_mov_b32_e32 v52, v21
	v_mov_b32_e32 v54, v21
	v_add_nc_u32_e32 v53, 2, v50
	v_add_co_u32 v42, vcc_lo, s12, v38
	v_add_co_ci_u32_e64 v43, null, s13, v39, vcc_lo
	v_add_co_u32 v46, vcc_lo, s14, v40
	v_add_co_ci_u32_e64 v47, null, s15, v41, vcc_lo
	s_clause 0x1
	global_load_dwordx4 v[38:41], v[42:43], off offset:16
	global_load_dwordx4 v[42:45], v[42:43], off
	global_load_dwordx4 v[46:49], v[46:47], off
	v_lshlrev_b64 v[50:51], 4, v[51:52]
	v_lshlrev_b64 v[52:53], 4, v[53:54]
	v_add_nc_u32_e32 v20, 6, v20
	s_add_i32 s6, s6, 3
	s_cmp_eq_u32 s6, 15
	v_add_co_u32 v54, vcc_lo, s12, v50
	v_add_co_ci_u32_e64 v55, null, s13, v51, vcc_lo
	v_add_co_u32 v58, vcc_lo, s14, v52
	v_add_co_ci_u32_e64 v59, null, s15, v53, vcc_lo
	s_clause 0x1
	global_load_dwordx4 v[50:53], v[54:55], off offset:16
	global_load_dwordx4 v[54:57], v[54:55], off
	global_load_dwordx4 v[58:61], v[58:59], off
	s_waitcnt vmcnt(6)
	v_fma_f64 v[12:13], v[30:31], v[34:35], v[12:13]
	v_fma_f64 v[10:11], v[32:33], v[34:35], v[10:11]
	v_fma_f64 v[14:15], v[26:27], v[34:35], v[14:15]
	v_fma_f64 v[16:17], v[28:29], v[34:35], v[16:17]
	v_fma_f64 v[12:13], -v[32:33], v[36:37], v[12:13]
	v_fma_f64 v[10:11], v[30:31], v[36:37], v[10:11]
	v_fma_f64 v[14:15], -v[28:29], v[36:37], v[14:15]
	v_fma_f64 v[16:17], v[26:27], v[36:37], v[16:17]
	s_waitcnt vmcnt(3)
	v_fma_f64 v[12:13], v[42:43], v[46:47], v[12:13]
	v_fma_f64 v[10:11], v[44:45], v[46:47], v[10:11]
	v_fma_f64 v[14:15], v[38:39], v[46:47], v[14:15]
	v_fma_f64 v[16:17], v[40:41], v[46:47], v[16:17]
	v_fma_f64 v[12:13], -v[44:45], v[48:49], v[12:13]
	v_fma_f64 v[10:11], v[42:43], v[48:49], v[10:11]
	v_fma_f64 v[14:15], -v[40:41], v[48:49], v[14:15]
	v_fma_f64 v[16:17], v[38:39], v[48:49], v[16:17]
	;; [unrolled: 9-line block ×3, first 2 shown]
	s_cbranch_scc0 .LBB296_8
; %bb.9:                                ;   in Loop: Header=BB296_7 Depth=1
	v_add_nc_u32_e32 v22, 32, v22
	v_add_nc_u32_e32 v25, 0x3c0, v25
	v_cmp_ge_i32_e32 vcc_lo, v22, v24
	s_or_b32 s3, vcc_lo, s3
	s_andn2_b32 exec_lo, exec_lo, s3
	s_cbranch_execnz .LBB296_7
; %bb.10:
	s_or_b32 exec_lo, exec_lo, s3
.LBB296_11:
	s_or_b32 exec_lo, exec_lo, s1
	s_cbranch_execz .LBB296_13
	s_branch .LBB296_20
.LBB296_12:
                                        ; implicit-def: $vgpr10_vgpr11
                                        ; implicit-def: $vgpr12_vgpr13
                                        ; implicit-def: $vgpr14_vgpr15
                                        ; implicit-def: $vgpr16_vgpr17
.LBB296_13:
	v_mov_b32_e32 v10, 0
	v_mov_b32_e32 v12, 0
	;; [unrolled: 1-line block ×8, first 2 shown]
	s_and_saveexec_b32 s1, s0
	s_cbranch_execz .LBB296_19
; %bb.14:
	v_mul_lo_u32 v10, v19, 30
	v_mul_lo_u32 v21, v18, 30
	s_mul_i32 s0, s2, 30
	v_mov_b32_e32 v12, 0
	v_mov_b32_e32 v14, 0
	v_mov_b32_e32 v16, 0
	v_mov_b32_e32 v13, 0
	v_mov_b32_e32 v15, 0
	v_mad_u32_u24 v19, v0, 30, v10
	v_mov_b32_e32 v10, 0
	v_mov_b32_e32 v11, 0
	;; [unrolled: 1-line block ×4, first 2 shown]
	v_subrev_nc_u32_e32 v22, s0, v19
	s_mov_b32 s0, 0
.LBB296_15:                             ; =>This Loop Header: Depth=1
                                        ;     Child Loop BB296_16 Depth 2
	v_ashrrev_i32_e32 v19, 31, v18
	s_mov_b32 s3, 0
	v_lshlrev_b64 v[25:26], 2, v[18:19]
	v_add_co_u32 v25, vcc_lo, s10, v25
	v_add_co_ci_u32_e64 v26, null, s11, v26, vcc_lo
	global_load_dword v19, v[25:26], off
	s_waitcnt vmcnt(0)
	v_subrev_nc_u32_e32 v19, s2, v19
	v_mul_lo_u32 v23, v19, 15
.LBB296_16:                             ;   Parent Loop BB296_15 Depth=1
                                        ; =>  This Inner Loop Header: Depth=2
	v_add_nc_u32_e32 v19, s3, v22
	v_add_nc_u32_e32 v53, s3, v21
	v_mov_b32_e32 v26, v20
	v_mov_b32_e32 v38, v20
	;; [unrolled: 1-line block ×3, first 2 shown]
	v_lshlrev_b64 v[27:28], 4, v[19:20]
	v_add_nc_u32_e32 v19, s3, v23
	v_add_nc_u32_e32 v25, 15, v53
	;; [unrolled: 1-line block ×4, first 2 shown]
	v_mov_b32_e32 v40, v20
	v_lshlrev_b64 v[29:30], 4, v[19:20]
	v_lshlrev_b64 v[25:26], 4, v[25:26]
	v_add_co_u32 v27, vcc_lo, s12, v27
	v_add_co_ci_u32_e64 v28, null, s13, v28, vcc_lo
	v_add_co_u32 v29, vcc_lo, s14, v29
	v_add_co_ci_u32_e64 v30, null, s15, v30, vcc_lo
	;; [unrolled: 2-line block ×3, first 2 shown]
	global_load_dwordx4 v[25:28], v[27:28], off
	global_load_dwordx4 v[29:32], v[29:30], off
	;; [unrolled: 1-line block ×3, first 2 shown]
	v_add_nc_u32_e32 v39, 1, v19
	v_lshlrev_b64 v[37:38], 4, v[37:38]
	v_lshlrev_b64 v[41:42], 4, v[41:42]
	v_add_nc_u32_e32 v19, 2, v19
	v_mov_b32_e32 v50, v20
	v_lshlrev_b64 v[39:40], 4, v[39:40]
	v_add_nc_u32_e32 v49, 2, v53
	v_add_co_u32 v37, vcc_lo, s12, v37
	v_add_co_ci_u32_e64 v38, null, s13, v38, vcc_lo
	v_add_co_u32 v41, vcc_lo, s12, v41
	v_add_co_ci_u32_e64 v42, null, s13, v42, vcc_lo
	;; [unrolled: 2-line block ×3, first 2 shown]
	s_clause 0x1
	global_load_dwordx4 v[37:40], v[37:38], off
	global_load_dwordx4 v[41:44], v[41:42], off
	;; [unrolled: 1-line block ×3, first 2 shown]
	v_lshlrev_b64 v[51:52], 4, v[19:20]
	v_add_nc_u32_e32 v19, 17, v53
	v_lshlrev_b64 v[49:50], 4, v[49:50]
	s_add_i32 s3, s3, 3
	s_cmp_eq_u32 s3, 15
	v_lshlrev_b64 v[53:54], 4, v[19:20]
	v_add_co_u32 v49, vcc_lo, s12, v49
	v_add_co_ci_u32_e64 v50, null, s13, v50, vcc_lo
	v_add_co_u32 v55, vcc_lo, s14, v51
	v_add_co_ci_u32_e64 v56, null, s15, v52, vcc_lo
	;; [unrolled: 2-line block ×3, first 2 shown]
	global_load_dwordx4 v[49:52], v[49:50], off
	global_load_dwordx4 v[53:56], v[55:56], off
	global_load_dwordx4 v[57:60], v[57:58], off
	s_waitcnt vmcnt(7)
	v_fma_f64 v[12:13], v[25:26], v[29:30], v[12:13]
	v_fma_f64 v[10:11], v[27:28], v[29:30], v[10:11]
	s_waitcnt vmcnt(6)
	v_fma_f64 v[14:15], v[33:34], v[29:30], v[14:15]
	v_fma_f64 v[16:17], v[35:36], v[29:30], v[16:17]
	v_fma_f64 v[12:13], -v[27:28], v[31:32], v[12:13]
	v_fma_f64 v[10:11], v[25:26], v[31:32], v[10:11]
	v_fma_f64 v[14:15], -v[35:36], v[31:32], v[14:15]
	v_fma_f64 v[16:17], v[33:34], v[31:32], v[16:17]
	s_waitcnt vmcnt(3)
	v_fma_f64 v[12:13], v[37:38], v[45:46], v[12:13]
	v_fma_f64 v[10:11], v[39:40], v[45:46], v[10:11]
	v_fma_f64 v[14:15], v[41:42], v[45:46], v[14:15]
	v_fma_f64 v[16:17], v[43:44], v[45:46], v[16:17]
	v_fma_f64 v[12:13], -v[39:40], v[47:48], v[12:13]
	v_fma_f64 v[10:11], v[37:38], v[47:48], v[10:11]
	v_fma_f64 v[14:15], -v[43:44], v[47:48], v[14:15]
	v_fma_f64 v[16:17], v[41:42], v[47:48], v[16:17]
	s_waitcnt vmcnt(1)
	v_fma_f64 v[12:13], v[49:50], v[53:54], v[12:13]
	v_fma_f64 v[10:11], v[51:52], v[53:54], v[10:11]
	s_waitcnt vmcnt(0)
	v_fma_f64 v[14:15], v[57:58], v[53:54], v[14:15]
	v_fma_f64 v[16:17], v[59:60], v[53:54], v[16:17]
	v_fma_f64 v[12:13], -v[51:52], v[55:56], v[12:13]
	v_fma_f64 v[10:11], v[49:50], v[55:56], v[10:11]
	v_fma_f64 v[14:15], -v[59:60], v[55:56], v[14:15]
	v_fma_f64 v[16:17], v[57:58], v[55:56], v[16:17]
	s_cbranch_scc0 .LBB296_16
; %bb.17:                               ;   in Loop: Header=BB296_15 Depth=1
	v_add_nc_u32_e32 v18, 32, v18
	v_add_nc_u32_e32 v21, 0x3c0, v21
	;; [unrolled: 1-line block ×3, first 2 shown]
	v_cmp_ge_i32_e32 vcc_lo, v18, v24
	s_or_b32 s0, vcc_lo, s0
	s_andn2_b32 exec_lo, exec_lo, s0
	s_cbranch_execnz .LBB296_15
; %bb.18:
	s_or_b32 exec_lo, exec_lo, s0
.LBB296_19:
	s_or_b32 exec_lo, exec_lo, s1
.LBB296_20:
	v_mbcnt_lo_u32_b32 v26, -1, 0
	v_xor_b32_e32 v18, 16, v26
	v_cmp_gt_i32_e32 vcc_lo, 32, v18
	v_cndmask_b32_e32 v18, v26, v18, vcc_lo
	v_lshlrev_b32_e32 v25, 2, v18
	ds_bpermute_b32 v18, v25, v12
	ds_bpermute_b32 v19, v25, v13
	;; [unrolled: 1-line block ×8, first 2 shown]
	s_waitcnt lgkmcnt(6)
	v_add_f64 v[12:13], v[12:13], v[18:19]
	v_xor_b32_e32 v18, 8, v26
	s_waitcnt lgkmcnt(4)
	v_add_f64 v[10:11], v[10:11], v[20:21]
	s_waitcnt lgkmcnt(2)
	v_add_f64 v[14:15], v[14:15], v[22:23]
	;; [unrolled: 2-line block ×3, first 2 shown]
	v_cmp_gt_i32_e32 vcc_lo, 32, v18
	v_cndmask_b32_e32 v18, v26, v18, vcc_lo
	v_lshlrev_b32_e32 v25, 2, v18
	ds_bpermute_b32 v18, v25, v12
	ds_bpermute_b32 v19, v25, v13
	;; [unrolled: 1-line block ×8, first 2 shown]
	s_waitcnt lgkmcnt(6)
	v_add_f64 v[12:13], v[12:13], v[18:19]
	v_xor_b32_e32 v18, 4, v26
	s_waitcnt lgkmcnt(4)
	v_add_f64 v[10:11], v[10:11], v[20:21]
	s_waitcnt lgkmcnt(2)
	v_add_f64 v[14:15], v[14:15], v[22:23]
	;; [unrolled: 2-line block ×3, first 2 shown]
	v_cmp_gt_i32_e32 vcc_lo, 32, v18
	v_cndmask_b32_e32 v18, v26, v18, vcc_lo
	v_lshlrev_b32_e32 v25, 2, v18
	ds_bpermute_b32 v18, v25, v12
	ds_bpermute_b32 v19, v25, v13
	;; [unrolled: 1-line block ×8, first 2 shown]
	s_waitcnt lgkmcnt(6)
	v_add_f64 v[12:13], v[12:13], v[18:19]
	s_waitcnt lgkmcnt(4)
	v_add_f64 v[18:19], v[10:11], v[20:21]
	v_xor_b32_e32 v10, 2, v26
	s_waitcnt lgkmcnt(2)
	v_add_f64 v[14:15], v[14:15], v[22:23]
	s_waitcnt lgkmcnt(0)
	v_add_f64 v[20:21], v[16:17], v[24:25]
	v_cmp_gt_i32_e32 vcc_lo, 32, v10
	v_cndmask_b32_e32 v10, v26, v10, vcc_lo
	v_lshlrev_b32_e32 v25, 2, v10
	ds_bpermute_b32 v10, v25, v12
	ds_bpermute_b32 v11, v25, v13
	;; [unrolled: 1-line block ×8, first 2 shown]
	s_waitcnt lgkmcnt(6)
	v_add_f64 v[10:11], v[12:13], v[10:11]
	s_waitcnt lgkmcnt(4)
	v_add_f64 v[16:17], v[18:19], v[16:17]
	v_xor_b32_e32 v18, 1, v26
	s_waitcnt lgkmcnt(2)
	v_add_f64 v[12:13], v[14:15], v[22:23]
	s_waitcnt lgkmcnt(0)
	v_add_f64 v[14:15], v[20:21], v[24:25]
	v_cmp_gt_i32_e32 vcc_lo, 32, v18
	v_cndmask_b32_e32 v18, v26, v18, vcc_lo
	v_cmp_eq_u32_e32 vcc_lo, 31, v0
	v_lshlrev_b32_e32 v21, 2, v18
	ds_bpermute_b32 v24, v21, v10
	ds_bpermute_b32 v25, v21, v11
	;; [unrolled: 1-line block ×8, first 2 shown]
	s_and_b32 exec_lo, exec_lo, vcc_lo
	s_cbranch_execz .LBB296_25
; %bb.21:
	v_cmp_eq_f64_e32 vcc_lo, 0, v[5:6]
	v_cmp_eq_f64_e64 s0, 0, v[7:8]
	s_waitcnt lgkmcnt(6)
	v_add_f64 v[10:11], v[10:11], v[24:25]
	s_waitcnt lgkmcnt(4)
	v_add_f64 v[16:17], v[16:17], v[22:23]
	;; [unrolled: 2-line block ×4, first 2 shown]
	s_load_dwordx2 s[2:3], s[4:5], 0x48
	s_and_b32 s0, vcc_lo, s0
	s_and_saveexec_b32 s1, s0
	s_xor_b32 s0, exec_lo, s1
	s_cbranch_execz .LBB296_23
; %bb.22:
	v_mul_f64 v[5:6], v[16:17], -v[3:4]
	v_mul_f64 v[7:8], v[1:2], v[16:17]
	v_mul_f64 v[16:17], v[14:15], -v[3:4]
	v_mul_f64 v[14:15], v[1:2], v[14:15]
	v_lshlrev_b32_e32 v9, 1, v9
	v_fma_f64 v[5:6], v[1:2], v[10:11], v[5:6]
	v_fma_f64 v[7:8], v[3:4], v[10:11], v[7:8]
	v_fma_f64 v[0:1], v[1:2], v[12:13], v[16:17]
	v_fma_f64 v[2:3], v[3:4], v[12:13], v[14:15]
	v_ashrrev_i32_e32 v10, 31, v9
                                        ; implicit-def: $vgpr16_vgpr17
                                        ; implicit-def: $vgpr12_vgpr13
                                        ; implicit-def: $vgpr14_vgpr15
	v_lshlrev_b64 v[9:10], 4, v[9:10]
	s_waitcnt lgkmcnt(0)
	v_add_co_u32 v9, vcc_lo, s2, v9
	v_add_co_ci_u32_e64 v10, null, s3, v10, vcc_lo
	global_store_dwordx4 v[9:10], v[5:8], off
	global_store_dwordx4 v[9:10], v[0:3], off offset:16
                                        ; implicit-def: $vgpr9
                                        ; implicit-def: $vgpr10_vgpr11
                                        ; implicit-def: $vgpr7_vgpr8
                                        ; implicit-def: $vgpr3_vgpr4
.LBB296_23:
	s_andn2_saveexec_b32 s0, s0
	s_cbranch_execz .LBB296_25
; %bb.24:
	v_lshlrev_b32_e32 v18, 1, v9
	v_mul_f64 v[28:29], v[16:17], -v[3:4]
	v_mul_f64 v[16:17], v[1:2], v[16:17]
	v_mul_f64 v[30:31], v[14:15], -v[3:4]
	v_mul_f64 v[14:15], v[1:2], v[14:15]
	v_ashrrev_i32_e32 v19, 31, v18
	v_lshlrev_b64 v[18:19], 4, v[18:19]
	s_waitcnt lgkmcnt(0)
	v_add_co_u32 v26, vcc_lo, s2, v18
	v_add_co_ci_u32_e64 v27, null, s3, v19, vcc_lo
	s_clause 0x1
	global_load_dwordx4 v[18:21], v[26:27], off
	global_load_dwordx4 v[22:25], v[26:27], off offset:16
	v_fma_f64 v[28:29], v[1:2], v[10:11], v[28:29]
	v_fma_f64 v[9:10], v[3:4], v[10:11], v[16:17]
	v_fma_f64 v[0:1], v[1:2], v[12:13], v[30:31]
	v_fma_f64 v[2:3], v[3:4], v[12:13], v[14:15]
	s_waitcnt vmcnt(1)
	v_fma_f64 v[11:12], v[5:6], v[18:19], v[28:29]
	v_fma_f64 v[9:10], v[7:8], v[18:19], v[9:10]
	s_waitcnt vmcnt(0)
	v_fma_f64 v[13:14], v[5:6], v[22:23], v[0:1]
	v_fma_f64 v[15:16], v[7:8], v[22:23], v[2:3]
	v_fma_f64 v[0:1], -v[7:8], v[20:21], v[11:12]
	v_fma_f64 v[2:3], v[5:6], v[20:21], v[9:10]
	v_fma_f64 v[7:8], -v[7:8], v[24:25], v[13:14]
	v_fma_f64 v[9:10], v[5:6], v[24:25], v[15:16]
	global_store_dwordx4 v[26:27], v[0:3], off
	global_store_dwordx4 v[26:27], v[7:10], off offset:16
.LBB296_25:
	s_endpgm
	.section	.rodata,"a",@progbits
	.p2align	6, 0x0
	.amdhsa_kernel _ZN9rocsparseL19gebsrmvn_2xn_kernelILj128ELj15ELj32E21rocsparse_complex_numIdEEEvi20rocsparse_direction_NS_24const_host_device_scalarIT2_EEPKiS8_PKS5_SA_S6_PS5_21rocsparse_index_base_b
		.amdhsa_group_segment_fixed_size 0
		.amdhsa_private_segment_fixed_size 0
		.amdhsa_kernarg_size 88
		.amdhsa_user_sgpr_count 6
		.amdhsa_user_sgpr_private_segment_buffer 1
		.amdhsa_user_sgpr_dispatch_ptr 0
		.amdhsa_user_sgpr_queue_ptr 0
		.amdhsa_user_sgpr_kernarg_segment_ptr 1
		.amdhsa_user_sgpr_dispatch_id 0
		.amdhsa_user_sgpr_flat_scratch_init 0
		.amdhsa_user_sgpr_private_segment_size 0
		.amdhsa_wavefront_size32 1
		.amdhsa_uses_dynamic_stack 0
		.amdhsa_system_sgpr_private_segment_wavefront_offset 0
		.amdhsa_system_sgpr_workgroup_id_x 1
		.amdhsa_system_sgpr_workgroup_id_y 0
		.amdhsa_system_sgpr_workgroup_id_z 0
		.amdhsa_system_sgpr_workgroup_info 0
		.amdhsa_system_vgpr_workitem_id 0
		.amdhsa_next_free_vgpr 62
		.amdhsa_next_free_sgpr 16
		.amdhsa_reserve_vcc 1
		.amdhsa_reserve_flat_scratch 0
		.amdhsa_float_round_mode_32 0
		.amdhsa_float_round_mode_16_64 0
		.amdhsa_float_denorm_mode_32 3
		.amdhsa_float_denorm_mode_16_64 3
		.amdhsa_dx10_clamp 1
		.amdhsa_ieee_mode 1
		.amdhsa_fp16_overflow 0
		.amdhsa_workgroup_processor_mode 1
		.amdhsa_memory_ordered 1
		.amdhsa_forward_progress 1
		.amdhsa_shared_vgpr_count 0
		.amdhsa_exception_fp_ieee_invalid_op 0
		.amdhsa_exception_fp_denorm_src 0
		.amdhsa_exception_fp_ieee_div_zero 0
		.amdhsa_exception_fp_ieee_overflow 0
		.amdhsa_exception_fp_ieee_underflow 0
		.amdhsa_exception_fp_ieee_inexact 0
		.amdhsa_exception_int_div_zero 0
	.end_amdhsa_kernel
	.section	.text._ZN9rocsparseL19gebsrmvn_2xn_kernelILj128ELj15ELj32E21rocsparse_complex_numIdEEEvi20rocsparse_direction_NS_24const_host_device_scalarIT2_EEPKiS8_PKS5_SA_S6_PS5_21rocsparse_index_base_b,"axG",@progbits,_ZN9rocsparseL19gebsrmvn_2xn_kernelILj128ELj15ELj32E21rocsparse_complex_numIdEEEvi20rocsparse_direction_NS_24const_host_device_scalarIT2_EEPKiS8_PKS5_SA_S6_PS5_21rocsparse_index_base_b,comdat
.Lfunc_end296:
	.size	_ZN9rocsparseL19gebsrmvn_2xn_kernelILj128ELj15ELj32E21rocsparse_complex_numIdEEEvi20rocsparse_direction_NS_24const_host_device_scalarIT2_EEPKiS8_PKS5_SA_S6_PS5_21rocsparse_index_base_b, .Lfunc_end296-_ZN9rocsparseL19gebsrmvn_2xn_kernelILj128ELj15ELj32E21rocsparse_complex_numIdEEEvi20rocsparse_direction_NS_24const_host_device_scalarIT2_EEPKiS8_PKS5_SA_S6_PS5_21rocsparse_index_base_b
                                        ; -- End function
	.set _ZN9rocsparseL19gebsrmvn_2xn_kernelILj128ELj15ELj32E21rocsparse_complex_numIdEEEvi20rocsparse_direction_NS_24const_host_device_scalarIT2_EEPKiS8_PKS5_SA_S6_PS5_21rocsparse_index_base_b.num_vgpr, 62
	.set _ZN9rocsparseL19gebsrmvn_2xn_kernelILj128ELj15ELj32E21rocsparse_complex_numIdEEEvi20rocsparse_direction_NS_24const_host_device_scalarIT2_EEPKiS8_PKS5_SA_S6_PS5_21rocsparse_index_base_b.num_agpr, 0
	.set _ZN9rocsparseL19gebsrmvn_2xn_kernelILj128ELj15ELj32E21rocsparse_complex_numIdEEEvi20rocsparse_direction_NS_24const_host_device_scalarIT2_EEPKiS8_PKS5_SA_S6_PS5_21rocsparse_index_base_b.numbered_sgpr, 16
	.set _ZN9rocsparseL19gebsrmvn_2xn_kernelILj128ELj15ELj32E21rocsparse_complex_numIdEEEvi20rocsparse_direction_NS_24const_host_device_scalarIT2_EEPKiS8_PKS5_SA_S6_PS5_21rocsparse_index_base_b.num_named_barrier, 0
	.set _ZN9rocsparseL19gebsrmvn_2xn_kernelILj128ELj15ELj32E21rocsparse_complex_numIdEEEvi20rocsparse_direction_NS_24const_host_device_scalarIT2_EEPKiS8_PKS5_SA_S6_PS5_21rocsparse_index_base_b.private_seg_size, 0
	.set _ZN9rocsparseL19gebsrmvn_2xn_kernelILj128ELj15ELj32E21rocsparse_complex_numIdEEEvi20rocsparse_direction_NS_24const_host_device_scalarIT2_EEPKiS8_PKS5_SA_S6_PS5_21rocsparse_index_base_b.uses_vcc, 1
	.set _ZN9rocsparseL19gebsrmvn_2xn_kernelILj128ELj15ELj32E21rocsparse_complex_numIdEEEvi20rocsparse_direction_NS_24const_host_device_scalarIT2_EEPKiS8_PKS5_SA_S6_PS5_21rocsparse_index_base_b.uses_flat_scratch, 0
	.set _ZN9rocsparseL19gebsrmvn_2xn_kernelILj128ELj15ELj32E21rocsparse_complex_numIdEEEvi20rocsparse_direction_NS_24const_host_device_scalarIT2_EEPKiS8_PKS5_SA_S6_PS5_21rocsparse_index_base_b.has_dyn_sized_stack, 0
	.set _ZN9rocsparseL19gebsrmvn_2xn_kernelILj128ELj15ELj32E21rocsparse_complex_numIdEEEvi20rocsparse_direction_NS_24const_host_device_scalarIT2_EEPKiS8_PKS5_SA_S6_PS5_21rocsparse_index_base_b.has_recursion, 0
	.set _ZN9rocsparseL19gebsrmvn_2xn_kernelILj128ELj15ELj32E21rocsparse_complex_numIdEEEvi20rocsparse_direction_NS_24const_host_device_scalarIT2_EEPKiS8_PKS5_SA_S6_PS5_21rocsparse_index_base_b.has_indirect_call, 0
	.section	.AMDGPU.csdata,"",@progbits
; Kernel info:
; codeLenInByte = 2792
; TotalNumSgprs: 18
; NumVgprs: 62
; ScratchSize: 0
; MemoryBound: 0
; FloatMode: 240
; IeeeMode: 1
; LDSByteSize: 0 bytes/workgroup (compile time only)
; SGPRBlocks: 0
; VGPRBlocks: 7
; NumSGPRsForWavesPerEU: 18
; NumVGPRsForWavesPerEU: 62
; Occupancy: 16
; WaveLimiterHint : 1
; COMPUTE_PGM_RSRC2:SCRATCH_EN: 0
; COMPUTE_PGM_RSRC2:USER_SGPR: 6
; COMPUTE_PGM_RSRC2:TRAP_HANDLER: 0
; COMPUTE_PGM_RSRC2:TGID_X_EN: 1
; COMPUTE_PGM_RSRC2:TGID_Y_EN: 0
; COMPUTE_PGM_RSRC2:TGID_Z_EN: 0
; COMPUTE_PGM_RSRC2:TIDIG_COMP_CNT: 0
	.section	.text._ZN9rocsparseL19gebsrmvn_2xn_kernelILj128ELj15ELj64E21rocsparse_complex_numIdEEEvi20rocsparse_direction_NS_24const_host_device_scalarIT2_EEPKiS8_PKS5_SA_S6_PS5_21rocsparse_index_base_b,"axG",@progbits,_ZN9rocsparseL19gebsrmvn_2xn_kernelILj128ELj15ELj64E21rocsparse_complex_numIdEEEvi20rocsparse_direction_NS_24const_host_device_scalarIT2_EEPKiS8_PKS5_SA_S6_PS5_21rocsparse_index_base_b,comdat
	.globl	_ZN9rocsparseL19gebsrmvn_2xn_kernelILj128ELj15ELj64E21rocsparse_complex_numIdEEEvi20rocsparse_direction_NS_24const_host_device_scalarIT2_EEPKiS8_PKS5_SA_S6_PS5_21rocsparse_index_base_b ; -- Begin function _ZN9rocsparseL19gebsrmvn_2xn_kernelILj128ELj15ELj64E21rocsparse_complex_numIdEEEvi20rocsparse_direction_NS_24const_host_device_scalarIT2_EEPKiS8_PKS5_SA_S6_PS5_21rocsparse_index_base_b
	.p2align	8
	.type	_ZN9rocsparseL19gebsrmvn_2xn_kernelILj128ELj15ELj64E21rocsparse_complex_numIdEEEvi20rocsparse_direction_NS_24const_host_device_scalarIT2_EEPKiS8_PKS5_SA_S6_PS5_21rocsparse_index_base_b,@function
_ZN9rocsparseL19gebsrmvn_2xn_kernelILj128ELj15ELj64E21rocsparse_complex_numIdEEEvi20rocsparse_direction_NS_24const_host_device_scalarIT2_EEPKiS8_PKS5_SA_S6_PS5_21rocsparse_index_base_b: ; @_ZN9rocsparseL19gebsrmvn_2xn_kernelILj128ELj15ELj64E21rocsparse_complex_numIdEEEvi20rocsparse_direction_NS_24const_host_device_scalarIT2_EEPKiS8_PKS5_SA_S6_PS5_21rocsparse_index_base_b
; %bb.0:
	s_clause 0x1
	s_load_dwordx2 s[2:3], s[4:5], 0x50
	s_load_dwordx2 s[0:1], s[4:5], 0x8
	s_add_u32 s7, s4, 8
	s_addc_u32 s10, s5, 0
	s_add_u32 s11, s4, 56
	s_addc_u32 s12, s5, 0
	s_load_dwordx2 s[8:9], s[4:5], 0x38
	s_waitcnt lgkmcnt(0)
	s_bitcmp1_b32 s3, 0
	s_cselect_b32 s0, s7, s0
	s_cselect_b32 s1, s10, s1
	v_mov_b32_e32 v1, s0
	v_mov_b32_e32 v2, s1
	s_cselect_b32 s0, s11, s8
	s_cselect_b32 s1, s12, s9
	v_mov_b32_e32 v5, s0
	v_mov_b32_e32 v6, s1
	flat_load_dwordx4 v[1:4], v[1:2]
	flat_load_dwordx4 v[5:8], v[5:6]
	s_waitcnt vmcnt(1) lgkmcnt(1)
	v_cmp_eq_f64_e32 vcc_lo, 0, v[1:2]
	v_cmp_eq_f64_e64 s0, 0, v[3:4]
	s_and_b32 s3, vcc_lo, s0
	s_mov_b32 s0, -1
	s_and_saveexec_b32 s1, s3
	s_cbranch_execz .LBB297_2
; %bb.1:
	s_waitcnt vmcnt(0) lgkmcnt(0)
	v_cmp_neq_f64_e32 vcc_lo, 1.0, v[5:6]
	v_cmp_neq_f64_e64 s0, 0, v[7:8]
	s_or_b32 s0, vcc_lo, s0
	s_orn2_b32 s0, s0, exec_lo
.LBB297_2:
	s_or_b32 exec_lo, exec_lo, s1
	s_and_saveexec_b32 s1, s0
	s_cbranch_execz .LBB297_25
; %bb.3:
	s_load_dwordx2 s[0:1], s[4:5], 0x0
	v_lshrrev_b32_e32 v9, 6, v0
	v_lshl_or_b32 v9, s6, 1, v9
	s_waitcnt lgkmcnt(0)
	v_cmp_gt_i32_e32 vcc_lo, s0, v9
	s_and_b32 exec_lo, exec_lo, vcc_lo
	s_cbranch_execz .LBB297_25
; %bb.4:
	s_load_dwordx8 s[8:15], s[4:5], 0x18
	v_ashrrev_i32_e32 v10, 31, v9
	v_and_b32_e32 v0, 63, v0
	s_cmp_lg_u32 s1, 0
	v_lshlrev_b64 v[10:11], 2, v[9:10]
	s_waitcnt lgkmcnt(0)
	v_add_co_u32 v10, vcc_lo, s8, v10
	v_add_co_ci_u32_e64 v11, null, s9, v11, vcc_lo
	global_load_dwordx2 v[19:20], v[10:11], off
	s_waitcnt vmcnt(0)
	v_subrev_nc_u32_e32 v10, s2, v19
	v_subrev_nc_u32_e32 v24, s2, v20
	v_add_nc_u32_e32 v18, v10, v0
	v_cmp_lt_i32_e64 s0, v18, v24
	s_cbranch_scc0 .LBB297_12
; %bb.5:
	v_mov_b32_e32 v10, 0
	v_mov_b32_e32 v12, 0
	;; [unrolled: 1-line block ×8, first 2 shown]
	s_and_saveexec_b32 s1, s0
	s_cbranch_execz .LBB297_11
; %bb.6:
	v_mul_lo_u32 v25, v18, 30
	v_mov_b32_e32 v10, 0
	v_mov_b32_e32 v12, 0
	;; [unrolled: 1-line block ×10, first 2 shown]
	s_mov_b32 s3, 0
.LBB297_7:                              ; =>This Loop Header: Depth=1
                                        ;     Child Loop BB297_8 Depth 2
	v_ashrrev_i32_e32 v23, 31, v22
	s_mov_b32 s6, 0
	v_lshlrev_b64 v[26:27], 2, v[22:23]
	v_add_co_u32 v26, vcc_lo, s10, v26
	v_add_co_ci_u32_e64 v27, null, s11, v27, vcc_lo
	global_load_dword v20, v[26:27], off
	s_waitcnt vmcnt(0)
	v_subrev_nc_u32_e32 v20, s2, v20
	v_mul_lo_u32 v23, v20, 15
	v_mov_b32_e32 v20, v25
.LBB297_8:                              ;   Parent Loop BB297_7 Depth=1
                                        ; =>  This Inner Loop Header: Depth=2
	v_add_nc_u32_e32 v50, s6, v23
	v_mov_b32_e32 v51, v21
	v_lshlrev_b64 v[26:27], 4, v[20:21]
	v_add_nc_u32_e32 v38, 2, v20
	v_mov_b32_e32 v39, v21
	v_mov_b32_e32 v41, v21
	v_lshlrev_b64 v[28:29], 4, v[50:51]
	v_add_nc_u32_e32 v40, 1, v50
	v_add_co_u32 v30, vcc_lo, s12, v26
	v_add_co_ci_u32_e64 v31, null, s13, v27, vcc_lo
	v_add_co_u32 v34, vcc_lo, s14, v28
	v_add_co_ci_u32_e64 v35, null, s15, v29, vcc_lo
	s_clause 0x1
	global_load_dwordx4 v[26:29], v[30:31], off offset:16
	global_load_dwordx4 v[30:33], v[30:31], off
	global_load_dwordx4 v[34:37], v[34:35], off
	v_lshlrev_b64 v[38:39], 4, v[38:39]
	v_lshlrev_b64 v[40:41], 4, v[40:41]
	v_add_nc_u32_e32 v51, 4, v20
	v_mov_b32_e32 v52, v21
	v_mov_b32_e32 v54, v21
	v_add_nc_u32_e32 v53, 2, v50
	v_add_co_u32 v42, vcc_lo, s12, v38
	v_add_co_ci_u32_e64 v43, null, s13, v39, vcc_lo
	v_add_co_u32 v46, vcc_lo, s14, v40
	v_add_co_ci_u32_e64 v47, null, s15, v41, vcc_lo
	s_clause 0x1
	global_load_dwordx4 v[38:41], v[42:43], off offset:16
	global_load_dwordx4 v[42:45], v[42:43], off
	global_load_dwordx4 v[46:49], v[46:47], off
	v_lshlrev_b64 v[50:51], 4, v[51:52]
	v_lshlrev_b64 v[52:53], 4, v[53:54]
	v_add_nc_u32_e32 v20, 6, v20
	s_add_i32 s6, s6, 3
	s_cmp_eq_u32 s6, 15
	v_add_co_u32 v54, vcc_lo, s12, v50
	v_add_co_ci_u32_e64 v55, null, s13, v51, vcc_lo
	v_add_co_u32 v58, vcc_lo, s14, v52
	v_add_co_ci_u32_e64 v59, null, s15, v53, vcc_lo
	s_clause 0x1
	global_load_dwordx4 v[50:53], v[54:55], off offset:16
	global_load_dwordx4 v[54:57], v[54:55], off
	global_load_dwordx4 v[58:61], v[58:59], off
	s_waitcnt vmcnt(6)
	v_fma_f64 v[12:13], v[30:31], v[34:35], v[12:13]
	v_fma_f64 v[10:11], v[32:33], v[34:35], v[10:11]
	v_fma_f64 v[14:15], v[26:27], v[34:35], v[14:15]
	v_fma_f64 v[16:17], v[28:29], v[34:35], v[16:17]
	v_fma_f64 v[12:13], -v[32:33], v[36:37], v[12:13]
	v_fma_f64 v[10:11], v[30:31], v[36:37], v[10:11]
	v_fma_f64 v[14:15], -v[28:29], v[36:37], v[14:15]
	v_fma_f64 v[16:17], v[26:27], v[36:37], v[16:17]
	s_waitcnt vmcnt(3)
	v_fma_f64 v[12:13], v[42:43], v[46:47], v[12:13]
	v_fma_f64 v[10:11], v[44:45], v[46:47], v[10:11]
	v_fma_f64 v[14:15], v[38:39], v[46:47], v[14:15]
	v_fma_f64 v[16:17], v[40:41], v[46:47], v[16:17]
	v_fma_f64 v[12:13], -v[44:45], v[48:49], v[12:13]
	v_fma_f64 v[10:11], v[42:43], v[48:49], v[10:11]
	v_fma_f64 v[14:15], -v[40:41], v[48:49], v[14:15]
	v_fma_f64 v[16:17], v[38:39], v[48:49], v[16:17]
	;; [unrolled: 9-line block ×3, first 2 shown]
	s_cbranch_scc0 .LBB297_8
; %bb.9:                                ;   in Loop: Header=BB297_7 Depth=1
	v_add_nc_u32_e32 v22, 64, v22
	v_add_nc_u32_e32 v25, 0x780, v25
	v_cmp_ge_i32_e32 vcc_lo, v22, v24
	s_or_b32 s3, vcc_lo, s3
	s_andn2_b32 exec_lo, exec_lo, s3
	s_cbranch_execnz .LBB297_7
; %bb.10:
	s_or_b32 exec_lo, exec_lo, s3
.LBB297_11:
	s_or_b32 exec_lo, exec_lo, s1
	s_cbranch_execz .LBB297_13
	s_branch .LBB297_20
.LBB297_12:
                                        ; implicit-def: $vgpr10_vgpr11
                                        ; implicit-def: $vgpr12_vgpr13
                                        ; implicit-def: $vgpr14_vgpr15
                                        ; implicit-def: $vgpr16_vgpr17
.LBB297_13:
	v_mov_b32_e32 v10, 0
	v_mov_b32_e32 v12, 0
	;; [unrolled: 1-line block ×8, first 2 shown]
	s_and_saveexec_b32 s1, s0
	s_cbranch_execz .LBB297_19
; %bb.14:
	v_mul_lo_u32 v10, v19, 30
	v_mul_lo_u32 v21, v18, 30
	s_mul_i32 s0, s2, 30
	v_mov_b32_e32 v12, 0
	v_mov_b32_e32 v14, 0
	;; [unrolled: 1-line block ×5, first 2 shown]
	v_mad_u32_u24 v19, v0, 30, v10
	v_mov_b32_e32 v10, 0
	v_mov_b32_e32 v11, 0
	;; [unrolled: 1-line block ×4, first 2 shown]
	v_subrev_nc_u32_e32 v22, s0, v19
	s_mov_b32 s0, 0
.LBB297_15:                             ; =>This Loop Header: Depth=1
                                        ;     Child Loop BB297_16 Depth 2
	v_ashrrev_i32_e32 v19, 31, v18
	s_mov_b32 s3, 0
	v_lshlrev_b64 v[25:26], 2, v[18:19]
	v_add_co_u32 v25, vcc_lo, s10, v25
	v_add_co_ci_u32_e64 v26, null, s11, v26, vcc_lo
	global_load_dword v19, v[25:26], off
	s_waitcnt vmcnt(0)
	v_subrev_nc_u32_e32 v19, s2, v19
	v_mul_lo_u32 v23, v19, 15
.LBB297_16:                             ;   Parent Loop BB297_15 Depth=1
                                        ; =>  This Inner Loop Header: Depth=2
	v_add_nc_u32_e32 v19, s3, v22
	v_add_nc_u32_e32 v53, s3, v21
	v_mov_b32_e32 v26, v20
	v_mov_b32_e32 v38, v20
	;; [unrolled: 1-line block ×3, first 2 shown]
	v_lshlrev_b64 v[27:28], 4, v[19:20]
	v_add_nc_u32_e32 v19, s3, v23
	v_add_nc_u32_e32 v25, 15, v53
	v_add_nc_u32_e32 v37, 1, v53
	v_add_nc_u32_e32 v41, 16, v53
	v_mov_b32_e32 v40, v20
	v_lshlrev_b64 v[29:30], 4, v[19:20]
	v_lshlrev_b64 v[25:26], 4, v[25:26]
	v_add_co_u32 v27, vcc_lo, s12, v27
	v_add_co_ci_u32_e64 v28, null, s13, v28, vcc_lo
	v_add_co_u32 v29, vcc_lo, s14, v29
	v_add_co_ci_u32_e64 v30, null, s15, v30, vcc_lo
	;; [unrolled: 2-line block ×3, first 2 shown]
	global_load_dwordx4 v[25:28], v[27:28], off
	global_load_dwordx4 v[29:32], v[29:30], off
	;; [unrolled: 1-line block ×3, first 2 shown]
	v_add_nc_u32_e32 v39, 1, v19
	v_lshlrev_b64 v[37:38], 4, v[37:38]
	v_lshlrev_b64 v[41:42], 4, v[41:42]
	v_add_nc_u32_e32 v19, 2, v19
	v_mov_b32_e32 v50, v20
	v_lshlrev_b64 v[39:40], 4, v[39:40]
	v_add_nc_u32_e32 v49, 2, v53
	v_add_co_u32 v37, vcc_lo, s12, v37
	v_add_co_ci_u32_e64 v38, null, s13, v38, vcc_lo
	v_add_co_u32 v41, vcc_lo, s12, v41
	v_add_co_ci_u32_e64 v42, null, s13, v42, vcc_lo
	;; [unrolled: 2-line block ×3, first 2 shown]
	s_clause 0x1
	global_load_dwordx4 v[37:40], v[37:38], off
	global_load_dwordx4 v[41:44], v[41:42], off
	;; [unrolled: 1-line block ×3, first 2 shown]
	v_lshlrev_b64 v[51:52], 4, v[19:20]
	v_add_nc_u32_e32 v19, 17, v53
	v_lshlrev_b64 v[49:50], 4, v[49:50]
	s_add_i32 s3, s3, 3
	s_cmp_eq_u32 s3, 15
	v_lshlrev_b64 v[53:54], 4, v[19:20]
	v_add_co_u32 v49, vcc_lo, s12, v49
	v_add_co_ci_u32_e64 v50, null, s13, v50, vcc_lo
	v_add_co_u32 v55, vcc_lo, s14, v51
	v_add_co_ci_u32_e64 v56, null, s15, v52, vcc_lo
	;; [unrolled: 2-line block ×3, first 2 shown]
	global_load_dwordx4 v[49:52], v[49:50], off
	global_load_dwordx4 v[53:56], v[55:56], off
	;; [unrolled: 1-line block ×3, first 2 shown]
	s_waitcnt vmcnt(7)
	v_fma_f64 v[12:13], v[25:26], v[29:30], v[12:13]
	v_fma_f64 v[10:11], v[27:28], v[29:30], v[10:11]
	s_waitcnt vmcnt(6)
	v_fma_f64 v[14:15], v[33:34], v[29:30], v[14:15]
	v_fma_f64 v[16:17], v[35:36], v[29:30], v[16:17]
	v_fma_f64 v[12:13], -v[27:28], v[31:32], v[12:13]
	v_fma_f64 v[10:11], v[25:26], v[31:32], v[10:11]
	v_fma_f64 v[14:15], -v[35:36], v[31:32], v[14:15]
	v_fma_f64 v[16:17], v[33:34], v[31:32], v[16:17]
	s_waitcnt vmcnt(3)
	v_fma_f64 v[12:13], v[37:38], v[45:46], v[12:13]
	v_fma_f64 v[10:11], v[39:40], v[45:46], v[10:11]
	v_fma_f64 v[14:15], v[41:42], v[45:46], v[14:15]
	v_fma_f64 v[16:17], v[43:44], v[45:46], v[16:17]
	v_fma_f64 v[12:13], -v[39:40], v[47:48], v[12:13]
	v_fma_f64 v[10:11], v[37:38], v[47:48], v[10:11]
	v_fma_f64 v[14:15], -v[43:44], v[47:48], v[14:15]
	v_fma_f64 v[16:17], v[41:42], v[47:48], v[16:17]
	s_waitcnt vmcnt(1)
	v_fma_f64 v[12:13], v[49:50], v[53:54], v[12:13]
	v_fma_f64 v[10:11], v[51:52], v[53:54], v[10:11]
	s_waitcnt vmcnt(0)
	v_fma_f64 v[14:15], v[57:58], v[53:54], v[14:15]
	v_fma_f64 v[16:17], v[59:60], v[53:54], v[16:17]
	v_fma_f64 v[12:13], -v[51:52], v[55:56], v[12:13]
	v_fma_f64 v[10:11], v[49:50], v[55:56], v[10:11]
	v_fma_f64 v[14:15], -v[59:60], v[55:56], v[14:15]
	v_fma_f64 v[16:17], v[57:58], v[55:56], v[16:17]
	s_cbranch_scc0 .LBB297_16
; %bb.17:                               ;   in Loop: Header=BB297_15 Depth=1
	v_add_nc_u32_e32 v18, 64, v18
	v_add_nc_u32_e32 v21, 0x780, v21
	;; [unrolled: 1-line block ×3, first 2 shown]
	v_cmp_ge_i32_e32 vcc_lo, v18, v24
	s_or_b32 s0, vcc_lo, s0
	s_andn2_b32 exec_lo, exec_lo, s0
	s_cbranch_execnz .LBB297_15
; %bb.18:
	s_or_b32 exec_lo, exec_lo, s0
.LBB297_19:
	s_or_b32 exec_lo, exec_lo, s1
.LBB297_20:
	v_mbcnt_lo_u32_b32 v26, -1, 0
	v_or_b32_e32 v18, 32, v26
	v_cmp_gt_i32_e32 vcc_lo, 32, v18
	v_cndmask_b32_e32 v18, v26, v18, vcc_lo
	v_lshlrev_b32_e32 v25, 2, v18
	ds_bpermute_b32 v18, v25, v12
	ds_bpermute_b32 v19, v25, v13
	ds_bpermute_b32 v20, v25, v10
	ds_bpermute_b32 v21, v25, v11
	ds_bpermute_b32 v22, v25, v14
	ds_bpermute_b32 v23, v25, v15
	ds_bpermute_b32 v24, v25, v16
	ds_bpermute_b32 v25, v25, v17
	s_waitcnt lgkmcnt(6)
	v_add_f64 v[12:13], v[12:13], v[18:19]
	v_xor_b32_e32 v18, 16, v26
	s_waitcnt lgkmcnt(4)
	v_add_f64 v[10:11], v[10:11], v[20:21]
	s_waitcnt lgkmcnt(2)
	v_add_f64 v[14:15], v[14:15], v[22:23]
	s_waitcnt lgkmcnt(0)
	v_add_f64 v[16:17], v[16:17], v[24:25]
	v_cmp_gt_i32_e32 vcc_lo, 32, v18
	v_cndmask_b32_e32 v18, v26, v18, vcc_lo
	v_lshlrev_b32_e32 v25, 2, v18
	ds_bpermute_b32 v18, v25, v12
	ds_bpermute_b32 v19, v25, v13
	ds_bpermute_b32 v20, v25, v10
	ds_bpermute_b32 v21, v25, v11
	ds_bpermute_b32 v22, v25, v14
	ds_bpermute_b32 v23, v25, v15
	ds_bpermute_b32 v24, v25, v16
	ds_bpermute_b32 v25, v25, v17
	s_waitcnt lgkmcnt(6)
	v_add_f64 v[12:13], v[12:13], v[18:19]
	v_xor_b32_e32 v18, 8, v26
	s_waitcnt lgkmcnt(4)
	v_add_f64 v[10:11], v[10:11], v[20:21]
	s_waitcnt lgkmcnt(2)
	v_add_f64 v[14:15], v[14:15], v[22:23]
	s_waitcnt lgkmcnt(0)
	v_add_f64 v[16:17], v[16:17], v[24:25]
	;; [unrolled: 20-line block ×3, first 2 shown]
	v_cmp_gt_i32_e32 vcc_lo, 32, v18
	v_cndmask_b32_e32 v18, v26, v18, vcc_lo
	v_lshlrev_b32_e32 v25, 2, v18
	ds_bpermute_b32 v18, v25, v12
	ds_bpermute_b32 v19, v25, v13
	ds_bpermute_b32 v20, v25, v10
	ds_bpermute_b32 v21, v25, v11
	ds_bpermute_b32 v22, v25, v14
	ds_bpermute_b32 v23, v25, v15
	ds_bpermute_b32 v24, v25, v16
	ds_bpermute_b32 v25, v25, v17
	s_waitcnt lgkmcnt(6)
	v_add_f64 v[12:13], v[12:13], v[18:19]
	s_waitcnt lgkmcnt(4)
	v_add_f64 v[18:19], v[10:11], v[20:21]
	v_xor_b32_e32 v10, 2, v26
	s_waitcnt lgkmcnt(2)
	v_add_f64 v[14:15], v[14:15], v[22:23]
	s_waitcnt lgkmcnt(0)
	v_add_f64 v[20:21], v[16:17], v[24:25]
	v_cmp_gt_i32_e32 vcc_lo, 32, v10
	v_cndmask_b32_e32 v10, v26, v10, vcc_lo
	v_lshlrev_b32_e32 v25, 2, v10
	ds_bpermute_b32 v10, v25, v12
	ds_bpermute_b32 v11, v25, v13
	ds_bpermute_b32 v16, v25, v18
	ds_bpermute_b32 v17, v25, v19
	ds_bpermute_b32 v22, v25, v14
	ds_bpermute_b32 v23, v25, v15
	ds_bpermute_b32 v24, v25, v20
	ds_bpermute_b32 v25, v25, v21
	s_waitcnt lgkmcnt(6)
	v_add_f64 v[10:11], v[12:13], v[10:11]
	s_waitcnt lgkmcnt(4)
	v_add_f64 v[16:17], v[18:19], v[16:17]
	v_xor_b32_e32 v18, 1, v26
	s_waitcnt lgkmcnt(2)
	v_add_f64 v[12:13], v[14:15], v[22:23]
	s_waitcnt lgkmcnt(0)
	v_add_f64 v[14:15], v[20:21], v[24:25]
	v_cmp_gt_i32_e32 vcc_lo, 32, v18
	v_cndmask_b32_e32 v18, v26, v18, vcc_lo
	v_cmp_eq_u32_e32 vcc_lo, 63, v0
	v_lshlrev_b32_e32 v21, 2, v18
	ds_bpermute_b32 v24, v21, v10
	ds_bpermute_b32 v25, v21, v11
	;; [unrolled: 1-line block ×8, first 2 shown]
	s_and_b32 exec_lo, exec_lo, vcc_lo
	s_cbranch_execz .LBB297_25
; %bb.21:
	v_cmp_eq_f64_e32 vcc_lo, 0, v[5:6]
	v_cmp_eq_f64_e64 s0, 0, v[7:8]
	s_waitcnt lgkmcnt(6)
	v_add_f64 v[10:11], v[10:11], v[24:25]
	s_waitcnt lgkmcnt(4)
	v_add_f64 v[16:17], v[16:17], v[22:23]
	;; [unrolled: 2-line block ×4, first 2 shown]
	s_load_dwordx2 s[2:3], s[4:5], 0x48
	s_and_b32 s0, vcc_lo, s0
	s_and_saveexec_b32 s1, s0
	s_xor_b32 s0, exec_lo, s1
	s_cbranch_execz .LBB297_23
; %bb.22:
	v_mul_f64 v[5:6], v[16:17], -v[3:4]
	v_mul_f64 v[7:8], v[1:2], v[16:17]
	v_mul_f64 v[16:17], v[14:15], -v[3:4]
	v_mul_f64 v[14:15], v[1:2], v[14:15]
	v_lshlrev_b32_e32 v9, 1, v9
	v_fma_f64 v[5:6], v[1:2], v[10:11], v[5:6]
	v_fma_f64 v[7:8], v[3:4], v[10:11], v[7:8]
	;; [unrolled: 1-line block ×4, first 2 shown]
	v_ashrrev_i32_e32 v10, 31, v9
                                        ; implicit-def: $vgpr16_vgpr17
                                        ; implicit-def: $vgpr12_vgpr13
                                        ; implicit-def: $vgpr14_vgpr15
	v_lshlrev_b64 v[9:10], 4, v[9:10]
	s_waitcnt lgkmcnt(0)
	v_add_co_u32 v9, vcc_lo, s2, v9
	v_add_co_ci_u32_e64 v10, null, s3, v10, vcc_lo
	global_store_dwordx4 v[9:10], v[5:8], off
	global_store_dwordx4 v[9:10], v[0:3], off offset:16
                                        ; implicit-def: $vgpr9
                                        ; implicit-def: $vgpr10_vgpr11
                                        ; implicit-def: $vgpr7_vgpr8
                                        ; implicit-def: $vgpr3_vgpr4
.LBB297_23:
	s_andn2_saveexec_b32 s0, s0
	s_cbranch_execz .LBB297_25
; %bb.24:
	v_lshlrev_b32_e32 v18, 1, v9
	v_mul_f64 v[28:29], v[16:17], -v[3:4]
	v_mul_f64 v[16:17], v[1:2], v[16:17]
	v_mul_f64 v[30:31], v[14:15], -v[3:4]
	v_mul_f64 v[14:15], v[1:2], v[14:15]
	v_ashrrev_i32_e32 v19, 31, v18
	v_lshlrev_b64 v[18:19], 4, v[18:19]
	s_waitcnt lgkmcnt(0)
	v_add_co_u32 v26, vcc_lo, s2, v18
	v_add_co_ci_u32_e64 v27, null, s3, v19, vcc_lo
	s_clause 0x1
	global_load_dwordx4 v[18:21], v[26:27], off
	global_load_dwordx4 v[22:25], v[26:27], off offset:16
	v_fma_f64 v[28:29], v[1:2], v[10:11], v[28:29]
	v_fma_f64 v[9:10], v[3:4], v[10:11], v[16:17]
	;; [unrolled: 1-line block ×4, first 2 shown]
	s_waitcnt vmcnt(1)
	v_fma_f64 v[11:12], v[5:6], v[18:19], v[28:29]
	v_fma_f64 v[9:10], v[7:8], v[18:19], v[9:10]
	s_waitcnt vmcnt(0)
	v_fma_f64 v[13:14], v[5:6], v[22:23], v[0:1]
	v_fma_f64 v[15:16], v[7:8], v[22:23], v[2:3]
	v_fma_f64 v[0:1], -v[7:8], v[20:21], v[11:12]
	v_fma_f64 v[2:3], v[5:6], v[20:21], v[9:10]
	v_fma_f64 v[7:8], -v[7:8], v[24:25], v[13:14]
	v_fma_f64 v[9:10], v[5:6], v[24:25], v[15:16]
	global_store_dwordx4 v[26:27], v[0:3], off
	global_store_dwordx4 v[26:27], v[7:10], off offset:16
.LBB297_25:
	s_endpgm
	.section	.rodata,"a",@progbits
	.p2align	6, 0x0
	.amdhsa_kernel _ZN9rocsparseL19gebsrmvn_2xn_kernelILj128ELj15ELj64E21rocsparse_complex_numIdEEEvi20rocsparse_direction_NS_24const_host_device_scalarIT2_EEPKiS8_PKS5_SA_S6_PS5_21rocsparse_index_base_b
		.amdhsa_group_segment_fixed_size 0
		.amdhsa_private_segment_fixed_size 0
		.amdhsa_kernarg_size 88
		.amdhsa_user_sgpr_count 6
		.amdhsa_user_sgpr_private_segment_buffer 1
		.amdhsa_user_sgpr_dispatch_ptr 0
		.amdhsa_user_sgpr_queue_ptr 0
		.amdhsa_user_sgpr_kernarg_segment_ptr 1
		.amdhsa_user_sgpr_dispatch_id 0
		.amdhsa_user_sgpr_flat_scratch_init 0
		.amdhsa_user_sgpr_private_segment_size 0
		.amdhsa_wavefront_size32 1
		.amdhsa_uses_dynamic_stack 0
		.amdhsa_system_sgpr_private_segment_wavefront_offset 0
		.amdhsa_system_sgpr_workgroup_id_x 1
		.amdhsa_system_sgpr_workgroup_id_y 0
		.amdhsa_system_sgpr_workgroup_id_z 0
		.amdhsa_system_sgpr_workgroup_info 0
		.amdhsa_system_vgpr_workitem_id 0
		.amdhsa_next_free_vgpr 62
		.amdhsa_next_free_sgpr 16
		.amdhsa_reserve_vcc 1
		.amdhsa_reserve_flat_scratch 0
		.amdhsa_float_round_mode_32 0
		.amdhsa_float_round_mode_16_64 0
		.amdhsa_float_denorm_mode_32 3
		.amdhsa_float_denorm_mode_16_64 3
		.amdhsa_dx10_clamp 1
		.amdhsa_ieee_mode 1
		.amdhsa_fp16_overflow 0
		.amdhsa_workgroup_processor_mode 1
		.amdhsa_memory_ordered 1
		.amdhsa_forward_progress 1
		.amdhsa_shared_vgpr_count 0
		.amdhsa_exception_fp_ieee_invalid_op 0
		.amdhsa_exception_fp_denorm_src 0
		.amdhsa_exception_fp_ieee_div_zero 0
		.amdhsa_exception_fp_ieee_overflow 0
		.amdhsa_exception_fp_ieee_underflow 0
		.amdhsa_exception_fp_ieee_inexact 0
		.amdhsa_exception_int_div_zero 0
	.end_amdhsa_kernel
	.section	.text._ZN9rocsparseL19gebsrmvn_2xn_kernelILj128ELj15ELj64E21rocsparse_complex_numIdEEEvi20rocsparse_direction_NS_24const_host_device_scalarIT2_EEPKiS8_PKS5_SA_S6_PS5_21rocsparse_index_base_b,"axG",@progbits,_ZN9rocsparseL19gebsrmvn_2xn_kernelILj128ELj15ELj64E21rocsparse_complex_numIdEEEvi20rocsparse_direction_NS_24const_host_device_scalarIT2_EEPKiS8_PKS5_SA_S6_PS5_21rocsparse_index_base_b,comdat
.Lfunc_end297:
	.size	_ZN9rocsparseL19gebsrmvn_2xn_kernelILj128ELj15ELj64E21rocsparse_complex_numIdEEEvi20rocsparse_direction_NS_24const_host_device_scalarIT2_EEPKiS8_PKS5_SA_S6_PS5_21rocsparse_index_base_b, .Lfunc_end297-_ZN9rocsparseL19gebsrmvn_2xn_kernelILj128ELj15ELj64E21rocsparse_complex_numIdEEEvi20rocsparse_direction_NS_24const_host_device_scalarIT2_EEPKiS8_PKS5_SA_S6_PS5_21rocsparse_index_base_b
                                        ; -- End function
	.set _ZN9rocsparseL19gebsrmvn_2xn_kernelILj128ELj15ELj64E21rocsparse_complex_numIdEEEvi20rocsparse_direction_NS_24const_host_device_scalarIT2_EEPKiS8_PKS5_SA_S6_PS5_21rocsparse_index_base_b.num_vgpr, 62
	.set _ZN9rocsparseL19gebsrmvn_2xn_kernelILj128ELj15ELj64E21rocsparse_complex_numIdEEEvi20rocsparse_direction_NS_24const_host_device_scalarIT2_EEPKiS8_PKS5_SA_S6_PS5_21rocsparse_index_base_b.num_agpr, 0
	.set _ZN9rocsparseL19gebsrmvn_2xn_kernelILj128ELj15ELj64E21rocsparse_complex_numIdEEEvi20rocsparse_direction_NS_24const_host_device_scalarIT2_EEPKiS8_PKS5_SA_S6_PS5_21rocsparse_index_base_b.numbered_sgpr, 16
	.set _ZN9rocsparseL19gebsrmvn_2xn_kernelILj128ELj15ELj64E21rocsparse_complex_numIdEEEvi20rocsparse_direction_NS_24const_host_device_scalarIT2_EEPKiS8_PKS5_SA_S6_PS5_21rocsparse_index_base_b.num_named_barrier, 0
	.set _ZN9rocsparseL19gebsrmvn_2xn_kernelILj128ELj15ELj64E21rocsparse_complex_numIdEEEvi20rocsparse_direction_NS_24const_host_device_scalarIT2_EEPKiS8_PKS5_SA_S6_PS5_21rocsparse_index_base_b.private_seg_size, 0
	.set _ZN9rocsparseL19gebsrmvn_2xn_kernelILj128ELj15ELj64E21rocsparse_complex_numIdEEEvi20rocsparse_direction_NS_24const_host_device_scalarIT2_EEPKiS8_PKS5_SA_S6_PS5_21rocsparse_index_base_b.uses_vcc, 1
	.set _ZN9rocsparseL19gebsrmvn_2xn_kernelILj128ELj15ELj64E21rocsparse_complex_numIdEEEvi20rocsparse_direction_NS_24const_host_device_scalarIT2_EEPKiS8_PKS5_SA_S6_PS5_21rocsparse_index_base_b.uses_flat_scratch, 0
	.set _ZN9rocsparseL19gebsrmvn_2xn_kernelILj128ELj15ELj64E21rocsparse_complex_numIdEEEvi20rocsparse_direction_NS_24const_host_device_scalarIT2_EEPKiS8_PKS5_SA_S6_PS5_21rocsparse_index_base_b.has_dyn_sized_stack, 0
	.set _ZN9rocsparseL19gebsrmvn_2xn_kernelILj128ELj15ELj64E21rocsparse_complex_numIdEEEvi20rocsparse_direction_NS_24const_host_device_scalarIT2_EEPKiS8_PKS5_SA_S6_PS5_21rocsparse_index_base_b.has_recursion, 0
	.set _ZN9rocsparseL19gebsrmvn_2xn_kernelILj128ELj15ELj64E21rocsparse_complex_numIdEEEvi20rocsparse_direction_NS_24const_host_device_scalarIT2_EEPKiS8_PKS5_SA_S6_PS5_21rocsparse_index_base_b.has_indirect_call, 0
	.section	.AMDGPU.csdata,"",@progbits
; Kernel info:
; codeLenInByte = 2920
; TotalNumSgprs: 18
; NumVgprs: 62
; ScratchSize: 0
; MemoryBound: 0
; FloatMode: 240
; IeeeMode: 1
; LDSByteSize: 0 bytes/workgroup (compile time only)
; SGPRBlocks: 0
; VGPRBlocks: 7
; NumSGPRsForWavesPerEU: 18
; NumVGPRsForWavesPerEU: 62
; Occupancy: 16
; WaveLimiterHint : 1
; COMPUTE_PGM_RSRC2:SCRATCH_EN: 0
; COMPUTE_PGM_RSRC2:USER_SGPR: 6
; COMPUTE_PGM_RSRC2:TRAP_HANDLER: 0
; COMPUTE_PGM_RSRC2:TGID_X_EN: 1
; COMPUTE_PGM_RSRC2:TGID_Y_EN: 0
; COMPUTE_PGM_RSRC2:TGID_Z_EN: 0
; COMPUTE_PGM_RSRC2:TIDIG_COMP_CNT: 0
	.section	.text._ZN9rocsparseL19gebsrmvn_2xn_kernelILj128ELj16ELj4E21rocsparse_complex_numIdEEEvi20rocsparse_direction_NS_24const_host_device_scalarIT2_EEPKiS8_PKS5_SA_S6_PS5_21rocsparse_index_base_b,"axG",@progbits,_ZN9rocsparseL19gebsrmvn_2xn_kernelILj128ELj16ELj4E21rocsparse_complex_numIdEEEvi20rocsparse_direction_NS_24const_host_device_scalarIT2_EEPKiS8_PKS5_SA_S6_PS5_21rocsparse_index_base_b,comdat
	.globl	_ZN9rocsparseL19gebsrmvn_2xn_kernelILj128ELj16ELj4E21rocsparse_complex_numIdEEEvi20rocsparse_direction_NS_24const_host_device_scalarIT2_EEPKiS8_PKS5_SA_S6_PS5_21rocsparse_index_base_b ; -- Begin function _ZN9rocsparseL19gebsrmvn_2xn_kernelILj128ELj16ELj4E21rocsparse_complex_numIdEEEvi20rocsparse_direction_NS_24const_host_device_scalarIT2_EEPKiS8_PKS5_SA_S6_PS5_21rocsparse_index_base_b
	.p2align	8
	.type	_ZN9rocsparseL19gebsrmvn_2xn_kernelILj128ELj16ELj4E21rocsparse_complex_numIdEEEvi20rocsparse_direction_NS_24const_host_device_scalarIT2_EEPKiS8_PKS5_SA_S6_PS5_21rocsparse_index_base_b,@function
_ZN9rocsparseL19gebsrmvn_2xn_kernelILj128ELj16ELj4E21rocsparse_complex_numIdEEEvi20rocsparse_direction_NS_24const_host_device_scalarIT2_EEPKiS8_PKS5_SA_S6_PS5_21rocsparse_index_base_b: ; @_ZN9rocsparseL19gebsrmvn_2xn_kernelILj128ELj16ELj4E21rocsparse_complex_numIdEEEvi20rocsparse_direction_NS_24const_host_device_scalarIT2_EEPKiS8_PKS5_SA_S6_PS5_21rocsparse_index_base_b
; %bb.0:
	s_clause 0x1
	s_load_dwordx2 s[2:3], s[4:5], 0x50
	s_load_dwordx2 s[0:1], s[4:5], 0x8
	s_add_u32 s7, s4, 8
	s_addc_u32 s10, s5, 0
	s_add_u32 s11, s4, 56
	s_addc_u32 s12, s5, 0
	s_load_dwordx2 s[8:9], s[4:5], 0x38
	s_waitcnt lgkmcnt(0)
	s_bitcmp1_b32 s3, 0
	s_cselect_b32 s0, s7, s0
	s_cselect_b32 s1, s10, s1
	v_mov_b32_e32 v1, s0
	v_mov_b32_e32 v2, s1
	s_cselect_b32 s0, s11, s8
	s_cselect_b32 s1, s12, s9
	v_mov_b32_e32 v5, s0
	v_mov_b32_e32 v6, s1
	flat_load_dwordx4 v[1:4], v[1:2]
	flat_load_dwordx4 v[5:8], v[5:6]
	s_waitcnt vmcnt(1) lgkmcnt(1)
	v_cmp_eq_f64_e32 vcc_lo, 0, v[1:2]
	v_cmp_eq_f64_e64 s0, 0, v[3:4]
	s_and_b32 s3, vcc_lo, s0
	s_mov_b32 s0, -1
	s_and_saveexec_b32 s1, s3
	s_cbranch_execz .LBB298_2
; %bb.1:
	s_waitcnt vmcnt(0) lgkmcnt(0)
	v_cmp_neq_f64_e32 vcc_lo, 1.0, v[5:6]
	v_cmp_neq_f64_e64 s0, 0, v[7:8]
	s_or_b32 s0, vcc_lo, s0
	s_orn2_b32 s0, s0, exec_lo
.LBB298_2:
	s_or_b32 exec_lo, exec_lo, s1
	s_and_saveexec_b32 s1, s0
	s_cbranch_execz .LBB298_25
; %bb.3:
	s_load_dwordx2 s[0:1], s[4:5], 0x0
	v_lshrrev_b32_e32 v9, 2, v0
	v_lshl_or_b32 v9, s6, 5, v9
	s_waitcnt lgkmcnt(0)
	v_cmp_gt_i32_e32 vcc_lo, s0, v9
	s_and_b32 exec_lo, exec_lo, vcc_lo
	s_cbranch_execz .LBB298_25
; %bb.4:
	s_load_dwordx8 s[8:15], s[4:5], 0x18
	v_ashrrev_i32_e32 v10, 31, v9
	v_and_b32_e32 v0, 3, v0
	s_cmp_lg_u32 s1, 0
	v_lshlrev_b64 v[10:11], 2, v[9:10]
	s_waitcnt lgkmcnt(0)
	v_add_co_u32 v10, vcc_lo, s8, v10
	v_add_co_ci_u32_e64 v11, null, s9, v11, vcc_lo
	global_load_dwordx2 v[10:11], v[10:11], off
	s_waitcnt vmcnt(0)
	v_subrev_nc_u32_e32 v10, s2, v10
	v_subrev_nc_u32_e32 v27, s2, v11
	v_add_nc_u32_e32 v10, v10, v0
	v_cmp_lt_i32_e64 s0, v10, v27
	s_cbranch_scc0 .LBB298_12
; %bb.5:
	v_mov_b32_e32 v12, 0
	v_mov_b32_e32 v18, 0
	;; [unrolled: 1-line block ×8, first 2 shown]
	s_and_saveexec_b32 s1, s0
	s_cbranch_execz .LBB298_11
; %bb.6:
	v_lshlrev_b32_e32 v20, 5, v10
	v_mov_b32_e32 v12, 0
	v_mov_b32_e32 v18, 0
	v_mov_b32_e32 v14, 0
	v_mov_b32_e32 v16, 0
	v_mov_b32_e32 v13, 0
	v_mov_b32_e32 v23, 0
	v_mov_b32_e32 v19, 0
	v_mov_b32_e32 v15, 0
	v_or_b32_e32 v11, 6, v20
	v_mov_b32_e32 v17, 0
	v_mov_b32_e32 v24, v10
	s_add_u32 s3, s12, 16
	s_addc_u32 s9, s13, 0
	s_mov_b32 s8, 0
.LBB298_7:                              ; =>This Loop Header: Depth=1
                                        ;     Child Loop BB298_8 Depth 2
	v_ashrrev_i32_e32 v25, 31, v24
	s_mov_b64 s[6:7], 0
	v_lshlrev_b64 v[21:22], 2, v[24:25]
	v_add_co_u32 v21, vcc_lo, s10, v21
	v_add_co_ci_u32_e64 v22, null, s11, v22, vcc_lo
	global_load_dword v21, v[21:22], off
	s_waitcnt vmcnt(0)
	v_subrev_nc_u32_e32 v22, s2, v21
	v_mov_b32_e32 v21, v23
	v_lshlrev_b32_e32 v22, 4, v22
	v_lshlrev_b64 v[25:26], 4, v[20:21]
	v_lshlrev_b64 v[21:22], 4, v[22:23]
	v_add_co_u32 v25, vcc_lo, s3, v25
	v_add_co_ci_u32_e64 v26, null, s9, v26, vcc_lo
	v_add_co_u32 v28, vcc_lo, s14, v21
	v_add_co_ci_u32_e64 v29, null, s15, v22, vcc_lo
	v_mov_b32_e32 v21, v11
.LBB298_8:                              ;   Parent Loop BB298_7 Depth=1
                                        ; =>  This Inner Loop Header: Depth=2
	v_add_co_u32 v58, vcc_lo, v28, s6
	v_add_co_ci_u32_e64 v59, null, s7, v29, vcc_lo
	v_add_nc_u32_e32 v22, -4, v21
	s_clause 0x1
	global_load_dwordx4 v[30:33], v[25:26], off
	global_load_dwordx4 v[34:37], v[25:26], off offset:-16
	s_clause 0x1
	global_load_dwordx4 v[38:41], v[58:59], off
	global_load_dwordx4 v[42:45], v[58:59], off offset:16
	s_add_u32 s6, s6, 64
	s_addc_u32 s7, s7, 0
	s_cmpk_eq_i32 s6, 0x100
	v_lshlrev_b64 v[46:47], 4, v[22:23]
	v_add_nc_u32_e32 v22, -2, v21
	v_add_co_u32 v50, vcc_lo, s12, v46
	v_add_co_ci_u32_e64 v51, null, s13, v47, vcc_lo
	s_clause 0x1
	global_load_dwordx4 v[46:49], v[50:51], off
	global_load_dwordx4 v[50:53], v[50:51], off offset:16
	v_lshlrev_b64 v[60:61], 4, v[22:23]
	global_load_dwordx4 v[54:57], v[58:59], off offset:48
	v_mov_b32_e32 v22, v23
	v_add_co_u32 v66, vcc_lo, s12, v60
	v_add_co_ci_u32_e64 v67, null, s13, v61, vcc_lo
	global_load_dwordx4 v[58:61], v[58:59], off offset:32
	s_clause 0x1
	global_load_dwordx4 v[62:65], v[66:67], off
	global_load_dwordx4 v[66:69], v[66:67], off offset:16
	v_lshlrev_b64 v[70:71], 4, v[21:22]
	v_add_nc_u32_e32 v21, 8, v21
	v_add_co_u32 v74, vcc_lo, s12, v70
	v_add_co_ci_u32_e64 v75, null, s13, v71, vcc_lo
	s_clause 0x1
	global_load_dwordx4 v[70:73], v[74:75], off
	global_load_dwordx4 v[74:77], v[74:75], off offset:16
	v_add_co_u32 v25, vcc_lo, 0x80, v25
	v_add_co_ci_u32_e64 v26, null, 0, v26, vcc_lo
	s_waitcnt vmcnt(9)
	v_fma_f64 v[18:19], v[34:35], v[38:39], v[18:19]
	v_fma_f64 v[12:13], v[36:37], v[38:39], v[12:13]
	;; [unrolled: 1-line block ×4, first 2 shown]
	v_fma_f64 v[18:19], -v[36:37], v[40:41], v[18:19]
	v_fma_f64 v[12:13], v[34:35], v[40:41], v[12:13]
	v_fma_f64 v[14:15], -v[32:33], v[40:41], v[14:15]
	v_fma_f64 v[16:17], v[30:31], v[40:41], v[16:17]
	s_waitcnt vmcnt(7)
	v_fma_f64 v[18:19], v[46:47], v[42:43], v[18:19]
	v_fma_f64 v[12:13], v[48:49], v[42:43], v[12:13]
	s_waitcnt vmcnt(6)
	v_fma_f64 v[14:15], v[50:51], v[42:43], v[14:15]
	v_fma_f64 v[16:17], v[52:53], v[42:43], v[16:17]
	v_fma_f64 v[18:19], -v[48:49], v[44:45], v[18:19]
	v_fma_f64 v[12:13], v[46:47], v[44:45], v[12:13]
	v_fma_f64 v[14:15], -v[52:53], v[44:45], v[14:15]
	v_fma_f64 v[16:17], v[50:51], v[44:45], v[16:17]
	s_waitcnt vmcnt(3)
	v_fma_f64 v[18:19], v[62:63], v[58:59], v[18:19]
	v_fma_f64 v[12:13], v[64:65], v[58:59], v[12:13]
	s_waitcnt vmcnt(2)
	v_fma_f64 v[14:15], v[66:67], v[58:59], v[14:15]
	v_fma_f64 v[16:17], v[68:69], v[58:59], v[16:17]
	;; [unrolled: 10-line block ×3, first 2 shown]
	v_fma_f64 v[18:19], -v[72:73], v[56:57], v[18:19]
	v_fma_f64 v[12:13], v[70:71], v[56:57], v[12:13]
	v_fma_f64 v[14:15], -v[76:77], v[56:57], v[14:15]
	v_fma_f64 v[16:17], v[74:75], v[56:57], v[16:17]
	s_cbranch_scc0 .LBB298_8
; %bb.9:                                ;   in Loop: Header=BB298_7 Depth=1
	v_add_nc_u32_e32 v24, 4, v24
	v_add_nc_u32_e32 v11, 0x80, v11
	;; [unrolled: 1-line block ×3, first 2 shown]
	v_cmp_ge_i32_e32 vcc_lo, v24, v27
	s_or_b32 s8, vcc_lo, s8
	s_andn2_b32 exec_lo, exec_lo, s8
	s_cbranch_execnz .LBB298_7
; %bb.10:
	s_or_b32 exec_lo, exec_lo, s8
.LBB298_11:
	s_or_b32 exec_lo, exec_lo, s1
	s_cbranch_execz .LBB298_13
	s_branch .LBB298_20
.LBB298_12:
                                        ; implicit-def: $vgpr12_vgpr13
                                        ; implicit-def: $vgpr18_vgpr19
                                        ; implicit-def: $vgpr14_vgpr15
                                        ; implicit-def: $vgpr16_vgpr17
.LBB298_13:
	v_mov_b32_e32 v12, 0
	v_mov_b32_e32 v18, 0
	;; [unrolled: 1-line block ×8, first 2 shown]
	s_and_saveexec_b32 s3, s0
	s_cbranch_execz .LBB298_19
; %bb.14:
	v_mov_b32_e32 v12, 0
	v_mov_b32_e32 v18, 0
	;; [unrolled: 1-line block ×4, first 2 shown]
	v_lshlrev_b32_e32 v20, 5, v10
	v_mov_b32_e32 v13, 0
	v_mov_b32_e32 v19, 0
	;; [unrolled: 1-line block ×5, first 2 shown]
	s_mov_b32 s6, 0
.LBB298_15:                             ; =>This Loop Header: Depth=1
                                        ;     Child Loop BB298_16 Depth 2
	v_ashrrev_i32_e32 v11, 31, v10
	v_lshlrev_b64 v[24:25], 4, v[20:21]
	s_mov_b64 s[0:1], 0
	v_lshlrev_b64 v[22:23], 2, v[10:11]
	v_add_co_u32 v22, vcc_lo, s10, v22
	v_add_co_ci_u32_e64 v23, null, s11, v23, vcc_lo
	global_load_dword v11, v[22:23], off
	v_mov_b32_e32 v23, v21
	s_waitcnt vmcnt(0)
	v_subrev_nc_u32_e32 v11, s2, v11
	v_lshlrev_b32_e32 v22, 4, v11
	v_add_co_u32 v11, vcc_lo, s12, v24
	v_lshlrev_b64 v[28:29], 4, v[22:23]
	v_add_co_ci_u32_e64 v22, null, s13, v25, vcc_lo
	v_add_co_u32 v23, vcc_lo, s14, v28
	v_add_co_ci_u32_e64 v24, null, s15, v29, vcc_lo
.LBB298_16:                             ;   Parent Loop BB298_15 Depth=1
                                        ; =>  This Inner Loop Header: Depth=2
	v_add_co_u32 v25, vcc_lo, v11, s0
	v_add_co_ci_u32_e64 v26, null, s1, v22, vcc_lo
	v_add_co_u32 v68, vcc_lo, v23, s0
	v_add_co_ci_u32_e64 v69, null, s1, v24, vcc_lo
	global_load_dwordx4 v[28:31], v[25:26], off
	global_load_dwordx4 v[32:35], v[68:69], off
	s_clause 0x1
	global_load_dwordx4 v[36:39], v[25:26], off offset:256
	global_load_dwordx4 v[40:43], v[25:26], off offset:16
	global_load_dwordx4 v[44:47], v[68:69], off offset:16
	s_clause 0x1
	global_load_dwordx4 v[48:51], v[25:26], off offset:272
	global_load_dwordx4 v[52:55], v[25:26], off offset:32
	global_load_dwordx4 v[56:59], v[68:69], off offset:32
	s_clause 0x1
	global_load_dwordx4 v[60:63], v[25:26], off offset:288
	global_load_dwordx4 v[64:67], v[25:26], off offset:48
	global_load_dwordx4 v[68:71], v[68:69], off offset:48
	global_load_dwordx4 v[72:75], v[25:26], off offset:304
	s_add_u32 s0, s0, 64
	s_addc_u32 s1, s1, 0
	s_cmpk_eq_i32 s0, 0x100
	s_waitcnt vmcnt(10)
	v_fma_f64 v[18:19], v[28:29], v[32:33], v[18:19]
	v_fma_f64 v[12:13], v[30:31], v[32:33], v[12:13]
	s_waitcnt vmcnt(9)
	v_fma_f64 v[14:15], v[36:37], v[32:33], v[14:15]
	v_fma_f64 v[16:17], v[38:39], v[32:33], v[16:17]
	v_fma_f64 v[18:19], -v[30:31], v[34:35], v[18:19]
	v_fma_f64 v[12:13], v[28:29], v[34:35], v[12:13]
	v_fma_f64 v[14:15], -v[38:39], v[34:35], v[14:15]
	v_fma_f64 v[16:17], v[36:37], v[34:35], v[16:17]
	s_waitcnt vmcnt(7)
	v_fma_f64 v[18:19], v[40:41], v[44:45], v[18:19]
	v_fma_f64 v[12:13], v[42:43], v[44:45], v[12:13]
	s_waitcnt vmcnt(6)
	v_fma_f64 v[14:15], v[48:49], v[44:45], v[14:15]
	v_fma_f64 v[16:17], v[50:51], v[44:45], v[16:17]
	v_fma_f64 v[18:19], -v[42:43], v[46:47], v[18:19]
	v_fma_f64 v[12:13], v[40:41], v[46:47], v[12:13]
	v_fma_f64 v[14:15], -v[50:51], v[46:47], v[14:15]
	v_fma_f64 v[16:17], v[48:49], v[46:47], v[16:17]
	;; [unrolled: 10-line block ×4, first 2 shown]
	s_cbranch_scc0 .LBB298_16
; %bb.17:                               ;   in Loop: Header=BB298_15 Depth=1
	v_add_nc_u32_e32 v10, 4, v10
	v_add_nc_u32_e32 v20, 0x80, v20
	v_cmp_ge_i32_e32 vcc_lo, v10, v27
	s_or_b32 s6, vcc_lo, s6
	s_andn2_b32 exec_lo, exec_lo, s6
	s_cbranch_execnz .LBB298_15
; %bb.18:
	s_or_b32 exec_lo, exec_lo, s6
.LBB298_19:
	s_or_b32 exec_lo, exec_lo, s3
.LBB298_20:
	v_mbcnt_lo_u32_b32 v26, -1, 0
	v_xor_b32_e32 v10, 2, v26
	v_cmp_gt_i32_e32 vcc_lo, 32, v10
	v_cndmask_b32_e32 v10, v26, v10, vcc_lo
	v_lshlrev_b32_e32 v25, 2, v10
	ds_bpermute_b32 v10, v25, v18
	ds_bpermute_b32 v11, v25, v19
	;; [unrolled: 1-line block ×8, first 2 shown]
	s_waitcnt lgkmcnt(6)
	v_add_f64 v[10:11], v[18:19], v[10:11]
	s_waitcnt lgkmcnt(4)
	v_add_f64 v[18:19], v[12:13], v[20:21]
	;; [unrolled: 2-line block ×4, first 2 shown]
	v_xor_b32_e32 v16, 1, v26
	v_cmp_gt_i32_e32 vcc_lo, 32, v16
	v_cndmask_b32_e32 v16, v26, v16, vcc_lo
	v_cmp_eq_u32_e32 vcc_lo, 3, v0
	v_lshlrev_b32_e32 v23, 2, v16
	ds_bpermute_b32 v24, v23, v10
	ds_bpermute_b32 v25, v23, v11
	;; [unrolled: 1-line block ×8, first 2 shown]
	s_and_b32 exec_lo, exec_lo, vcc_lo
	s_cbranch_execz .LBB298_25
; %bb.21:
	v_cmp_eq_f64_e32 vcc_lo, 0, v[5:6]
	v_cmp_eq_f64_e64 s0, 0, v[7:8]
	s_waitcnt lgkmcnt(6)
	v_add_f64 v[10:11], v[10:11], v[24:25]
	s_waitcnt lgkmcnt(4)
	v_add_f64 v[16:17], v[18:19], v[16:17]
	;; [unrolled: 2-line block ×4, first 2 shown]
	s_load_dwordx2 s[2:3], s[4:5], 0x48
	s_and_b32 s0, vcc_lo, s0
	s_and_saveexec_b32 s1, s0
	s_xor_b32 s0, exec_lo, s1
	s_cbranch_execz .LBB298_23
; %bb.22:
	v_mul_f64 v[5:6], v[16:17], -v[3:4]
	v_mul_f64 v[7:8], v[1:2], v[16:17]
	v_mul_f64 v[16:17], v[14:15], -v[3:4]
	v_mul_f64 v[14:15], v[1:2], v[14:15]
	v_lshlrev_b32_e32 v9, 1, v9
	v_fma_f64 v[5:6], v[1:2], v[10:11], v[5:6]
	v_fma_f64 v[7:8], v[3:4], v[10:11], v[7:8]
	;; [unrolled: 1-line block ×4, first 2 shown]
	v_ashrrev_i32_e32 v10, 31, v9
                                        ; implicit-def: $vgpr16_vgpr17
                                        ; implicit-def: $vgpr12_vgpr13
                                        ; implicit-def: $vgpr14_vgpr15
	v_lshlrev_b64 v[9:10], 4, v[9:10]
	s_waitcnt lgkmcnt(0)
	v_add_co_u32 v9, vcc_lo, s2, v9
	v_add_co_ci_u32_e64 v10, null, s3, v10, vcc_lo
	global_store_dwordx4 v[9:10], v[5:8], off
	global_store_dwordx4 v[9:10], v[0:3], off offset:16
                                        ; implicit-def: $vgpr9
                                        ; implicit-def: $vgpr10_vgpr11
                                        ; implicit-def: $vgpr7_vgpr8
                                        ; implicit-def: $vgpr3_vgpr4
.LBB298_23:
	s_andn2_saveexec_b32 s0, s0
	s_cbranch_execz .LBB298_25
; %bb.24:
	v_lshlrev_b32_e32 v18, 1, v9
	v_mul_f64 v[28:29], v[16:17], -v[3:4]
	v_mul_f64 v[16:17], v[1:2], v[16:17]
	v_mul_f64 v[30:31], v[14:15], -v[3:4]
	v_mul_f64 v[14:15], v[1:2], v[14:15]
	v_ashrrev_i32_e32 v19, 31, v18
	v_lshlrev_b64 v[18:19], 4, v[18:19]
	s_waitcnt lgkmcnt(0)
	v_add_co_u32 v26, vcc_lo, s2, v18
	v_add_co_ci_u32_e64 v27, null, s3, v19, vcc_lo
	s_clause 0x1
	global_load_dwordx4 v[18:21], v[26:27], off
	global_load_dwordx4 v[22:25], v[26:27], off offset:16
	v_fma_f64 v[28:29], v[1:2], v[10:11], v[28:29]
	v_fma_f64 v[9:10], v[3:4], v[10:11], v[16:17]
	;; [unrolled: 1-line block ×4, first 2 shown]
	s_waitcnt vmcnt(1)
	v_fma_f64 v[11:12], v[5:6], v[18:19], v[28:29]
	v_fma_f64 v[9:10], v[7:8], v[18:19], v[9:10]
	s_waitcnt vmcnt(0)
	v_fma_f64 v[13:14], v[5:6], v[22:23], v[0:1]
	v_fma_f64 v[15:16], v[7:8], v[22:23], v[2:3]
	v_fma_f64 v[0:1], -v[7:8], v[20:21], v[11:12]
	v_fma_f64 v[2:3], v[5:6], v[20:21], v[9:10]
	v_fma_f64 v[7:8], -v[7:8], v[24:25], v[13:14]
	v_fma_f64 v[9:10], v[5:6], v[24:25], v[15:16]
	global_store_dwordx4 v[26:27], v[0:3], off
	global_store_dwordx4 v[26:27], v[7:10], off offset:16
.LBB298_25:
	s_endpgm
	.section	.rodata,"a",@progbits
	.p2align	6, 0x0
	.amdhsa_kernel _ZN9rocsparseL19gebsrmvn_2xn_kernelILj128ELj16ELj4E21rocsparse_complex_numIdEEEvi20rocsparse_direction_NS_24const_host_device_scalarIT2_EEPKiS8_PKS5_SA_S6_PS5_21rocsparse_index_base_b
		.amdhsa_group_segment_fixed_size 0
		.amdhsa_private_segment_fixed_size 0
		.amdhsa_kernarg_size 88
		.amdhsa_user_sgpr_count 6
		.amdhsa_user_sgpr_private_segment_buffer 1
		.amdhsa_user_sgpr_dispatch_ptr 0
		.amdhsa_user_sgpr_queue_ptr 0
		.amdhsa_user_sgpr_kernarg_segment_ptr 1
		.amdhsa_user_sgpr_dispatch_id 0
		.amdhsa_user_sgpr_flat_scratch_init 0
		.amdhsa_user_sgpr_private_segment_size 0
		.amdhsa_wavefront_size32 1
		.amdhsa_uses_dynamic_stack 0
		.amdhsa_system_sgpr_private_segment_wavefront_offset 0
		.amdhsa_system_sgpr_workgroup_id_x 1
		.amdhsa_system_sgpr_workgroup_id_y 0
		.amdhsa_system_sgpr_workgroup_id_z 0
		.amdhsa_system_sgpr_workgroup_info 0
		.amdhsa_system_vgpr_workitem_id 0
		.amdhsa_next_free_vgpr 78
		.amdhsa_next_free_sgpr 16
		.amdhsa_reserve_vcc 1
		.amdhsa_reserve_flat_scratch 0
		.amdhsa_float_round_mode_32 0
		.amdhsa_float_round_mode_16_64 0
		.amdhsa_float_denorm_mode_32 3
		.amdhsa_float_denorm_mode_16_64 3
		.amdhsa_dx10_clamp 1
		.amdhsa_ieee_mode 1
		.amdhsa_fp16_overflow 0
		.amdhsa_workgroup_processor_mode 1
		.amdhsa_memory_ordered 1
		.amdhsa_forward_progress 1
		.amdhsa_shared_vgpr_count 0
		.amdhsa_exception_fp_ieee_invalid_op 0
		.amdhsa_exception_fp_denorm_src 0
		.amdhsa_exception_fp_ieee_div_zero 0
		.amdhsa_exception_fp_ieee_overflow 0
		.amdhsa_exception_fp_ieee_underflow 0
		.amdhsa_exception_fp_ieee_inexact 0
		.amdhsa_exception_int_div_zero 0
	.end_amdhsa_kernel
	.section	.text._ZN9rocsparseL19gebsrmvn_2xn_kernelILj128ELj16ELj4E21rocsparse_complex_numIdEEEvi20rocsparse_direction_NS_24const_host_device_scalarIT2_EEPKiS8_PKS5_SA_S6_PS5_21rocsparse_index_base_b,"axG",@progbits,_ZN9rocsparseL19gebsrmvn_2xn_kernelILj128ELj16ELj4E21rocsparse_complex_numIdEEEvi20rocsparse_direction_NS_24const_host_device_scalarIT2_EEPKiS8_PKS5_SA_S6_PS5_21rocsparse_index_base_b,comdat
.Lfunc_end298:
	.size	_ZN9rocsparseL19gebsrmvn_2xn_kernelILj128ELj16ELj4E21rocsparse_complex_numIdEEEvi20rocsparse_direction_NS_24const_host_device_scalarIT2_EEPKiS8_PKS5_SA_S6_PS5_21rocsparse_index_base_b, .Lfunc_end298-_ZN9rocsparseL19gebsrmvn_2xn_kernelILj128ELj16ELj4E21rocsparse_complex_numIdEEEvi20rocsparse_direction_NS_24const_host_device_scalarIT2_EEPKiS8_PKS5_SA_S6_PS5_21rocsparse_index_base_b
                                        ; -- End function
	.set _ZN9rocsparseL19gebsrmvn_2xn_kernelILj128ELj16ELj4E21rocsparse_complex_numIdEEEvi20rocsparse_direction_NS_24const_host_device_scalarIT2_EEPKiS8_PKS5_SA_S6_PS5_21rocsparse_index_base_b.num_vgpr, 78
	.set _ZN9rocsparseL19gebsrmvn_2xn_kernelILj128ELj16ELj4E21rocsparse_complex_numIdEEEvi20rocsparse_direction_NS_24const_host_device_scalarIT2_EEPKiS8_PKS5_SA_S6_PS5_21rocsparse_index_base_b.num_agpr, 0
	.set _ZN9rocsparseL19gebsrmvn_2xn_kernelILj128ELj16ELj4E21rocsparse_complex_numIdEEEvi20rocsparse_direction_NS_24const_host_device_scalarIT2_EEPKiS8_PKS5_SA_S6_PS5_21rocsparse_index_base_b.numbered_sgpr, 16
	.set _ZN9rocsparseL19gebsrmvn_2xn_kernelILj128ELj16ELj4E21rocsparse_complex_numIdEEEvi20rocsparse_direction_NS_24const_host_device_scalarIT2_EEPKiS8_PKS5_SA_S6_PS5_21rocsparse_index_base_b.num_named_barrier, 0
	.set _ZN9rocsparseL19gebsrmvn_2xn_kernelILj128ELj16ELj4E21rocsparse_complex_numIdEEEvi20rocsparse_direction_NS_24const_host_device_scalarIT2_EEPKiS8_PKS5_SA_S6_PS5_21rocsparse_index_base_b.private_seg_size, 0
	.set _ZN9rocsparseL19gebsrmvn_2xn_kernelILj128ELj16ELj4E21rocsparse_complex_numIdEEEvi20rocsparse_direction_NS_24const_host_device_scalarIT2_EEPKiS8_PKS5_SA_S6_PS5_21rocsparse_index_base_b.uses_vcc, 1
	.set _ZN9rocsparseL19gebsrmvn_2xn_kernelILj128ELj16ELj4E21rocsparse_complex_numIdEEEvi20rocsparse_direction_NS_24const_host_device_scalarIT2_EEPKiS8_PKS5_SA_S6_PS5_21rocsparse_index_base_b.uses_flat_scratch, 0
	.set _ZN9rocsparseL19gebsrmvn_2xn_kernelILj128ELj16ELj4E21rocsparse_complex_numIdEEEvi20rocsparse_direction_NS_24const_host_device_scalarIT2_EEPKiS8_PKS5_SA_S6_PS5_21rocsparse_index_base_b.has_dyn_sized_stack, 0
	.set _ZN9rocsparseL19gebsrmvn_2xn_kernelILj128ELj16ELj4E21rocsparse_complex_numIdEEEvi20rocsparse_direction_NS_24const_host_device_scalarIT2_EEPKiS8_PKS5_SA_S6_PS5_21rocsparse_index_base_b.has_recursion, 0
	.set _ZN9rocsparseL19gebsrmvn_2xn_kernelILj128ELj16ELj4E21rocsparse_complex_numIdEEEvi20rocsparse_direction_NS_24const_host_device_scalarIT2_EEPKiS8_PKS5_SA_S6_PS5_21rocsparse_index_base_b.has_indirect_call, 0
	.section	.AMDGPU.csdata,"",@progbits
; Kernel info:
; codeLenInByte = 2404
; TotalNumSgprs: 18
; NumVgprs: 78
; ScratchSize: 0
; MemoryBound: 1
; FloatMode: 240
; IeeeMode: 1
; LDSByteSize: 0 bytes/workgroup (compile time only)
; SGPRBlocks: 0
; VGPRBlocks: 9
; NumSGPRsForWavesPerEU: 18
; NumVGPRsForWavesPerEU: 78
; Occupancy: 12
; WaveLimiterHint : 1
; COMPUTE_PGM_RSRC2:SCRATCH_EN: 0
; COMPUTE_PGM_RSRC2:USER_SGPR: 6
; COMPUTE_PGM_RSRC2:TRAP_HANDLER: 0
; COMPUTE_PGM_RSRC2:TGID_X_EN: 1
; COMPUTE_PGM_RSRC2:TGID_Y_EN: 0
; COMPUTE_PGM_RSRC2:TGID_Z_EN: 0
; COMPUTE_PGM_RSRC2:TIDIG_COMP_CNT: 0
	.section	.text._ZN9rocsparseL19gebsrmvn_2xn_kernelILj128ELj16ELj8E21rocsparse_complex_numIdEEEvi20rocsparse_direction_NS_24const_host_device_scalarIT2_EEPKiS8_PKS5_SA_S6_PS5_21rocsparse_index_base_b,"axG",@progbits,_ZN9rocsparseL19gebsrmvn_2xn_kernelILj128ELj16ELj8E21rocsparse_complex_numIdEEEvi20rocsparse_direction_NS_24const_host_device_scalarIT2_EEPKiS8_PKS5_SA_S6_PS5_21rocsparse_index_base_b,comdat
	.globl	_ZN9rocsparseL19gebsrmvn_2xn_kernelILj128ELj16ELj8E21rocsparse_complex_numIdEEEvi20rocsparse_direction_NS_24const_host_device_scalarIT2_EEPKiS8_PKS5_SA_S6_PS5_21rocsparse_index_base_b ; -- Begin function _ZN9rocsparseL19gebsrmvn_2xn_kernelILj128ELj16ELj8E21rocsparse_complex_numIdEEEvi20rocsparse_direction_NS_24const_host_device_scalarIT2_EEPKiS8_PKS5_SA_S6_PS5_21rocsparse_index_base_b
	.p2align	8
	.type	_ZN9rocsparseL19gebsrmvn_2xn_kernelILj128ELj16ELj8E21rocsparse_complex_numIdEEEvi20rocsparse_direction_NS_24const_host_device_scalarIT2_EEPKiS8_PKS5_SA_S6_PS5_21rocsparse_index_base_b,@function
_ZN9rocsparseL19gebsrmvn_2xn_kernelILj128ELj16ELj8E21rocsparse_complex_numIdEEEvi20rocsparse_direction_NS_24const_host_device_scalarIT2_EEPKiS8_PKS5_SA_S6_PS5_21rocsparse_index_base_b: ; @_ZN9rocsparseL19gebsrmvn_2xn_kernelILj128ELj16ELj8E21rocsparse_complex_numIdEEEvi20rocsparse_direction_NS_24const_host_device_scalarIT2_EEPKiS8_PKS5_SA_S6_PS5_21rocsparse_index_base_b
; %bb.0:
	s_clause 0x1
	s_load_dwordx2 s[2:3], s[4:5], 0x50
	s_load_dwordx2 s[0:1], s[4:5], 0x8
	s_add_u32 s7, s4, 8
	s_addc_u32 s10, s5, 0
	s_add_u32 s11, s4, 56
	s_addc_u32 s12, s5, 0
	s_load_dwordx2 s[8:9], s[4:5], 0x38
	s_waitcnt lgkmcnt(0)
	s_bitcmp1_b32 s3, 0
	s_cselect_b32 s0, s7, s0
	s_cselect_b32 s1, s10, s1
	v_mov_b32_e32 v1, s0
	v_mov_b32_e32 v2, s1
	s_cselect_b32 s0, s11, s8
	s_cselect_b32 s1, s12, s9
	v_mov_b32_e32 v5, s0
	v_mov_b32_e32 v6, s1
	flat_load_dwordx4 v[1:4], v[1:2]
	flat_load_dwordx4 v[5:8], v[5:6]
	s_waitcnt vmcnt(1) lgkmcnt(1)
	v_cmp_eq_f64_e32 vcc_lo, 0, v[1:2]
	v_cmp_eq_f64_e64 s0, 0, v[3:4]
	s_and_b32 s3, vcc_lo, s0
	s_mov_b32 s0, -1
	s_and_saveexec_b32 s1, s3
	s_cbranch_execz .LBB299_2
; %bb.1:
	s_waitcnt vmcnt(0) lgkmcnt(0)
	v_cmp_neq_f64_e32 vcc_lo, 1.0, v[5:6]
	v_cmp_neq_f64_e64 s0, 0, v[7:8]
	s_or_b32 s0, vcc_lo, s0
	s_orn2_b32 s0, s0, exec_lo
.LBB299_2:
	s_or_b32 exec_lo, exec_lo, s1
	s_and_saveexec_b32 s1, s0
	s_cbranch_execz .LBB299_25
; %bb.3:
	s_load_dwordx2 s[0:1], s[4:5], 0x0
	v_lshrrev_b32_e32 v9, 3, v0
	v_lshl_or_b32 v9, s6, 4, v9
	s_waitcnt lgkmcnt(0)
	v_cmp_gt_i32_e32 vcc_lo, s0, v9
	s_and_b32 exec_lo, exec_lo, vcc_lo
	s_cbranch_execz .LBB299_25
; %bb.4:
	s_load_dwordx8 s[8:15], s[4:5], 0x18
	v_ashrrev_i32_e32 v10, 31, v9
	v_and_b32_e32 v0, 7, v0
	s_cmp_lg_u32 s1, 0
	v_lshlrev_b64 v[10:11], 2, v[9:10]
	s_waitcnt lgkmcnt(0)
	v_add_co_u32 v10, vcc_lo, s8, v10
	v_add_co_ci_u32_e64 v11, null, s9, v11, vcc_lo
	global_load_dwordx2 v[10:11], v[10:11], off
	s_waitcnt vmcnt(0)
	v_subrev_nc_u32_e32 v10, s2, v10
	v_subrev_nc_u32_e32 v27, s2, v11
	v_add_nc_u32_e32 v10, v10, v0
	v_cmp_lt_i32_e64 s0, v10, v27
	s_cbranch_scc0 .LBB299_12
; %bb.5:
	v_mov_b32_e32 v12, 0
	v_mov_b32_e32 v18, 0
	;; [unrolled: 1-line block ×8, first 2 shown]
	s_and_saveexec_b32 s1, s0
	s_cbranch_execz .LBB299_11
; %bb.6:
	v_lshlrev_b32_e32 v20, 5, v10
	v_mov_b32_e32 v12, 0
	v_mov_b32_e32 v18, 0
	;; [unrolled: 1-line block ×8, first 2 shown]
	v_or_b32_e32 v11, 6, v20
	v_mov_b32_e32 v17, 0
	v_mov_b32_e32 v24, v10
	s_add_u32 s3, s12, 16
	s_addc_u32 s9, s13, 0
	s_mov_b32 s8, 0
.LBB299_7:                              ; =>This Loop Header: Depth=1
                                        ;     Child Loop BB299_8 Depth 2
	v_ashrrev_i32_e32 v25, 31, v24
	s_mov_b64 s[6:7], 0
	v_lshlrev_b64 v[21:22], 2, v[24:25]
	v_add_co_u32 v21, vcc_lo, s10, v21
	v_add_co_ci_u32_e64 v22, null, s11, v22, vcc_lo
	global_load_dword v21, v[21:22], off
	s_waitcnt vmcnt(0)
	v_subrev_nc_u32_e32 v22, s2, v21
	v_mov_b32_e32 v21, v23
	v_lshlrev_b32_e32 v22, 4, v22
	v_lshlrev_b64 v[25:26], 4, v[20:21]
	v_lshlrev_b64 v[21:22], 4, v[22:23]
	v_add_co_u32 v25, vcc_lo, s3, v25
	v_add_co_ci_u32_e64 v26, null, s9, v26, vcc_lo
	v_add_co_u32 v28, vcc_lo, s14, v21
	v_add_co_ci_u32_e64 v29, null, s15, v22, vcc_lo
	v_mov_b32_e32 v21, v11
.LBB299_8:                              ;   Parent Loop BB299_7 Depth=1
                                        ; =>  This Inner Loop Header: Depth=2
	v_add_co_u32 v58, vcc_lo, v28, s6
	v_add_co_ci_u32_e64 v59, null, s7, v29, vcc_lo
	v_add_nc_u32_e32 v22, -4, v21
	s_clause 0x1
	global_load_dwordx4 v[30:33], v[25:26], off
	global_load_dwordx4 v[34:37], v[25:26], off offset:-16
	s_clause 0x1
	global_load_dwordx4 v[38:41], v[58:59], off
	global_load_dwordx4 v[42:45], v[58:59], off offset:16
	s_add_u32 s6, s6, 64
	s_addc_u32 s7, s7, 0
	s_cmpk_eq_i32 s6, 0x100
	v_lshlrev_b64 v[46:47], 4, v[22:23]
	v_add_nc_u32_e32 v22, -2, v21
	v_add_co_u32 v50, vcc_lo, s12, v46
	v_add_co_ci_u32_e64 v51, null, s13, v47, vcc_lo
	s_clause 0x1
	global_load_dwordx4 v[46:49], v[50:51], off
	global_load_dwordx4 v[50:53], v[50:51], off offset:16
	v_lshlrev_b64 v[60:61], 4, v[22:23]
	global_load_dwordx4 v[54:57], v[58:59], off offset:48
	v_mov_b32_e32 v22, v23
	v_add_co_u32 v66, vcc_lo, s12, v60
	v_add_co_ci_u32_e64 v67, null, s13, v61, vcc_lo
	global_load_dwordx4 v[58:61], v[58:59], off offset:32
	s_clause 0x1
	global_load_dwordx4 v[62:65], v[66:67], off
	global_load_dwordx4 v[66:69], v[66:67], off offset:16
	v_lshlrev_b64 v[70:71], 4, v[21:22]
	v_add_nc_u32_e32 v21, 8, v21
	v_add_co_u32 v74, vcc_lo, s12, v70
	v_add_co_ci_u32_e64 v75, null, s13, v71, vcc_lo
	s_clause 0x1
	global_load_dwordx4 v[70:73], v[74:75], off
	global_load_dwordx4 v[74:77], v[74:75], off offset:16
	v_add_co_u32 v25, vcc_lo, 0x80, v25
	v_add_co_ci_u32_e64 v26, null, 0, v26, vcc_lo
	s_waitcnt vmcnt(9)
	v_fma_f64 v[18:19], v[34:35], v[38:39], v[18:19]
	v_fma_f64 v[12:13], v[36:37], v[38:39], v[12:13]
	v_fma_f64 v[14:15], v[30:31], v[38:39], v[14:15]
	v_fma_f64 v[16:17], v[32:33], v[38:39], v[16:17]
	v_fma_f64 v[18:19], -v[36:37], v[40:41], v[18:19]
	v_fma_f64 v[12:13], v[34:35], v[40:41], v[12:13]
	v_fma_f64 v[14:15], -v[32:33], v[40:41], v[14:15]
	v_fma_f64 v[16:17], v[30:31], v[40:41], v[16:17]
	s_waitcnt vmcnt(7)
	v_fma_f64 v[18:19], v[46:47], v[42:43], v[18:19]
	v_fma_f64 v[12:13], v[48:49], v[42:43], v[12:13]
	s_waitcnt vmcnt(6)
	v_fma_f64 v[14:15], v[50:51], v[42:43], v[14:15]
	v_fma_f64 v[16:17], v[52:53], v[42:43], v[16:17]
	v_fma_f64 v[18:19], -v[48:49], v[44:45], v[18:19]
	v_fma_f64 v[12:13], v[46:47], v[44:45], v[12:13]
	v_fma_f64 v[14:15], -v[52:53], v[44:45], v[14:15]
	v_fma_f64 v[16:17], v[50:51], v[44:45], v[16:17]
	s_waitcnt vmcnt(3)
	v_fma_f64 v[18:19], v[62:63], v[58:59], v[18:19]
	v_fma_f64 v[12:13], v[64:65], v[58:59], v[12:13]
	s_waitcnt vmcnt(2)
	v_fma_f64 v[14:15], v[66:67], v[58:59], v[14:15]
	v_fma_f64 v[16:17], v[68:69], v[58:59], v[16:17]
	;; [unrolled: 10-line block ×3, first 2 shown]
	v_fma_f64 v[18:19], -v[72:73], v[56:57], v[18:19]
	v_fma_f64 v[12:13], v[70:71], v[56:57], v[12:13]
	v_fma_f64 v[14:15], -v[76:77], v[56:57], v[14:15]
	v_fma_f64 v[16:17], v[74:75], v[56:57], v[16:17]
	s_cbranch_scc0 .LBB299_8
; %bb.9:                                ;   in Loop: Header=BB299_7 Depth=1
	v_add_nc_u32_e32 v24, 8, v24
	v_add_nc_u32_e32 v11, 0x100, v11
	v_add_nc_u32_e32 v20, 0x100, v20
	v_cmp_ge_i32_e32 vcc_lo, v24, v27
	s_or_b32 s8, vcc_lo, s8
	s_andn2_b32 exec_lo, exec_lo, s8
	s_cbranch_execnz .LBB299_7
; %bb.10:
	s_or_b32 exec_lo, exec_lo, s8
.LBB299_11:
	s_or_b32 exec_lo, exec_lo, s1
	s_cbranch_execz .LBB299_13
	s_branch .LBB299_20
.LBB299_12:
                                        ; implicit-def: $vgpr12_vgpr13
                                        ; implicit-def: $vgpr18_vgpr19
                                        ; implicit-def: $vgpr14_vgpr15
                                        ; implicit-def: $vgpr16_vgpr17
.LBB299_13:
	v_mov_b32_e32 v12, 0
	v_mov_b32_e32 v18, 0
	;; [unrolled: 1-line block ×8, first 2 shown]
	s_and_saveexec_b32 s3, s0
	s_cbranch_execz .LBB299_19
; %bb.14:
	v_mov_b32_e32 v12, 0
	v_mov_b32_e32 v18, 0
	;; [unrolled: 1-line block ×4, first 2 shown]
	v_lshlrev_b32_e32 v20, 5, v10
	v_mov_b32_e32 v13, 0
	v_mov_b32_e32 v19, 0
	;; [unrolled: 1-line block ×5, first 2 shown]
	s_mov_b32 s6, 0
.LBB299_15:                             ; =>This Loop Header: Depth=1
                                        ;     Child Loop BB299_16 Depth 2
	v_ashrrev_i32_e32 v11, 31, v10
	v_lshlrev_b64 v[24:25], 4, v[20:21]
	s_mov_b64 s[0:1], 0
	v_lshlrev_b64 v[22:23], 2, v[10:11]
	v_add_co_u32 v22, vcc_lo, s10, v22
	v_add_co_ci_u32_e64 v23, null, s11, v23, vcc_lo
	global_load_dword v11, v[22:23], off
	v_mov_b32_e32 v23, v21
	s_waitcnt vmcnt(0)
	v_subrev_nc_u32_e32 v11, s2, v11
	v_lshlrev_b32_e32 v22, 4, v11
	v_add_co_u32 v11, vcc_lo, s12, v24
	v_lshlrev_b64 v[28:29], 4, v[22:23]
	v_add_co_ci_u32_e64 v22, null, s13, v25, vcc_lo
	v_add_co_u32 v23, vcc_lo, s14, v28
	v_add_co_ci_u32_e64 v24, null, s15, v29, vcc_lo
.LBB299_16:                             ;   Parent Loop BB299_15 Depth=1
                                        ; =>  This Inner Loop Header: Depth=2
	v_add_co_u32 v25, vcc_lo, v11, s0
	v_add_co_ci_u32_e64 v26, null, s1, v22, vcc_lo
	v_add_co_u32 v68, vcc_lo, v23, s0
	v_add_co_ci_u32_e64 v69, null, s1, v24, vcc_lo
	global_load_dwordx4 v[28:31], v[25:26], off
	global_load_dwordx4 v[32:35], v[68:69], off
	s_clause 0x1
	global_load_dwordx4 v[36:39], v[25:26], off offset:256
	global_load_dwordx4 v[40:43], v[25:26], off offset:16
	global_load_dwordx4 v[44:47], v[68:69], off offset:16
	s_clause 0x1
	global_load_dwordx4 v[48:51], v[25:26], off offset:272
	global_load_dwordx4 v[52:55], v[25:26], off offset:32
	global_load_dwordx4 v[56:59], v[68:69], off offset:32
	;; [unrolled: 4-line block ×3, first 2 shown]
	global_load_dwordx4 v[72:75], v[25:26], off offset:304
	s_add_u32 s0, s0, 64
	s_addc_u32 s1, s1, 0
	s_cmpk_eq_i32 s0, 0x100
	s_waitcnt vmcnt(10)
	v_fma_f64 v[18:19], v[28:29], v[32:33], v[18:19]
	v_fma_f64 v[12:13], v[30:31], v[32:33], v[12:13]
	s_waitcnt vmcnt(9)
	v_fma_f64 v[14:15], v[36:37], v[32:33], v[14:15]
	v_fma_f64 v[16:17], v[38:39], v[32:33], v[16:17]
	v_fma_f64 v[18:19], -v[30:31], v[34:35], v[18:19]
	v_fma_f64 v[12:13], v[28:29], v[34:35], v[12:13]
	v_fma_f64 v[14:15], -v[38:39], v[34:35], v[14:15]
	v_fma_f64 v[16:17], v[36:37], v[34:35], v[16:17]
	s_waitcnt vmcnt(7)
	v_fma_f64 v[18:19], v[40:41], v[44:45], v[18:19]
	v_fma_f64 v[12:13], v[42:43], v[44:45], v[12:13]
	s_waitcnt vmcnt(6)
	v_fma_f64 v[14:15], v[48:49], v[44:45], v[14:15]
	v_fma_f64 v[16:17], v[50:51], v[44:45], v[16:17]
	v_fma_f64 v[18:19], -v[42:43], v[46:47], v[18:19]
	v_fma_f64 v[12:13], v[40:41], v[46:47], v[12:13]
	v_fma_f64 v[14:15], -v[50:51], v[46:47], v[14:15]
	v_fma_f64 v[16:17], v[48:49], v[46:47], v[16:17]
	;; [unrolled: 10-line block ×4, first 2 shown]
	s_cbranch_scc0 .LBB299_16
; %bb.17:                               ;   in Loop: Header=BB299_15 Depth=1
	v_add_nc_u32_e32 v10, 8, v10
	v_add_nc_u32_e32 v20, 0x100, v20
	v_cmp_ge_i32_e32 vcc_lo, v10, v27
	s_or_b32 s6, vcc_lo, s6
	s_andn2_b32 exec_lo, exec_lo, s6
	s_cbranch_execnz .LBB299_15
; %bb.18:
	s_or_b32 exec_lo, exec_lo, s6
.LBB299_19:
	s_or_b32 exec_lo, exec_lo, s3
.LBB299_20:
	v_mbcnt_lo_u32_b32 v26, -1, 0
	v_xor_b32_e32 v10, 4, v26
	v_cmp_gt_i32_e32 vcc_lo, 32, v10
	v_cndmask_b32_e32 v10, v26, v10, vcc_lo
	v_lshlrev_b32_e32 v25, 2, v10
	ds_bpermute_b32 v10, v25, v18
	ds_bpermute_b32 v11, v25, v19
	;; [unrolled: 1-line block ×8, first 2 shown]
	s_waitcnt lgkmcnt(6)
	v_add_f64 v[10:11], v[18:19], v[10:11]
	s_waitcnt lgkmcnt(4)
	v_add_f64 v[12:13], v[12:13], v[20:21]
	;; [unrolled: 2-line block ×4, first 2 shown]
	v_xor_b32_e32 v16, 2, v26
	v_cmp_gt_i32_e32 vcc_lo, 32, v16
	v_cndmask_b32_e32 v16, v26, v16, vcc_lo
	v_lshlrev_b32_e32 v25, 2, v16
	ds_bpermute_b32 v16, v25, v10
	ds_bpermute_b32 v17, v25, v11
	ds_bpermute_b32 v20, v25, v12
	ds_bpermute_b32 v21, v25, v13
	ds_bpermute_b32 v22, v25, v14
	ds_bpermute_b32 v23, v25, v15
	ds_bpermute_b32 v24, v25, v18
	ds_bpermute_b32 v25, v25, v19
	s_waitcnt lgkmcnt(6)
	v_add_f64 v[10:11], v[10:11], v[16:17]
	s_waitcnt lgkmcnt(4)
	v_add_f64 v[16:17], v[12:13], v[20:21]
	s_waitcnt lgkmcnt(2)
	v_add_f64 v[12:13], v[14:15], v[22:23]
	s_waitcnt lgkmcnt(0)
	v_add_f64 v[14:15], v[18:19], v[24:25]
	v_xor_b32_e32 v18, 1, v26
	v_cmp_gt_i32_e32 vcc_lo, 32, v18
	v_cndmask_b32_e32 v18, v26, v18, vcc_lo
	v_cmp_eq_u32_e32 vcc_lo, 7, v0
	v_lshlrev_b32_e32 v21, 2, v18
	ds_bpermute_b32 v24, v21, v10
	ds_bpermute_b32 v25, v21, v11
	;; [unrolled: 1-line block ×8, first 2 shown]
	s_and_b32 exec_lo, exec_lo, vcc_lo
	s_cbranch_execz .LBB299_25
; %bb.21:
	v_cmp_eq_f64_e32 vcc_lo, 0, v[5:6]
	v_cmp_eq_f64_e64 s0, 0, v[7:8]
	s_waitcnt lgkmcnt(6)
	v_add_f64 v[10:11], v[10:11], v[24:25]
	s_waitcnt lgkmcnt(4)
	v_add_f64 v[16:17], v[16:17], v[22:23]
	;; [unrolled: 2-line block ×4, first 2 shown]
	s_load_dwordx2 s[2:3], s[4:5], 0x48
	s_and_b32 s0, vcc_lo, s0
	s_and_saveexec_b32 s1, s0
	s_xor_b32 s0, exec_lo, s1
	s_cbranch_execz .LBB299_23
; %bb.22:
	v_mul_f64 v[5:6], v[16:17], -v[3:4]
	v_mul_f64 v[7:8], v[1:2], v[16:17]
	v_mul_f64 v[16:17], v[14:15], -v[3:4]
	v_mul_f64 v[14:15], v[1:2], v[14:15]
	v_lshlrev_b32_e32 v9, 1, v9
	v_fma_f64 v[5:6], v[1:2], v[10:11], v[5:6]
	v_fma_f64 v[7:8], v[3:4], v[10:11], v[7:8]
	;; [unrolled: 1-line block ×4, first 2 shown]
	v_ashrrev_i32_e32 v10, 31, v9
                                        ; implicit-def: $vgpr16_vgpr17
                                        ; implicit-def: $vgpr12_vgpr13
                                        ; implicit-def: $vgpr14_vgpr15
	v_lshlrev_b64 v[9:10], 4, v[9:10]
	s_waitcnt lgkmcnt(0)
	v_add_co_u32 v9, vcc_lo, s2, v9
	v_add_co_ci_u32_e64 v10, null, s3, v10, vcc_lo
	global_store_dwordx4 v[9:10], v[5:8], off
	global_store_dwordx4 v[9:10], v[0:3], off offset:16
                                        ; implicit-def: $vgpr9
                                        ; implicit-def: $vgpr10_vgpr11
                                        ; implicit-def: $vgpr7_vgpr8
                                        ; implicit-def: $vgpr3_vgpr4
.LBB299_23:
	s_andn2_saveexec_b32 s0, s0
	s_cbranch_execz .LBB299_25
; %bb.24:
	v_lshlrev_b32_e32 v18, 1, v9
	v_mul_f64 v[28:29], v[16:17], -v[3:4]
	v_mul_f64 v[16:17], v[1:2], v[16:17]
	v_mul_f64 v[30:31], v[14:15], -v[3:4]
	v_mul_f64 v[14:15], v[1:2], v[14:15]
	v_ashrrev_i32_e32 v19, 31, v18
	v_lshlrev_b64 v[18:19], 4, v[18:19]
	s_waitcnt lgkmcnt(0)
	v_add_co_u32 v26, vcc_lo, s2, v18
	v_add_co_ci_u32_e64 v27, null, s3, v19, vcc_lo
	s_clause 0x1
	global_load_dwordx4 v[18:21], v[26:27], off
	global_load_dwordx4 v[22:25], v[26:27], off offset:16
	v_fma_f64 v[28:29], v[1:2], v[10:11], v[28:29]
	v_fma_f64 v[9:10], v[3:4], v[10:11], v[16:17]
	;; [unrolled: 1-line block ×4, first 2 shown]
	s_waitcnt vmcnt(1)
	v_fma_f64 v[11:12], v[5:6], v[18:19], v[28:29]
	v_fma_f64 v[9:10], v[7:8], v[18:19], v[9:10]
	s_waitcnt vmcnt(0)
	v_fma_f64 v[13:14], v[5:6], v[22:23], v[0:1]
	v_fma_f64 v[15:16], v[7:8], v[22:23], v[2:3]
	v_fma_f64 v[0:1], -v[7:8], v[20:21], v[11:12]
	v_fma_f64 v[2:3], v[5:6], v[20:21], v[9:10]
	v_fma_f64 v[7:8], -v[7:8], v[24:25], v[13:14]
	v_fma_f64 v[9:10], v[5:6], v[24:25], v[15:16]
	global_store_dwordx4 v[26:27], v[0:3], off
	global_store_dwordx4 v[26:27], v[7:10], off offset:16
.LBB299_25:
	s_endpgm
	.section	.rodata,"a",@progbits
	.p2align	6, 0x0
	.amdhsa_kernel _ZN9rocsparseL19gebsrmvn_2xn_kernelILj128ELj16ELj8E21rocsparse_complex_numIdEEEvi20rocsparse_direction_NS_24const_host_device_scalarIT2_EEPKiS8_PKS5_SA_S6_PS5_21rocsparse_index_base_b
		.amdhsa_group_segment_fixed_size 0
		.amdhsa_private_segment_fixed_size 0
		.amdhsa_kernarg_size 88
		.amdhsa_user_sgpr_count 6
		.amdhsa_user_sgpr_private_segment_buffer 1
		.amdhsa_user_sgpr_dispatch_ptr 0
		.amdhsa_user_sgpr_queue_ptr 0
		.amdhsa_user_sgpr_kernarg_segment_ptr 1
		.amdhsa_user_sgpr_dispatch_id 0
		.amdhsa_user_sgpr_flat_scratch_init 0
		.amdhsa_user_sgpr_private_segment_size 0
		.amdhsa_wavefront_size32 1
		.amdhsa_uses_dynamic_stack 0
		.amdhsa_system_sgpr_private_segment_wavefront_offset 0
		.amdhsa_system_sgpr_workgroup_id_x 1
		.amdhsa_system_sgpr_workgroup_id_y 0
		.amdhsa_system_sgpr_workgroup_id_z 0
		.amdhsa_system_sgpr_workgroup_info 0
		.amdhsa_system_vgpr_workitem_id 0
		.amdhsa_next_free_vgpr 78
		.amdhsa_next_free_sgpr 16
		.amdhsa_reserve_vcc 1
		.amdhsa_reserve_flat_scratch 0
		.amdhsa_float_round_mode_32 0
		.amdhsa_float_round_mode_16_64 0
		.amdhsa_float_denorm_mode_32 3
		.amdhsa_float_denorm_mode_16_64 3
		.amdhsa_dx10_clamp 1
		.amdhsa_ieee_mode 1
		.amdhsa_fp16_overflow 0
		.amdhsa_workgroup_processor_mode 1
		.amdhsa_memory_ordered 1
		.amdhsa_forward_progress 1
		.amdhsa_shared_vgpr_count 0
		.amdhsa_exception_fp_ieee_invalid_op 0
		.amdhsa_exception_fp_denorm_src 0
		.amdhsa_exception_fp_ieee_div_zero 0
		.amdhsa_exception_fp_ieee_overflow 0
		.amdhsa_exception_fp_ieee_underflow 0
		.amdhsa_exception_fp_ieee_inexact 0
		.amdhsa_exception_int_div_zero 0
	.end_amdhsa_kernel
	.section	.text._ZN9rocsparseL19gebsrmvn_2xn_kernelILj128ELj16ELj8E21rocsparse_complex_numIdEEEvi20rocsparse_direction_NS_24const_host_device_scalarIT2_EEPKiS8_PKS5_SA_S6_PS5_21rocsparse_index_base_b,"axG",@progbits,_ZN9rocsparseL19gebsrmvn_2xn_kernelILj128ELj16ELj8E21rocsparse_complex_numIdEEEvi20rocsparse_direction_NS_24const_host_device_scalarIT2_EEPKiS8_PKS5_SA_S6_PS5_21rocsparse_index_base_b,comdat
.Lfunc_end299:
	.size	_ZN9rocsparseL19gebsrmvn_2xn_kernelILj128ELj16ELj8E21rocsparse_complex_numIdEEEvi20rocsparse_direction_NS_24const_host_device_scalarIT2_EEPKiS8_PKS5_SA_S6_PS5_21rocsparse_index_base_b, .Lfunc_end299-_ZN9rocsparseL19gebsrmvn_2xn_kernelILj128ELj16ELj8E21rocsparse_complex_numIdEEEvi20rocsparse_direction_NS_24const_host_device_scalarIT2_EEPKiS8_PKS5_SA_S6_PS5_21rocsparse_index_base_b
                                        ; -- End function
	.set _ZN9rocsparseL19gebsrmvn_2xn_kernelILj128ELj16ELj8E21rocsparse_complex_numIdEEEvi20rocsparse_direction_NS_24const_host_device_scalarIT2_EEPKiS8_PKS5_SA_S6_PS5_21rocsparse_index_base_b.num_vgpr, 78
	.set _ZN9rocsparseL19gebsrmvn_2xn_kernelILj128ELj16ELj8E21rocsparse_complex_numIdEEEvi20rocsparse_direction_NS_24const_host_device_scalarIT2_EEPKiS8_PKS5_SA_S6_PS5_21rocsparse_index_base_b.num_agpr, 0
	.set _ZN9rocsparseL19gebsrmvn_2xn_kernelILj128ELj16ELj8E21rocsparse_complex_numIdEEEvi20rocsparse_direction_NS_24const_host_device_scalarIT2_EEPKiS8_PKS5_SA_S6_PS5_21rocsparse_index_base_b.numbered_sgpr, 16
	.set _ZN9rocsparseL19gebsrmvn_2xn_kernelILj128ELj16ELj8E21rocsparse_complex_numIdEEEvi20rocsparse_direction_NS_24const_host_device_scalarIT2_EEPKiS8_PKS5_SA_S6_PS5_21rocsparse_index_base_b.num_named_barrier, 0
	.set _ZN9rocsparseL19gebsrmvn_2xn_kernelILj128ELj16ELj8E21rocsparse_complex_numIdEEEvi20rocsparse_direction_NS_24const_host_device_scalarIT2_EEPKiS8_PKS5_SA_S6_PS5_21rocsparse_index_base_b.private_seg_size, 0
	.set _ZN9rocsparseL19gebsrmvn_2xn_kernelILj128ELj16ELj8E21rocsparse_complex_numIdEEEvi20rocsparse_direction_NS_24const_host_device_scalarIT2_EEPKiS8_PKS5_SA_S6_PS5_21rocsparse_index_base_b.uses_vcc, 1
	.set _ZN9rocsparseL19gebsrmvn_2xn_kernelILj128ELj16ELj8E21rocsparse_complex_numIdEEEvi20rocsparse_direction_NS_24const_host_device_scalarIT2_EEPKiS8_PKS5_SA_S6_PS5_21rocsparse_index_base_b.uses_flat_scratch, 0
	.set _ZN9rocsparseL19gebsrmvn_2xn_kernelILj128ELj16ELj8E21rocsparse_complex_numIdEEEvi20rocsparse_direction_NS_24const_host_device_scalarIT2_EEPKiS8_PKS5_SA_S6_PS5_21rocsparse_index_base_b.has_dyn_sized_stack, 0
	.set _ZN9rocsparseL19gebsrmvn_2xn_kernelILj128ELj16ELj8E21rocsparse_complex_numIdEEEvi20rocsparse_direction_NS_24const_host_device_scalarIT2_EEPKiS8_PKS5_SA_S6_PS5_21rocsparse_index_base_b.has_recursion, 0
	.set _ZN9rocsparseL19gebsrmvn_2xn_kernelILj128ELj16ELj8E21rocsparse_complex_numIdEEEvi20rocsparse_direction_NS_24const_host_device_scalarIT2_EEPKiS8_PKS5_SA_S6_PS5_21rocsparse_index_base_b.has_indirect_call, 0
	.section	.AMDGPU.csdata,"",@progbits
; Kernel info:
; codeLenInByte = 2532
; TotalNumSgprs: 18
; NumVgprs: 78
; ScratchSize: 0
; MemoryBound: 1
; FloatMode: 240
; IeeeMode: 1
; LDSByteSize: 0 bytes/workgroup (compile time only)
; SGPRBlocks: 0
; VGPRBlocks: 9
; NumSGPRsForWavesPerEU: 18
; NumVGPRsForWavesPerEU: 78
; Occupancy: 12
; WaveLimiterHint : 1
; COMPUTE_PGM_RSRC2:SCRATCH_EN: 0
; COMPUTE_PGM_RSRC2:USER_SGPR: 6
; COMPUTE_PGM_RSRC2:TRAP_HANDLER: 0
; COMPUTE_PGM_RSRC2:TGID_X_EN: 1
; COMPUTE_PGM_RSRC2:TGID_Y_EN: 0
; COMPUTE_PGM_RSRC2:TGID_Z_EN: 0
; COMPUTE_PGM_RSRC2:TIDIG_COMP_CNT: 0
	.section	.text._ZN9rocsparseL19gebsrmvn_2xn_kernelILj128ELj16ELj16E21rocsparse_complex_numIdEEEvi20rocsparse_direction_NS_24const_host_device_scalarIT2_EEPKiS8_PKS5_SA_S6_PS5_21rocsparse_index_base_b,"axG",@progbits,_ZN9rocsparseL19gebsrmvn_2xn_kernelILj128ELj16ELj16E21rocsparse_complex_numIdEEEvi20rocsparse_direction_NS_24const_host_device_scalarIT2_EEPKiS8_PKS5_SA_S6_PS5_21rocsparse_index_base_b,comdat
	.globl	_ZN9rocsparseL19gebsrmvn_2xn_kernelILj128ELj16ELj16E21rocsparse_complex_numIdEEEvi20rocsparse_direction_NS_24const_host_device_scalarIT2_EEPKiS8_PKS5_SA_S6_PS5_21rocsparse_index_base_b ; -- Begin function _ZN9rocsparseL19gebsrmvn_2xn_kernelILj128ELj16ELj16E21rocsparse_complex_numIdEEEvi20rocsparse_direction_NS_24const_host_device_scalarIT2_EEPKiS8_PKS5_SA_S6_PS5_21rocsparse_index_base_b
	.p2align	8
	.type	_ZN9rocsparseL19gebsrmvn_2xn_kernelILj128ELj16ELj16E21rocsparse_complex_numIdEEEvi20rocsparse_direction_NS_24const_host_device_scalarIT2_EEPKiS8_PKS5_SA_S6_PS5_21rocsparse_index_base_b,@function
_ZN9rocsparseL19gebsrmvn_2xn_kernelILj128ELj16ELj16E21rocsparse_complex_numIdEEEvi20rocsparse_direction_NS_24const_host_device_scalarIT2_EEPKiS8_PKS5_SA_S6_PS5_21rocsparse_index_base_b: ; @_ZN9rocsparseL19gebsrmvn_2xn_kernelILj128ELj16ELj16E21rocsparse_complex_numIdEEEvi20rocsparse_direction_NS_24const_host_device_scalarIT2_EEPKiS8_PKS5_SA_S6_PS5_21rocsparse_index_base_b
; %bb.0:
	s_clause 0x1
	s_load_dwordx2 s[2:3], s[4:5], 0x50
	s_load_dwordx2 s[0:1], s[4:5], 0x8
	s_add_u32 s7, s4, 8
	s_addc_u32 s10, s5, 0
	s_add_u32 s11, s4, 56
	s_addc_u32 s12, s5, 0
	s_load_dwordx2 s[8:9], s[4:5], 0x38
	s_waitcnt lgkmcnt(0)
	s_bitcmp1_b32 s3, 0
	s_cselect_b32 s0, s7, s0
	s_cselect_b32 s1, s10, s1
	v_mov_b32_e32 v1, s0
	v_mov_b32_e32 v2, s1
	s_cselect_b32 s0, s11, s8
	s_cselect_b32 s1, s12, s9
	v_mov_b32_e32 v5, s0
	v_mov_b32_e32 v6, s1
	flat_load_dwordx4 v[1:4], v[1:2]
	flat_load_dwordx4 v[5:8], v[5:6]
	s_waitcnt vmcnt(1) lgkmcnt(1)
	v_cmp_eq_f64_e32 vcc_lo, 0, v[1:2]
	v_cmp_eq_f64_e64 s0, 0, v[3:4]
	s_and_b32 s3, vcc_lo, s0
	s_mov_b32 s0, -1
	s_and_saveexec_b32 s1, s3
	s_cbranch_execz .LBB300_2
; %bb.1:
	s_waitcnt vmcnt(0) lgkmcnt(0)
	v_cmp_neq_f64_e32 vcc_lo, 1.0, v[5:6]
	v_cmp_neq_f64_e64 s0, 0, v[7:8]
	s_or_b32 s0, vcc_lo, s0
	s_orn2_b32 s0, s0, exec_lo
.LBB300_2:
	s_or_b32 exec_lo, exec_lo, s1
	s_and_saveexec_b32 s1, s0
	s_cbranch_execz .LBB300_25
; %bb.3:
	s_load_dwordx2 s[0:1], s[4:5], 0x0
	v_lshrrev_b32_e32 v9, 4, v0
	v_lshl_or_b32 v9, s6, 3, v9
	s_waitcnt lgkmcnt(0)
	v_cmp_gt_i32_e32 vcc_lo, s0, v9
	s_and_b32 exec_lo, exec_lo, vcc_lo
	s_cbranch_execz .LBB300_25
; %bb.4:
	s_load_dwordx8 s[8:15], s[4:5], 0x18
	v_ashrrev_i32_e32 v10, 31, v9
	v_and_b32_e32 v0, 15, v0
	s_cmp_lg_u32 s1, 0
	v_lshlrev_b64 v[10:11], 2, v[9:10]
	s_waitcnt lgkmcnt(0)
	v_add_co_u32 v10, vcc_lo, s8, v10
	v_add_co_ci_u32_e64 v11, null, s9, v11, vcc_lo
	global_load_dwordx2 v[10:11], v[10:11], off
	s_waitcnt vmcnt(0)
	v_subrev_nc_u32_e32 v10, s2, v10
	v_subrev_nc_u32_e32 v27, s2, v11
	v_add_nc_u32_e32 v10, v10, v0
	v_cmp_lt_i32_e64 s0, v10, v27
	s_cbranch_scc0 .LBB300_12
; %bb.5:
	v_mov_b32_e32 v12, 0
	v_mov_b32_e32 v18, 0
	;; [unrolled: 1-line block ×8, first 2 shown]
	s_and_saveexec_b32 s1, s0
	s_cbranch_execz .LBB300_11
; %bb.6:
	v_lshlrev_b32_e32 v20, 5, v10
	v_mov_b32_e32 v12, 0
	v_mov_b32_e32 v18, 0
	;; [unrolled: 1-line block ×8, first 2 shown]
	v_or_b32_e32 v11, 6, v20
	v_mov_b32_e32 v17, 0
	v_mov_b32_e32 v24, v10
	s_add_u32 s3, s12, 16
	s_addc_u32 s9, s13, 0
	s_mov_b32 s8, 0
.LBB300_7:                              ; =>This Loop Header: Depth=1
                                        ;     Child Loop BB300_8 Depth 2
	v_ashrrev_i32_e32 v25, 31, v24
	s_mov_b64 s[6:7], 0
	v_lshlrev_b64 v[21:22], 2, v[24:25]
	v_add_co_u32 v21, vcc_lo, s10, v21
	v_add_co_ci_u32_e64 v22, null, s11, v22, vcc_lo
	global_load_dword v21, v[21:22], off
	s_waitcnt vmcnt(0)
	v_subrev_nc_u32_e32 v22, s2, v21
	v_mov_b32_e32 v21, v23
	v_lshlrev_b32_e32 v22, 4, v22
	v_lshlrev_b64 v[25:26], 4, v[20:21]
	v_lshlrev_b64 v[21:22], 4, v[22:23]
	v_add_co_u32 v25, vcc_lo, s3, v25
	v_add_co_ci_u32_e64 v26, null, s9, v26, vcc_lo
	v_add_co_u32 v28, vcc_lo, s14, v21
	v_add_co_ci_u32_e64 v29, null, s15, v22, vcc_lo
	v_mov_b32_e32 v21, v11
.LBB300_8:                              ;   Parent Loop BB300_7 Depth=1
                                        ; =>  This Inner Loop Header: Depth=2
	v_add_co_u32 v58, vcc_lo, v28, s6
	v_add_co_ci_u32_e64 v59, null, s7, v29, vcc_lo
	v_add_nc_u32_e32 v22, -4, v21
	s_clause 0x1
	global_load_dwordx4 v[30:33], v[25:26], off
	global_load_dwordx4 v[34:37], v[25:26], off offset:-16
	s_clause 0x1
	global_load_dwordx4 v[38:41], v[58:59], off
	global_load_dwordx4 v[42:45], v[58:59], off offset:16
	s_add_u32 s6, s6, 64
	s_addc_u32 s7, s7, 0
	s_cmpk_eq_i32 s6, 0x100
	v_lshlrev_b64 v[46:47], 4, v[22:23]
	v_add_nc_u32_e32 v22, -2, v21
	v_add_co_u32 v50, vcc_lo, s12, v46
	v_add_co_ci_u32_e64 v51, null, s13, v47, vcc_lo
	s_clause 0x1
	global_load_dwordx4 v[46:49], v[50:51], off
	global_load_dwordx4 v[50:53], v[50:51], off offset:16
	v_lshlrev_b64 v[60:61], 4, v[22:23]
	global_load_dwordx4 v[54:57], v[58:59], off offset:48
	v_mov_b32_e32 v22, v23
	v_add_co_u32 v66, vcc_lo, s12, v60
	v_add_co_ci_u32_e64 v67, null, s13, v61, vcc_lo
	global_load_dwordx4 v[58:61], v[58:59], off offset:32
	s_clause 0x1
	global_load_dwordx4 v[62:65], v[66:67], off
	global_load_dwordx4 v[66:69], v[66:67], off offset:16
	v_lshlrev_b64 v[70:71], 4, v[21:22]
	v_add_nc_u32_e32 v21, 8, v21
	v_add_co_u32 v74, vcc_lo, s12, v70
	v_add_co_ci_u32_e64 v75, null, s13, v71, vcc_lo
	s_clause 0x1
	global_load_dwordx4 v[70:73], v[74:75], off
	global_load_dwordx4 v[74:77], v[74:75], off offset:16
	v_add_co_u32 v25, vcc_lo, 0x80, v25
	v_add_co_ci_u32_e64 v26, null, 0, v26, vcc_lo
	s_waitcnt vmcnt(9)
	v_fma_f64 v[18:19], v[34:35], v[38:39], v[18:19]
	v_fma_f64 v[12:13], v[36:37], v[38:39], v[12:13]
	v_fma_f64 v[14:15], v[30:31], v[38:39], v[14:15]
	v_fma_f64 v[16:17], v[32:33], v[38:39], v[16:17]
	v_fma_f64 v[18:19], -v[36:37], v[40:41], v[18:19]
	v_fma_f64 v[12:13], v[34:35], v[40:41], v[12:13]
	v_fma_f64 v[14:15], -v[32:33], v[40:41], v[14:15]
	v_fma_f64 v[16:17], v[30:31], v[40:41], v[16:17]
	s_waitcnt vmcnt(7)
	v_fma_f64 v[18:19], v[46:47], v[42:43], v[18:19]
	v_fma_f64 v[12:13], v[48:49], v[42:43], v[12:13]
	s_waitcnt vmcnt(6)
	v_fma_f64 v[14:15], v[50:51], v[42:43], v[14:15]
	v_fma_f64 v[16:17], v[52:53], v[42:43], v[16:17]
	v_fma_f64 v[18:19], -v[48:49], v[44:45], v[18:19]
	v_fma_f64 v[12:13], v[46:47], v[44:45], v[12:13]
	v_fma_f64 v[14:15], -v[52:53], v[44:45], v[14:15]
	v_fma_f64 v[16:17], v[50:51], v[44:45], v[16:17]
	s_waitcnt vmcnt(3)
	v_fma_f64 v[18:19], v[62:63], v[58:59], v[18:19]
	v_fma_f64 v[12:13], v[64:65], v[58:59], v[12:13]
	s_waitcnt vmcnt(2)
	v_fma_f64 v[14:15], v[66:67], v[58:59], v[14:15]
	v_fma_f64 v[16:17], v[68:69], v[58:59], v[16:17]
	;; [unrolled: 10-line block ×3, first 2 shown]
	v_fma_f64 v[18:19], -v[72:73], v[56:57], v[18:19]
	v_fma_f64 v[12:13], v[70:71], v[56:57], v[12:13]
	v_fma_f64 v[14:15], -v[76:77], v[56:57], v[14:15]
	v_fma_f64 v[16:17], v[74:75], v[56:57], v[16:17]
	s_cbranch_scc0 .LBB300_8
; %bb.9:                                ;   in Loop: Header=BB300_7 Depth=1
	v_add_nc_u32_e32 v24, 16, v24
	v_add_nc_u32_e32 v11, 0x200, v11
	;; [unrolled: 1-line block ×3, first 2 shown]
	v_cmp_ge_i32_e32 vcc_lo, v24, v27
	s_or_b32 s8, vcc_lo, s8
	s_andn2_b32 exec_lo, exec_lo, s8
	s_cbranch_execnz .LBB300_7
; %bb.10:
	s_or_b32 exec_lo, exec_lo, s8
.LBB300_11:
	s_or_b32 exec_lo, exec_lo, s1
	s_cbranch_execz .LBB300_13
	s_branch .LBB300_20
.LBB300_12:
                                        ; implicit-def: $vgpr12_vgpr13
                                        ; implicit-def: $vgpr18_vgpr19
                                        ; implicit-def: $vgpr14_vgpr15
                                        ; implicit-def: $vgpr16_vgpr17
.LBB300_13:
	v_mov_b32_e32 v12, 0
	v_mov_b32_e32 v18, 0
	;; [unrolled: 1-line block ×8, first 2 shown]
	s_and_saveexec_b32 s3, s0
	s_cbranch_execz .LBB300_19
; %bb.14:
	v_mov_b32_e32 v12, 0
	v_mov_b32_e32 v18, 0
	;; [unrolled: 1-line block ×4, first 2 shown]
	v_lshlrev_b32_e32 v20, 5, v10
	v_mov_b32_e32 v13, 0
	v_mov_b32_e32 v19, 0
	v_mov_b32_e32 v15, 0
	v_mov_b32_e32 v17, 0
	v_mov_b32_e32 v21, 0
	s_mov_b32 s6, 0
.LBB300_15:                             ; =>This Loop Header: Depth=1
                                        ;     Child Loop BB300_16 Depth 2
	v_ashrrev_i32_e32 v11, 31, v10
	v_lshlrev_b64 v[24:25], 4, v[20:21]
	s_mov_b64 s[0:1], 0
	v_lshlrev_b64 v[22:23], 2, v[10:11]
	v_add_co_u32 v22, vcc_lo, s10, v22
	v_add_co_ci_u32_e64 v23, null, s11, v23, vcc_lo
	global_load_dword v11, v[22:23], off
	v_mov_b32_e32 v23, v21
	s_waitcnt vmcnt(0)
	v_subrev_nc_u32_e32 v11, s2, v11
	v_lshlrev_b32_e32 v22, 4, v11
	v_add_co_u32 v11, vcc_lo, s12, v24
	v_lshlrev_b64 v[28:29], 4, v[22:23]
	v_add_co_ci_u32_e64 v22, null, s13, v25, vcc_lo
	v_add_co_u32 v23, vcc_lo, s14, v28
	v_add_co_ci_u32_e64 v24, null, s15, v29, vcc_lo
.LBB300_16:                             ;   Parent Loop BB300_15 Depth=1
                                        ; =>  This Inner Loop Header: Depth=2
	v_add_co_u32 v25, vcc_lo, v11, s0
	v_add_co_ci_u32_e64 v26, null, s1, v22, vcc_lo
	v_add_co_u32 v68, vcc_lo, v23, s0
	v_add_co_ci_u32_e64 v69, null, s1, v24, vcc_lo
	global_load_dwordx4 v[28:31], v[25:26], off
	global_load_dwordx4 v[32:35], v[68:69], off
	s_clause 0x1
	global_load_dwordx4 v[36:39], v[25:26], off offset:256
	global_load_dwordx4 v[40:43], v[25:26], off offset:16
	global_load_dwordx4 v[44:47], v[68:69], off offset:16
	s_clause 0x1
	global_load_dwordx4 v[48:51], v[25:26], off offset:272
	global_load_dwordx4 v[52:55], v[25:26], off offset:32
	global_load_dwordx4 v[56:59], v[68:69], off offset:32
	;; [unrolled: 4-line block ×3, first 2 shown]
	global_load_dwordx4 v[72:75], v[25:26], off offset:304
	s_add_u32 s0, s0, 64
	s_addc_u32 s1, s1, 0
	s_cmpk_eq_i32 s0, 0x100
	s_waitcnt vmcnt(10)
	v_fma_f64 v[18:19], v[28:29], v[32:33], v[18:19]
	v_fma_f64 v[12:13], v[30:31], v[32:33], v[12:13]
	s_waitcnt vmcnt(9)
	v_fma_f64 v[14:15], v[36:37], v[32:33], v[14:15]
	v_fma_f64 v[16:17], v[38:39], v[32:33], v[16:17]
	v_fma_f64 v[18:19], -v[30:31], v[34:35], v[18:19]
	v_fma_f64 v[12:13], v[28:29], v[34:35], v[12:13]
	v_fma_f64 v[14:15], -v[38:39], v[34:35], v[14:15]
	v_fma_f64 v[16:17], v[36:37], v[34:35], v[16:17]
	s_waitcnt vmcnt(7)
	v_fma_f64 v[18:19], v[40:41], v[44:45], v[18:19]
	v_fma_f64 v[12:13], v[42:43], v[44:45], v[12:13]
	s_waitcnt vmcnt(6)
	v_fma_f64 v[14:15], v[48:49], v[44:45], v[14:15]
	v_fma_f64 v[16:17], v[50:51], v[44:45], v[16:17]
	v_fma_f64 v[18:19], -v[42:43], v[46:47], v[18:19]
	v_fma_f64 v[12:13], v[40:41], v[46:47], v[12:13]
	v_fma_f64 v[14:15], -v[50:51], v[46:47], v[14:15]
	v_fma_f64 v[16:17], v[48:49], v[46:47], v[16:17]
	;; [unrolled: 10-line block ×4, first 2 shown]
	s_cbranch_scc0 .LBB300_16
; %bb.17:                               ;   in Loop: Header=BB300_15 Depth=1
	v_add_nc_u32_e32 v10, 16, v10
	v_add_nc_u32_e32 v20, 0x200, v20
	v_cmp_ge_i32_e32 vcc_lo, v10, v27
	s_or_b32 s6, vcc_lo, s6
	s_andn2_b32 exec_lo, exec_lo, s6
	s_cbranch_execnz .LBB300_15
; %bb.18:
	s_or_b32 exec_lo, exec_lo, s6
.LBB300_19:
	s_or_b32 exec_lo, exec_lo, s3
.LBB300_20:
	v_mbcnt_lo_u32_b32 v26, -1, 0
	v_xor_b32_e32 v10, 8, v26
	v_cmp_gt_i32_e32 vcc_lo, 32, v10
	v_cndmask_b32_e32 v10, v26, v10, vcc_lo
	v_lshlrev_b32_e32 v25, 2, v10
	ds_bpermute_b32 v10, v25, v18
	ds_bpermute_b32 v11, v25, v19
	ds_bpermute_b32 v20, v25, v12
	ds_bpermute_b32 v21, v25, v13
	ds_bpermute_b32 v22, v25, v14
	ds_bpermute_b32 v23, v25, v15
	ds_bpermute_b32 v24, v25, v16
	ds_bpermute_b32 v25, v25, v17
	s_waitcnt lgkmcnt(6)
	v_add_f64 v[10:11], v[18:19], v[10:11]
	v_xor_b32_e32 v18, 4, v26
	s_waitcnt lgkmcnt(4)
	v_add_f64 v[12:13], v[12:13], v[20:21]
	s_waitcnt lgkmcnt(2)
	v_add_f64 v[14:15], v[14:15], v[22:23]
	;; [unrolled: 2-line block ×3, first 2 shown]
	v_cmp_gt_i32_e32 vcc_lo, 32, v18
	v_cndmask_b32_e32 v18, v26, v18, vcc_lo
	v_lshlrev_b32_e32 v25, 2, v18
	ds_bpermute_b32 v18, v25, v10
	ds_bpermute_b32 v19, v25, v11
	;; [unrolled: 1-line block ×8, first 2 shown]
	s_waitcnt lgkmcnt(6)
	v_add_f64 v[10:11], v[10:11], v[18:19]
	s_waitcnt lgkmcnt(4)
	v_add_f64 v[12:13], v[12:13], v[20:21]
	;; [unrolled: 2-line block ×4, first 2 shown]
	v_xor_b32_e32 v16, 2, v26
	v_cmp_gt_i32_e32 vcc_lo, 32, v16
	v_cndmask_b32_e32 v16, v26, v16, vcc_lo
	v_lshlrev_b32_e32 v25, 2, v16
	ds_bpermute_b32 v16, v25, v10
	ds_bpermute_b32 v17, v25, v11
	;; [unrolled: 1-line block ×8, first 2 shown]
	s_waitcnt lgkmcnt(6)
	v_add_f64 v[10:11], v[10:11], v[16:17]
	s_waitcnt lgkmcnt(4)
	v_add_f64 v[16:17], v[12:13], v[20:21]
	;; [unrolled: 2-line block ×4, first 2 shown]
	v_xor_b32_e32 v18, 1, v26
	v_cmp_gt_i32_e32 vcc_lo, 32, v18
	v_cndmask_b32_e32 v18, v26, v18, vcc_lo
	v_cmp_eq_u32_e32 vcc_lo, 15, v0
	v_lshlrev_b32_e32 v21, 2, v18
	ds_bpermute_b32 v24, v21, v10
	ds_bpermute_b32 v25, v21, v11
	ds_bpermute_b32 v22, v21, v16
	ds_bpermute_b32 v23, v21, v17
	ds_bpermute_b32 v18, v21, v12
	ds_bpermute_b32 v19, v21, v13
	ds_bpermute_b32 v20, v21, v14
	ds_bpermute_b32 v21, v21, v15
	s_and_b32 exec_lo, exec_lo, vcc_lo
	s_cbranch_execz .LBB300_25
; %bb.21:
	v_cmp_eq_f64_e32 vcc_lo, 0, v[5:6]
	v_cmp_eq_f64_e64 s0, 0, v[7:8]
	s_waitcnt lgkmcnt(6)
	v_add_f64 v[10:11], v[10:11], v[24:25]
	s_waitcnt lgkmcnt(4)
	v_add_f64 v[16:17], v[16:17], v[22:23]
	;; [unrolled: 2-line block ×4, first 2 shown]
	s_load_dwordx2 s[2:3], s[4:5], 0x48
	s_and_b32 s0, vcc_lo, s0
	s_and_saveexec_b32 s1, s0
	s_xor_b32 s0, exec_lo, s1
	s_cbranch_execz .LBB300_23
; %bb.22:
	v_mul_f64 v[5:6], v[16:17], -v[3:4]
	v_mul_f64 v[7:8], v[1:2], v[16:17]
	v_mul_f64 v[16:17], v[14:15], -v[3:4]
	v_mul_f64 v[14:15], v[1:2], v[14:15]
	v_lshlrev_b32_e32 v9, 1, v9
	v_fma_f64 v[5:6], v[1:2], v[10:11], v[5:6]
	v_fma_f64 v[7:8], v[3:4], v[10:11], v[7:8]
	;; [unrolled: 1-line block ×4, first 2 shown]
	v_ashrrev_i32_e32 v10, 31, v9
                                        ; implicit-def: $vgpr16_vgpr17
                                        ; implicit-def: $vgpr12_vgpr13
                                        ; implicit-def: $vgpr14_vgpr15
	v_lshlrev_b64 v[9:10], 4, v[9:10]
	s_waitcnt lgkmcnt(0)
	v_add_co_u32 v9, vcc_lo, s2, v9
	v_add_co_ci_u32_e64 v10, null, s3, v10, vcc_lo
	global_store_dwordx4 v[9:10], v[5:8], off
	global_store_dwordx4 v[9:10], v[0:3], off offset:16
                                        ; implicit-def: $vgpr9
                                        ; implicit-def: $vgpr10_vgpr11
                                        ; implicit-def: $vgpr7_vgpr8
                                        ; implicit-def: $vgpr3_vgpr4
.LBB300_23:
	s_andn2_saveexec_b32 s0, s0
	s_cbranch_execz .LBB300_25
; %bb.24:
	v_lshlrev_b32_e32 v18, 1, v9
	v_mul_f64 v[28:29], v[16:17], -v[3:4]
	v_mul_f64 v[16:17], v[1:2], v[16:17]
	v_mul_f64 v[30:31], v[14:15], -v[3:4]
	v_mul_f64 v[14:15], v[1:2], v[14:15]
	v_ashrrev_i32_e32 v19, 31, v18
	v_lshlrev_b64 v[18:19], 4, v[18:19]
	s_waitcnt lgkmcnt(0)
	v_add_co_u32 v26, vcc_lo, s2, v18
	v_add_co_ci_u32_e64 v27, null, s3, v19, vcc_lo
	s_clause 0x1
	global_load_dwordx4 v[18:21], v[26:27], off
	global_load_dwordx4 v[22:25], v[26:27], off offset:16
	v_fma_f64 v[28:29], v[1:2], v[10:11], v[28:29]
	v_fma_f64 v[9:10], v[3:4], v[10:11], v[16:17]
	;; [unrolled: 1-line block ×4, first 2 shown]
	s_waitcnt vmcnt(1)
	v_fma_f64 v[11:12], v[5:6], v[18:19], v[28:29]
	v_fma_f64 v[9:10], v[7:8], v[18:19], v[9:10]
	s_waitcnt vmcnt(0)
	v_fma_f64 v[13:14], v[5:6], v[22:23], v[0:1]
	v_fma_f64 v[15:16], v[7:8], v[22:23], v[2:3]
	v_fma_f64 v[0:1], -v[7:8], v[20:21], v[11:12]
	v_fma_f64 v[2:3], v[5:6], v[20:21], v[9:10]
	v_fma_f64 v[7:8], -v[7:8], v[24:25], v[13:14]
	v_fma_f64 v[9:10], v[5:6], v[24:25], v[15:16]
	global_store_dwordx4 v[26:27], v[0:3], off
	global_store_dwordx4 v[26:27], v[7:10], off offset:16
.LBB300_25:
	s_endpgm
	.section	.rodata,"a",@progbits
	.p2align	6, 0x0
	.amdhsa_kernel _ZN9rocsparseL19gebsrmvn_2xn_kernelILj128ELj16ELj16E21rocsparse_complex_numIdEEEvi20rocsparse_direction_NS_24const_host_device_scalarIT2_EEPKiS8_PKS5_SA_S6_PS5_21rocsparse_index_base_b
		.amdhsa_group_segment_fixed_size 0
		.amdhsa_private_segment_fixed_size 0
		.amdhsa_kernarg_size 88
		.amdhsa_user_sgpr_count 6
		.amdhsa_user_sgpr_private_segment_buffer 1
		.amdhsa_user_sgpr_dispatch_ptr 0
		.amdhsa_user_sgpr_queue_ptr 0
		.amdhsa_user_sgpr_kernarg_segment_ptr 1
		.amdhsa_user_sgpr_dispatch_id 0
		.amdhsa_user_sgpr_flat_scratch_init 0
		.amdhsa_user_sgpr_private_segment_size 0
		.amdhsa_wavefront_size32 1
		.amdhsa_uses_dynamic_stack 0
		.amdhsa_system_sgpr_private_segment_wavefront_offset 0
		.amdhsa_system_sgpr_workgroup_id_x 1
		.amdhsa_system_sgpr_workgroup_id_y 0
		.amdhsa_system_sgpr_workgroup_id_z 0
		.amdhsa_system_sgpr_workgroup_info 0
		.amdhsa_system_vgpr_workitem_id 0
		.amdhsa_next_free_vgpr 78
		.amdhsa_next_free_sgpr 16
		.amdhsa_reserve_vcc 1
		.amdhsa_reserve_flat_scratch 0
		.amdhsa_float_round_mode_32 0
		.amdhsa_float_round_mode_16_64 0
		.amdhsa_float_denorm_mode_32 3
		.amdhsa_float_denorm_mode_16_64 3
		.amdhsa_dx10_clamp 1
		.amdhsa_ieee_mode 1
		.amdhsa_fp16_overflow 0
		.amdhsa_workgroup_processor_mode 1
		.amdhsa_memory_ordered 1
		.amdhsa_forward_progress 1
		.amdhsa_shared_vgpr_count 0
		.amdhsa_exception_fp_ieee_invalid_op 0
		.amdhsa_exception_fp_denorm_src 0
		.amdhsa_exception_fp_ieee_div_zero 0
		.amdhsa_exception_fp_ieee_overflow 0
		.amdhsa_exception_fp_ieee_underflow 0
		.amdhsa_exception_fp_ieee_inexact 0
		.amdhsa_exception_int_div_zero 0
	.end_amdhsa_kernel
	.section	.text._ZN9rocsparseL19gebsrmvn_2xn_kernelILj128ELj16ELj16E21rocsparse_complex_numIdEEEvi20rocsparse_direction_NS_24const_host_device_scalarIT2_EEPKiS8_PKS5_SA_S6_PS5_21rocsparse_index_base_b,"axG",@progbits,_ZN9rocsparseL19gebsrmvn_2xn_kernelILj128ELj16ELj16E21rocsparse_complex_numIdEEEvi20rocsparse_direction_NS_24const_host_device_scalarIT2_EEPKiS8_PKS5_SA_S6_PS5_21rocsparse_index_base_b,comdat
.Lfunc_end300:
	.size	_ZN9rocsparseL19gebsrmvn_2xn_kernelILj128ELj16ELj16E21rocsparse_complex_numIdEEEvi20rocsparse_direction_NS_24const_host_device_scalarIT2_EEPKiS8_PKS5_SA_S6_PS5_21rocsparse_index_base_b, .Lfunc_end300-_ZN9rocsparseL19gebsrmvn_2xn_kernelILj128ELj16ELj16E21rocsparse_complex_numIdEEEvi20rocsparse_direction_NS_24const_host_device_scalarIT2_EEPKiS8_PKS5_SA_S6_PS5_21rocsparse_index_base_b
                                        ; -- End function
	.set _ZN9rocsparseL19gebsrmvn_2xn_kernelILj128ELj16ELj16E21rocsparse_complex_numIdEEEvi20rocsparse_direction_NS_24const_host_device_scalarIT2_EEPKiS8_PKS5_SA_S6_PS5_21rocsparse_index_base_b.num_vgpr, 78
	.set _ZN9rocsparseL19gebsrmvn_2xn_kernelILj128ELj16ELj16E21rocsparse_complex_numIdEEEvi20rocsparse_direction_NS_24const_host_device_scalarIT2_EEPKiS8_PKS5_SA_S6_PS5_21rocsparse_index_base_b.num_agpr, 0
	.set _ZN9rocsparseL19gebsrmvn_2xn_kernelILj128ELj16ELj16E21rocsparse_complex_numIdEEEvi20rocsparse_direction_NS_24const_host_device_scalarIT2_EEPKiS8_PKS5_SA_S6_PS5_21rocsparse_index_base_b.numbered_sgpr, 16
	.set _ZN9rocsparseL19gebsrmvn_2xn_kernelILj128ELj16ELj16E21rocsparse_complex_numIdEEEvi20rocsparse_direction_NS_24const_host_device_scalarIT2_EEPKiS8_PKS5_SA_S6_PS5_21rocsparse_index_base_b.num_named_barrier, 0
	.set _ZN9rocsparseL19gebsrmvn_2xn_kernelILj128ELj16ELj16E21rocsparse_complex_numIdEEEvi20rocsparse_direction_NS_24const_host_device_scalarIT2_EEPKiS8_PKS5_SA_S6_PS5_21rocsparse_index_base_b.private_seg_size, 0
	.set _ZN9rocsparseL19gebsrmvn_2xn_kernelILj128ELj16ELj16E21rocsparse_complex_numIdEEEvi20rocsparse_direction_NS_24const_host_device_scalarIT2_EEPKiS8_PKS5_SA_S6_PS5_21rocsparse_index_base_b.uses_vcc, 1
	.set _ZN9rocsparseL19gebsrmvn_2xn_kernelILj128ELj16ELj16E21rocsparse_complex_numIdEEEvi20rocsparse_direction_NS_24const_host_device_scalarIT2_EEPKiS8_PKS5_SA_S6_PS5_21rocsparse_index_base_b.uses_flat_scratch, 0
	.set _ZN9rocsparseL19gebsrmvn_2xn_kernelILj128ELj16ELj16E21rocsparse_complex_numIdEEEvi20rocsparse_direction_NS_24const_host_device_scalarIT2_EEPKiS8_PKS5_SA_S6_PS5_21rocsparse_index_base_b.has_dyn_sized_stack, 0
	.set _ZN9rocsparseL19gebsrmvn_2xn_kernelILj128ELj16ELj16E21rocsparse_complex_numIdEEEvi20rocsparse_direction_NS_24const_host_device_scalarIT2_EEPKiS8_PKS5_SA_S6_PS5_21rocsparse_index_base_b.has_recursion, 0
	.set _ZN9rocsparseL19gebsrmvn_2xn_kernelILj128ELj16ELj16E21rocsparse_complex_numIdEEEvi20rocsparse_direction_NS_24const_host_device_scalarIT2_EEPKiS8_PKS5_SA_S6_PS5_21rocsparse_index_base_b.has_indirect_call, 0
	.section	.AMDGPU.csdata,"",@progbits
; Kernel info:
; codeLenInByte = 2660
; TotalNumSgprs: 18
; NumVgprs: 78
; ScratchSize: 0
; MemoryBound: 1
; FloatMode: 240
; IeeeMode: 1
; LDSByteSize: 0 bytes/workgroup (compile time only)
; SGPRBlocks: 0
; VGPRBlocks: 9
; NumSGPRsForWavesPerEU: 18
; NumVGPRsForWavesPerEU: 78
; Occupancy: 12
; WaveLimiterHint : 1
; COMPUTE_PGM_RSRC2:SCRATCH_EN: 0
; COMPUTE_PGM_RSRC2:USER_SGPR: 6
; COMPUTE_PGM_RSRC2:TRAP_HANDLER: 0
; COMPUTE_PGM_RSRC2:TGID_X_EN: 1
; COMPUTE_PGM_RSRC2:TGID_Y_EN: 0
; COMPUTE_PGM_RSRC2:TGID_Z_EN: 0
; COMPUTE_PGM_RSRC2:TIDIG_COMP_CNT: 0
	.section	.text._ZN9rocsparseL19gebsrmvn_2xn_kernelILj128ELj16ELj32E21rocsparse_complex_numIdEEEvi20rocsparse_direction_NS_24const_host_device_scalarIT2_EEPKiS8_PKS5_SA_S6_PS5_21rocsparse_index_base_b,"axG",@progbits,_ZN9rocsparseL19gebsrmvn_2xn_kernelILj128ELj16ELj32E21rocsparse_complex_numIdEEEvi20rocsparse_direction_NS_24const_host_device_scalarIT2_EEPKiS8_PKS5_SA_S6_PS5_21rocsparse_index_base_b,comdat
	.globl	_ZN9rocsparseL19gebsrmvn_2xn_kernelILj128ELj16ELj32E21rocsparse_complex_numIdEEEvi20rocsparse_direction_NS_24const_host_device_scalarIT2_EEPKiS8_PKS5_SA_S6_PS5_21rocsparse_index_base_b ; -- Begin function _ZN9rocsparseL19gebsrmvn_2xn_kernelILj128ELj16ELj32E21rocsparse_complex_numIdEEEvi20rocsparse_direction_NS_24const_host_device_scalarIT2_EEPKiS8_PKS5_SA_S6_PS5_21rocsparse_index_base_b
	.p2align	8
	.type	_ZN9rocsparseL19gebsrmvn_2xn_kernelILj128ELj16ELj32E21rocsparse_complex_numIdEEEvi20rocsparse_direction_NS_24const_host_device_scalarIT2_EEPKiS8_PKS5_SA_S6_PS5_21rocsparse_index_base_b,@function
_ZN9rocsparseL19gebsrmvn_2xn_kernelILj128ELj16ELj32E21rocsparse_complex_numIdEEEvi20rocsparse_direction_NS_24const_host_device_scalarIT2_EEPKiS8_PKS5_SA_S6_PS5_21rocsparse_index_base_b: ; @_ZN9rocsparseL19gebsrmvn_2xn_kernelILj128ELj16ELj32E21rocsparse_complex_numIdEEEvi20rocsparse_direction_NS_24const_host_device_scalarIT2_EEPKiS8_PKS5_SA_S6_PS5_21rocsparse_index_base_b
; %bb.0:
	s_clause 0x1
	s_load_dwordx2 s[2:3], s[4:5], 0x50
	s_load_dwordx2 s[0:1], s[4:5], 0x8
	s_add_u32 s7, s4, 8
	s_addc_u32 s10, s5, 0
	s_add_u32 s11, s4, 56
	s_addc_u32 s12, s5, 0
	s_load_dwordx2 s[8:9], s[4:5], 0x38
	s_waitcnt lgkmcnt(0)
	s_bitcmp1_b32 s3, 0
	s_cselect_b32 s0, s7, s0
	s_cselect_b32 s1, s10, s1
	v_mov_b32_e32 v1, s0
	v_mov_b32_e32 v2, s1
	s_cselect_b32 s0, s11, s8
	s_cselect_b32 s1, s12, s9
	v_mov_b32_e32 v5, s0
	v_mov_b32_e32 v6, s1
	flat_load_dwordx4 v[1:4], v[1:2]
	flat_load_dwordx4 v[5:8], v[5:6]
	s_waitcnt vmcnt(1) lgkmcnt(1)
	v_cmp_eq_f64_e32 vcc_lo, 0, v[1:2]
	v_cmp_eq_f64_e64 s0, 0, v[3:4]
	s_and_b32 s3, vcc_lo, s0
	s_mov_b32 s0, -1
	s_and_saveexec_b32 s1, s3
	s_cbranch_execz .LBB301_2
; %bb.1:
	s_waitcnt vmcnt(0) lgkmcnt(0)
	v_cmp_neq_f64_e32 vcc_lo, 1.0, v[5:6]
	v_cmp_neq_f64_e64 s0, 0, v[7:8]
	s_or_b32 s0, vcc_lo, s0
	s_orn2_b32 s0, s0, exec_lo
.LBB301_2:
	s_or_b32 exec_lo, exec_lo, s1
	s_and_saveexec_b32 s1, s0
	s_cbranch_execz .LBB301_25
; %bb.3:
	s_load_dwordx2 s[0:1], s[4:5], 0x0
	v_lshrrev_b32_e32 v9, 5, v0
	v_lshl_or_b32 v9, s6, 2, v9
	s_waitcnt lgkmcnt(0)
	v_cmp_gt_i32_e32 vcc_lo, s0, v9
	s_and_b32 exec_lo, exec_lo, vcc_lo
	s_cbranch_execz .LBB301_25
; %bb.4:
	s_load_dwordx8 s[8:15], s[4:5], 0x18
	v_ashrrev_i32_e32 v10, 31, v9
	v_and_b32_e32 v0, 31, v0
	s_cmp_lg_u32 s1, 0
	v_lshlrev_b64 v[10:11], 2, v[9:10]
	s_waitcnt lgkmcnt(0)
	v_add_co_u32 v10, vcc_lo, s8, v10
	v_add_co_ci_u32_e64 v11, null, s9, v11, vcc_lo
	global_load_dwordx2 v[10:11], v[10:11], off
	s_waitcnt vmcnt(0)
	v_subrev_nc_u32_e32 v10, s2, v10
	v_subrev_nc_u32_e32 v27, s2, v11
	v_add_nc_u32_e32 v12, v10, v0
	v_cmp_lt_i32_e64 s0, v12, v27
	s_cbranch_scc0 .LBB301_12
; %bb.5:
	v_mov_b32_e32 v10, 0
	v_mov_b32_e32 v18, 0
	;; [unrolled: 1-line block ×8, first 2 shown]
	s_and_saveexec_b32 s1, s0
	s_cbranch_execz .LBB301_11
; %bb.6:
	v_lshlrev_b32_e32 v20, 5, v12
	v_mov_b32_e32 v10, 0
	v_mov_b32_e32 v18, 0
	;; [unrolled: 1-line block ×8, first 2 shown]
	v_or_b32_e32 v13, 6, v20
	v_mov_b32_e32 v17, 0
	v_mov_b32_e32 v24, v12
	s_add_u32 s3, s12, 16
	s_addc_u32 s9, s13, 0
	s_mov_b32 s8, 0
.LBB301_7:                              ; =>This Loop Header: Depth=1
                                        ;     Child Loop BB301_8 Depth 2
	v_ashrrev_i32_e32 v25, 31, v24
	s_mov_b64 s[6:7], 0
	v_lshlrev_b64 v[21:22], 2, v[24:25]
	v_add_co_u32 v21, vcc_lo, s10, v21
	v_add_co_ci_u32_e64 v22, null, s11, v22, vcc_lo
	global_load_dword v21, v[21:22], off
	s_waitcnt vmcnt(0)
	v_subrev_nc_u32_e32 v22, s2, v21
	v_mov_b32_e32 v21, v23
	v_lshlrev_b32_e32 v22, 4, v22
	v_lshlrev_b64 v[25:26], 4, v[20:21]
	v_lshlrev_b64 v[21:22], 4, v[22:23]
	v_add_co_u32 v25, vcc_lo, s3, v25
	v_add_co_ci_u32_e64 v26, null, s9, v26, vcc_lo
	v_add_co_u32 v28, vcc_lo, s14, v21
	v_add_co_ci_u32_e64 v29, null, s15, v22, vcc_lo
	v_mov_b32_e32 v21, v13
.LBB301_8:                              ;   Parent Loop BB301_7 Depth=1
                                        ; =>  This Inner Loop Header: Depth=2
	v_add_co_u32 v58, vcc_lo, v28, s6
	v_add_co_ci_u32_e64 v59, null, s7, v29, vcc_lo
	v_add_nc_u32_e32 v22, -4, v21
	s_clause 0x1
	global_load_dwordx4 v[30:33], v[25:26], off
	global_load_dwordx4 v[34:37], v[25:26], off offset:-16
	s_clause 0x1
	global_load_dwordx4 v[38:41], v[58:59], off
	global_load_dwordx4 v[42:45], v[58:59], off offset:16
	s_add_u32 s6, s6, 64
	s_addc_u32 s7, s7, 0
	s_cmpk_eq_i32 s6, 0x100
	v_lshlrev_b64 v[46:47], 4, v[22:23]
	v_add_nc_u32_e32 v22, -2, v21
	v_add_co_u32 v50, vcc_lo, s12, v46
	v_add_co_ci_u32_e64 v51, null, s13, v47, vcc_lo
	s_clause 0x1
	global_load_dwordx4 v[46:49], v[50:51], off
	global_load_dwordx4 v[50:53], v[50:51], off offset:16
	v_lshlrev_b64 v[60:61], 4, v[22:23]
	global_load_dwordx4 v[54:57], v[58:59], off offset:48
	v_mov_b32_e32 v22, v23
	v_add_co_u32 v66, vcc_lo, s12, v60
	v_add_co_ci_u32_e64 v67, null, s13, v61, vcc_lo
	global_load_dwordx4 v[58:61], v[58:59], off offset:32
	s_clause 0x1
	global_load_dwordx4 v[62:65], v[66:67], off
	global_load_dwordx4 v[66:69], v[66:67], off offset:16
	v_lshlrev_b64 v[70:71], 4, v[21:22]
	v_add_nc_u32_e32 v21, 8, v21
	v_add_co_u32 v74, vcc_lo, s12, v70
	v_add_co_ci_u32_e64 v75, null, s13, v71, vcc_lo
	s_clause 0x1
	global_load_dwordx4 v[70:73], v[74:75], off
	global_load_dwordx4 v[74:77], v[74:75], off offset:16
	v_add_co_u32 v25, vcc_lo, 0x80, v25
	v_add_co_ci_u32_e64 v26, null, 0, v26, vcc_lo
	s_waitcnt vmcnt(9)
	v_fma_f64 v[18:19], v[34:35], v[38:39], v[18:19]
	v_fma_f64 v[10:11], v[36:37], v[38:39], v[10:11]
	;; [unrolled: 1-line block ×4, first 2 shown]
	v_fma_f64 v[18:19], -v[36:37], v[40:41], v[18:19]
	v_fma_f64 v[10:11], v[34:35], v[40:41], v[10:11]
	v_fma_f64 v[14:15], -v[32:33], v[40:41], v[14:15]
	v_fma_f64 v[16:17], v[30:31], v[40:41], v[16:17]
	s_waitcnt vmcnt(7)
	v_fma_f64 v[18:19], v[46:47], v[42:43], v[18:19]
	v_fma_f64 v[10:11], v[48:49], v[42:43], v[10:11]
	s_waitcnt vmcnt(6)
	v_fma_f64 v[14:15], v[50:51], v[42:43], v[14:15]
	v_fma_f64 v[16:17], v[52:53], v[42:43], v[16:17]
	v_fma_f64 v[18:19], -v[48:49], v[44:45], v[18:19]
	v_fma_f64 v[10:11], v[46:47], v[44:45], v[10:11]
	v_fma_f64 v[14:15], -v[52:53], v[44:45], v[14:15]
	v_fma_f64 v[16:17], v[50:51], v[44:45], v[16:17]
	s_waitcnt vmcnt(3)
	v_fma_f64 v[18:19], v[62:63], v[58:59], v[18:19]
	v_fma_f64 v[10:11], v[64:65], v[58:59], v[10:11]
	s_waitcnt vmcnt(2)
	v_fma_f64 v[14:15], v[66:67], v[58:59], v[14:15]
	v_fma_f64 v[16:17], v[68:69], v[58:59], v[16:17]
	;; [unrolled: 10-line block ×3, first 2 shown]
	v_fma_f64 v[18:19], -v[72:73], v[56:57], v[18:19]
	v_fma_f64 v[10:11], v[70:71], v[56:57], v[10:11]
	v_fma_f64 v[14:15], -v[76:77], v[56:57], v[14:15]
	v_fma_f64 v[16:17], v[74:75], v[56:57], v[16:17]
	s_cbranch_scc0 .LBB301_8
; %bb.9:                                ;   in Loop: Header=BB301_7 Depth=1
	v_add_nc_u32_e32 v24, 32, v24
	v_add_nc_u32_e32 v13, 0x400, v13
	v_add_nc_u32_e32 v20, 0x400, v20
	v_cmp_ge_i32_e32 vcc_lo, v24, v27
	s_or_b32 s8, vcc_lo, s8
	s_andn2_b32 exec_lo, exec_lo, s8
	s_cbranch_execnz .LBB301_7
; %bb.10:
	s_or_b32 exec_lo, exec_lo, s8
.LBB301_11:
	s_or_b32 exec_lo, exec_lo, s1
	s_cbranch_execz .LBB301_13
	s_branch .LBB301_20
.LBB301_12:
                                        ; implicit-def: $vgpr10_vgpr11
                                        ; implicit-def: $vgpr18_vgpr19
                                        ; implicit-def: $vgpr14_vgpr15
                                        ; implicit-def: $vgpr16_vgpr17
.LBB301_13:
	v_mov_b32_e32 v10, 0
	v_mov_b32_e32 v18, 0
	;; [unrolled: 1-line block ×8, first 2 shown]
	s_and_saveexec_b32 s3, s0
	s_cbranch_execz .LBB301_19
; %bb.14:
	v_mov_b32_e32 v10, 0
	v_mov_b32_e32 v18, 0
	;; [unrolled: 1-line block ×4, first 2 shown]
	v_lshlrev_b32_e32 v20, 5, v12
	v_mov_b32_e32 v11, 0
	v_mov_b32_e32 v19, 0
	;; [unrolled: 1-line block ×5, first 2 shown]
	s_mov_b32 s6, 0
.LBB301_15:                             ; =>This Loop Header: Depth=1
                                        ;     Child Loop BB301_16 Depth 2
	v_ashrrev_i32_e32 v13, 31, v12
	v_lshlrev_b64 v[24:25], 4, v[20:21]
	s_mov_b64 s[0:1], 0
	v_lshlrev_b64 v[22:23], 2, v[12:13]
	v_add_co_u32 v22, vcc_lo, s10, v22
	v_add_co_ci_u32_e64 v23, null, s11, v23, vcc_lo
	global_load_dword v13, v[22:23], off
	v_mov_b32_e32 v23, v21
	s_waitcnt vmcnt(0)
	v_subrev_nc_u32_e32 v13, s2, v13
	v_lshlrev_b32_e32 v22, 4, v13
	v_add_co_u32 v13, vcc_lo, s12, v24
	v_lshlrev_b64 v[28:29], 4, v[22:23]
	v_add_co_ci_u32_e64 v22, null, s13, v25, vcc_lo
	v_add_co_u32 v23, vcc_lo, s14, v28
	v_add_co_ci_u32_e64 v24, null, s15, v29, vcc_lo
.LBB301_16:                             ;   Parent Loop BB301_15 Depth=1
                                        ; =>  This Inner Loop Header: Depth=2
	v_add_co_u32 v25, vcc_lo, v13, s0
	v_add_co_ci_u32_e64 v26, null, s1, v22, vcc_lo
	v_add_co_u32 v68, vcc_lo, v23, s0
	v_add_co_ci_u32_e64 v69, null, s1, v24, vcc_lo
	global_load_dwordx4 v[28:31], v[25:26], off
	global_load_dwordx4 v[32:35], v[68:69], off
	s_clause 0x1
	global_load_dwordx4 v[36:39], v[25:26], off offset:256
	global_load_dwordx4 v[40:43], v[25:26], off offset:16
	global_load_dwordx4 v[44:47], v[68:69], off offset:16
	s_clause 0x1
	global_load_dwordx4 v[48:51], v[25:26], off offset:272
	global_load_dwordx4 v[52:55], v[25:26], off offset:32
	global_load_dwordx4 v[56:59], v[68:69], off offset:32
	;; [unrolled: 4-line block ×3, first 2 shown]
	global_load_dwordx4 v[72:75], v[25:26], off offset:304
	s_add_u32 s0, s0, 64
	s_addc_u32 s1, s1, 0
	s_cmpk_eq_i32 s0, 0x100
	s_waitcnt vmcnt(10)
	v_fma_f64 v[18:19], v[28:29], v[32:33], v[18:19]
	v_fma_f64 v[10:11], v[30:31], v[32:33], v[10:11]
	s_waitcnt vmcnt(9)
	v_fma_f64 v[14:15], v[36:37], v[32:33], v[14:15]
	v_fma_f64 v[16:17], v[38:39], v[32:33], v[16:17]
	v_fma_f64 v[18:19], -v[30:31], v[34:35], v[18:19]
	v_fma_f64 v[10:11], v[28:29], v[34:35], v[10:11]
	v_fma_f64 v[14:15], -v[38:39], v[34:35], v[14:15]
	v_fma_f64 v[16:17], v[36:37], v[34:35], v[16:17]
	s_waitcnt vmcnt(7)
	v_fma_f64 v[18:19], v[40:41], v[44:45], v[18:19]
	v_fma_f64 v[10:11], v[42:43], v[44:45], v[10:11]
	s_waitcnt vmcnt(6)
	v_fma_f64 v[14:15], v[48:49], v[44:45], v[14:15]
	v_fma_f64 v[16:17], v[50:51], v[44:45], v[16:17]
	v_fma_f64 v[18:19], -v[42:43], v[46:47], v[18:19]
	v_fma_f64 v[10:11], v[40:41], v[46:47], v[10:11]
	v_fma_f64 v[14:15], -v[50:51], v[46:47], v[14:15]
	v_fma_f64 v[16:17], v[48:49], v[46:47], v[16:17]
	;; [unrolled: 10-line block ×4, first 2 shown]
	s_cbranch_scc0 .LBB301_16
; %bb.17:                               ;   in Loop: Header=BB301_15 Depth=1
	v_add_nc_u32_e32 v12, 32, v12
	v_add_nc_u32_e32 v20, 0x400, v20
	v_cmp_ge_i32_e32 vcc_lo, v12, v27
	s_or_b32 s6, vcc_lo, s6
	s_andn2_b32 exec_lo, exec_lo, s6
	s_cbranch_execnz .LBB301_15
; %bb.18:
	s_or_b32 exec_lo, exec_lo, s6
.LBB301_19:
	s_or_b32 exec_lo, exec_lo, s3
.LBB301_20:
	v_mbcnt_lo_u32_b32 v26, -1, 0
	v_xor_b32_e32 v12, 16, v26
	v_cmp_gt_i32_e32 vcc_lo, 32, v12
	v_cndmask_b32_e32 v12, v26, v12, vcc_lo
	v_lshlrev_b32_e32 v25, 2, v12
	ds_bpermute_b32 v12, v25, v18
	ds_bpermute_b32 v13, v25, v19
	;; [unrolled: 1-line block ×8, first 2 shown]
	s_waitcnt lgkmcnt(6)
	v_add_f64 v[12:13], v[18:19], v[12:13]
	v_xor_b32_e32 v18, 8, v26
	s_waitcnt lgkmcnt(4)
	v_add_f64 v[10:11], v[10:11], v[20:21]
	s_waitcnt lgkmcnt(2)
	v_add_f64 v[14:15], v[14:15], v[22:23]
	;; [unrolled: 2-line block ×3, first 2 shown]
	v_cmp_gt_i32_e32 vcc_lo, 32, v18
	v_cndmask_b32_e32 v18, v26, v18, vcc_lo
	v_lshlrev_b32_e32 v25, 2, v18
	ds_bpermute_b32 v18, v25, v12
	ds_bpermute_b32 v19, v25, v13
	;; [unrolled: 1-line block ×8, first 2 shown]
	s_waitcnt lgkmcnt(6)
	v_add_f64 v[12:13], v[12:13], v[18:19]
	v_xor_b32_e32 v18, 4, v26
	s_waitcnt lgkmcnt(4)
	v_add_f64 v[10:11], v[10:11], v[20:21]
	s_waitcnt lgkmcnt(2)
	v_add_f64 v[14:15], v[14:15], v[22:23]
	;; [unrolled: 2-line block ×3, first 2 shown]
	v_cmp_gt_i32_e32 vcc_lo, 32, v18
	v_cndmask_b32_e32 v18, v26, v18, vcc_lo
	v_lshlrev_b32_e32 v25, 2, v18
	ds_bpermute_b32 v18, v25, v12
	ds_bpermute_b32 v19, v25, v13
	;; [unrolled: 1-line block ×8, first 2 shown]
	s_waitcnt lgkmcnt(6)
	v_add_f64 v[12:13], v[12:13], v[18:19]
	s_waitcnt lgkmcnt(4)
	v_add_f64 v[18:19], v[10:11], v[20:21]
	v_xor_b32_e32 v10, 2, v26
	s_waitcnt lgkmcnt(2)
	v_add_f64 v[14:15], v[14:15], v[22:23]
	s_waitcnt lgkmcnt(0)
	v_add_f64 v[20:21], v[16:17], v[24:25]
	v_cmp_gt_i32_e32 vcc_lo, 32, v10
	v_cndmask_b32_e32 v10, v26, v10, vcc_lo
	v_lshlrev_b32_e32 v25, 2, v10
	ds_bpermute_b32 v10, v25, v12
	ds_bpermute_b32 v11, v25, v13
	;; [unrolled: 1-line block ×8, first 2 shown]
	s_waitcnt lgkmcnt(6)
	v_add_f64 v[10:11], v[12:13], v[10:11]
	s_waitcnt lgkmcnt(4)
	v_add_f64 v[16:17], v[18:19], v[16:17]
	v_xor_b32_e32 v18, 1, v26
	s_waitcnt lgkmcnt(2)
	v_add_f64 v[12:13], v[14:15], v[22:23]
	s_waitcnt lgkmcnt(0)
	v_add_f64 v[14:15], v[20:21], v[24:25]
	v_cmp_gt_i32_e32 vcc_lo, 32, v18
	v_cndmask_b32_e32 v18, v26, v18, vcc_lo
	v_cmp_eq_u32_e32 vcc_lo, 31, v0
	v_lshlrev_b32_e32 v21, 2, v18
	ds_bpermute_b32 v24, v21, v10
	ds_bpermute_b32 v25, v21, v11
	;; [unrolled: 1-line block ×8, first 2 shown]
	s_and_b32 exec_lo, exec_lo, vcc_lo
	s_cbranch_execz .LBB301_25
; %bb.21:
	v_cmp_eq_f64_e32 vcc_lo, 0, v[5:6]
	v_cmp_eq_f64_e64 s0, 0, v[7:8]
	s_waitcnt lgkmcnt(6)
	v_add_f64 v[10:11], v[10:11], v[24:25]
	s_waitcnt lgkmcnt(4)
	v_add_f64 v[16:17], v[16:17], v[22:23]
	s_waitcnt lgkmcnt(2)
	v_add_f64 v[12:13], v[12:13], v[18:19]
	s_waitcnt lgkmcnt(0)
	v_add_f64 v[14:15], v[14:15], v[20:21]
	s_load_dwordx2 s[2:3], s[4:5], 0x48
	s_and_b32 s0, vcc_lo, s0
	s_and_saveexec_b32 s1, s0
	s_xor_b32 s0, exec_lo, s1
	s_cbranch_execz .LBB301_23
; %bb.22:
	v_mul_f64 v[5:6], v[16:17], -v[3:4]
	v_mul_f64 v[7:8], v[1:2], v[16:17]
	v_mul_f64 v[16:17], v[14:15], -v[3:4]
	v_mul_f64 v[14:15], v[1:2], v[14:15]
	v_lshlrev_b32_e32 v9, 1, v9
	v_fma_f64 v[5:6], v[1:2], v[10:11], v[5:6]
	v_fma_f64 v[7:8], v[3:4], v[10:11], v[7:8]
	;; [unrolled: 1-line block ×4, first 2 shown]
	v_ashrrev_i32_e32 v10, 31, v9
                                        ; implicit-def: $vgpr16_vgpr17
                                        ; implicit-def: $vgpr12_vgpr13
                                        ; implicit-def: $vgpr14_vgpr15
	v_lshlrev_b64 v[9:10], 4, v[9:10]
	s_waitcnt lgkmcnt(0)
	v_add_co_u32 v9, vcc_lo, s2, v9
	v_add_co_ci_u32_e64 v10, null, s3, v10, vcc_lo
	global_store_dwordx4 v[9:10], v[5:8], off
	global_store_dwordx4 v[9:10], v[0:3], off offset:16
                                        ; implicit-def: $vgpr9
                                        ; implicit-def: $vgpr10_vgpr11
                                        ; implicit-def: $vgpr7_vgpr8
                                        ; implicit-def: $vgpr3_vgpr4
.LBB301_23:
	s_andn2_saveexec_b32 s0, s0
	s_cbranch_execz .LBB301_25
; %bb.24:
	v_lshlrev_b32_e32 v18, 1, v9
	v_mul_f64 v[28:29], v[16:17], -v[3:4]
	v_mul_f64 v[16:17], v[1:2], v[16:17]
	v_mul_f64 v[30:31], v[14:15], -v[3:4]
	v_mul_f64 v[14:15], v[1:2], v[14:15]
	v_ashrrev_i32_e32 v19, 31, v18
	v_lshlrev_b64 v[18:19], 4, v[18:19]
	s_waitcnt lgkmcnt(0)
	v_add_co_u32 v26, vcc_lo, s2, v18
	v_add_co_ci_u32_e64 v27, null, s3, v19, vcc_lo
	s_clause 0x1
	global_load_dwordx4 v[18:21], v[26:27], off
	global_load_dwordx4 v[22:25], v[26:27], off offset:16
	v_fma_f64 v[28:29], v[1:2], v[10:11], v[28:29]
	v_fma_f64 v[9:10], v[3:4], v[10:11], v[16:17]
	;; [unrolled: 1-line block ×4, first 2 shown]
	s_waitcnt vmcnt(1)
	v_fma_f64 v[11:12], v[5:6], v[18:19], v[28:29]
	v_fma_f64 v[9:10], v[7:8], v[18:19], v[9:10]
	s_waitcnt vmcnt(0)
	v_fma_f64 v[13:14], v[5:6], v[22:23], v[0:1]
	v_fma_f64 v[15:16], v[7:8], v[22:23], v[2:3]
	v_fma_f64 v[0:1], -v[7:8], v[20:21], v[11:12]
	v_fma_f64 v[2:3], v[5:6], v[20:21], v[9:10]
	v_fma_f64 v[7:8], -v[7:8], v[24:25], v[13:14]
	v_fma_f64 v[9:10], v[5:6], v[24:25], v[15:16]
	global_store_dwordx4 v[26:27], v[0:3], off
	global_store_dwordx4 v[26:27], v[7:10], off offset:16
.LBB301_25:
	s_endpgm
	.section	.rodata,"a",@progbits
	.p2align	6, 0x0
	.amdhsa_kernel _ZN9rocsparseL19gebsrmvn_2xn_kernelILj128ELj16ELj32E21rocsparse_complex_numIdEEEvi20rocsparse_direction_NS_24const_host_device_scalarIT2_EEPKiS8_PKS5_SA_S6_PS5_21rocsparse_index_base_b
		.amdhsa_group_segment_fixed_size 0
		.amdhsa_private_segment_fixed_size 0
		.amdhsa_kernarg_size 88
		.amdhsa_user_sgpr_count 6
		.amdhsa_user_sgpr_private_segment_buffer 1
		.amdhsa_user_sgpr_dispatch_ptr 0
		.amdhsa_user_sgpr_queue_ptr 0
		.amdhsa_user_sgpr_kernarg_segment_ptr 1
		.amdhsa_user_sgpr_dispatch_id 0
		.amdhsa_user_sgpr_flat_scratch_init 0
		.amdhsa_user_sgpr_private_segment_size 0
		.amdhsa_wavefront_size32 1
		.amdhsa_uses_dynamic_stack 0
		.amdhsa_system_sgpr_private_segment_wavefront_offset 0
		.amdhsa_system_sgpr_workgroup_id_x 1
		.amdhsa_system_sgpr_workgroup_id_y 0
		.amdhsa_system_sgpr_workgroup_id_z 0
		.amdhsa_system_sgpr_workgroup_info 0
		.amdhsa_system_vgpr_workitem_id 0
		.amdhsa_next_free_vgpr 78
		.amdhsa_next_free_sgpr 16
		.amdhsa_reserve_vcc 1
		.amdhsa_reserve_flat_scratch 0
		.amdhsa_float_round_mode_32 0
		.amdhsa_float_round_mode_16_64 0
		.amdhsa_float_denorm_mode_32 3
		.amdhsa_float_denorm_mode_16_64 3
		.amdhsa_dx10_clamp 1
		.amdhsa_ieee_mode 1
		.amdhsa_fp16_overflow 0
		.amdhsa_workgroup_processor_mode 1
		.amdhsa_memory_ordered 1
		.amdhsa_forward_progress 1
		.amdhsa_shared_vgpr_count 0
		.amdhsa_exception_fp_ieee_invalid_op 0
		.amdhsa_exception_fp_denorm_src 0
		.amdhsa_exception_fp_ieee_div_zero 0
		.amdhsa_exception_fp_ieee_overflow 0
		.amdhsa_exception_fp_ieee_underflow 0
		.amdhsa_exception_fp_ieee_inexact 0
		.amdhsa_exception_int_div_zero 0
	.end_amdhsa_kernel
	.section	.text._ZN9rocsparseL19gebsrmvn_2xn_kernelILj128ELj16ELj32E21rocsparse_complex_numIdEEEvi20rocsparse_direction_NS_24const_host_device_scalarIT2_EEPKiS8_PKS5_SA_S6_PS5_21rocsparse_index_base_b,"axG",@progbits,_ZN9rocsparseL19gebsrmvn_2xn_kernelILj128ELj16ELj32E21rocsparse_complex_numIdEEEvi20rocsparse_direction_NS_24const_host_device_scalarIT2_EEPKiS8_PKS5_SA_S6_PS5_21rocsparse_index_base_b,comdat
.Lfunc_end301:
	.size	_ZN9rocsparseL19gebsrmvn_2xn_kernelILj128ELj16ELj32E21rocsparse_complex_numIdEEEvi20rocsparse_direction_NS_24const_host_device_scalarIT2_EEPKiS8_PKS5_SA_S6_PS5_21rocsparse_index_base_b, .Lfunc_end301-_ZN9rocsparseL19gebsrmvn_2xn_kernelILj128ELj16ELj32E21rocsparse_complex_numIdEEEvi20rocsparse_direction_NS_24const_host_device_scalarIT2_EEPKiS8_PKS5_SA_S6_PS5_21rocsparse_index_base_b
                                        ; -- End function
	.set _ZN9rocsparseL19gebsrmvn_2xn_kernelILj128ELj16ELj32E21rocsparse_complex_numIdEEEvi20rocsparse_direction_NS_24const_host_device_scalarIT2_EEPKiS8_PKS5_SA_S6_PS5_21rocsparse_index_base_b.num_vgpr, 78
	.set _ZN9rocsparseL19gebsrmvn_2xn_kernelILj128ELj16ELj32E21rocsparse_complex_numIdEEEvi20rocsparse_direction_NS_24const_host_device_scalarIT2_EEPKiS8_PKS5_SA_S6_PS5_21rocsparse_index_base_b.num_agpr, 0
	.set _ZN9rocsparseL19gebsrmvn_2xn_kernelILj128ELj16ELj32E21rocsparse_complex_numIdEEEvi20rocsparse_direction_NS_24const_host_device_scalarIT2_EEPKiS8_PKS5_SA_S6_PS5_21rocsparse_index_base_b.numbered_sgpr, 16
	.set _ZN9rocsparseL19gebsrmvn_2xn_kernelILj128ELj16ELj32E21rocsparse_complex_numIdEEEvi20rocsparse_direction_NS_24const_host_device_scalarIT2_EEPKiS8_PKS5_SA_S6_PS5_21rocsparse_index_base_b.num_named_barrier, 0
	.set _ZN9rocsparseL19gebsrmvn_2xn_kernelILj128ELj16ELj32E21rocsparse_complex_numIdEEEvi20rocsparse_direction_NS_24const_host_device_scalarIT2_EEPKiS8_PKS5_SA_S6_PS5_21rocsparse_index_base_b.private_seg_size, 0
	.set _ZN9rocsparseL19gebsrmvn_2xn_kernelILj128ELj16ELj32E21rocsparse_complex_numIdEEEvi20rocsparse_direction_NS_24const_host_device_scalarIT2_EEPKiS8_PKS5_SA_S6_PS5_21rocsparse_index_base_b.uses_vcc, 1
	.set _ZN9rocsparseL19gebsrmvn_2xn_kernelILj128ELj16ELj32E21rocsparse_complex_numIdEEEvi20rocsparse_direction_NS_24const_host_device_scalarIT2_EEPKiS8_PKS5_SA_S6_PS5_21rocsparse_index_base_b.uses_flat_scratch, 0
	.set _ZN9rocsparseL19gebsrmvn_2xn_kernelILj128ELj16ELj32E21rocsparse_complex_numIdEEEvi20rocsparse_direction_NS_24const_host_device_scalarIT2_EEPKiS8_PKS5_SA_S6_PS5_21rocsparse_index_base_b.has_dyn_sized_stack, 0
	.set _ZN9rocsparseL19gebsrmvn_2xn_kernelILj128ELj16ELj32E21rocsparse_complex_numIdEEEvi20rocsparse_direction_NS_24const_host_device_scalarIT2_EEPKiS8_PKS5_SA_S6_PS5_21rocsparse_index_base_b.has_recursion, 0
	.set _ZN9rocsparseL19gebsrmvn_2xn_kernelILj128ELj16ELj32E21rocsparse_complex_numIdEEEvi20rocsparse_direction_NS_24const_host_device_scalarIT2_EEPKiS8_PKS5_SA_S6_PS5_21rocsparse_index_base_b.has_indirect_call, 0
	.section	.AMDGPU.csdata,"",@progbits
; Kernel info:
; codeLenInByte = 2788
; TotalNumSgprs: 18
; NumVgprs: 78
; ScratchSize: 0
; MemoryBound: 1
; FloatMode: 240
; IeeeMode: 1
; LDSByteSize: 0 bytes/workgroup (compile time only)
; SGPRBlocks: 0
; VGPRBlocks: 9
; NumSGPRsForWavesPerEU: 18
; NumVGPRsForWavesPerEU: 78
; Occupancy: 12
; WaveLimiterHint : 1
; COMPUTE_PGM_RSRC2:SCRATCH_EN: 0
; COMPUTE_PGM_RSRC2:USER_SGPR: 6
; COMPUTE_PGM_RSRC2:TRAP_HANDLER: 0
; COMPUTE_PGM_RSRC2:TGID_X_EN: 1
; COMPUTE_PGM_RSRC2:TGID_Y_EN: 0
; COMPUTE_PGM_RSRC2:TGID_Z_EN: 0
; COMPUTE_PGM_RSRC2:TIDIG_COMP_CNT: 0
	.section	.text._ZN9rocsparseL19gebsrmvn_2xn_kernelILj128ELj16ELj64E21rocsparse_complex_numIdEEEvi20rocsparse_direction_NS_24const_host_device_scalarIT2_EEPKiS8_PKS5_SA_S6_PS5_21rocsparse_index_base_b,"axG",@progbits,_ZN9rocsparseL19gebsrmvn_2xn_kernelILj128ELj16ELj64E21rocsparse_complex_numIdEEEvi20rocsparse_direction_NS_24const_host_device_scalarIT2_EEPKiS8_PKS5_SA_S6_PS5_21rocsparse_index_base_b,comdat
	.globl	_ZN9rocsparseL19gebsrmvn_2xn_kernelILj128ELj16ELj64E21rocsparse_complex_numIdEEEvi20rocsparse_direction_NS_24const_host_device_scalarIT2_EEPKiS8_PKS5_SA_S6_PS5_21rocsparse_index_base_b ; -- Begin function _ZN9rocsparseL19gebsrmvn_2xn_kernelILj128ELj16ELj64E21rocsparse_complex_numIdEEEvi20rocsparse_direction_NS_24const_host_device_scalarIT2_EEPKiS8_PKS5_SA_S6_PS5_21rocsparse_index_base_b
	.p2align	8
	.type	_ZN9rocsparseL19gebsrmvn_2xn_kernelILj128ELj16ELj64E21rocsparse_complex_numIdEEEvi20rocsparse_direction_NS_24const_host_device_scalarIT2_EEPKiS8_PKS5_SA_S6_PS5_21rocsparse_index_base_b,@function
_ZN9rocsparseL19gebsrmvn_2xn_kernelILj128ELj16ELj64E21rocsparse_complex_numIdEEEvi20rocsparse_direction_NS_24const_host_device_scalarIT2_EEPKiS8_PKS5_SA_S6_PS5_21rocsparse_index_base_b: ; @_ZN9rocsparseL19gebsrmvn_2xn_kernelILj128ELj16ELj64E21rocsparse_complex_numIdEEEvi20rocsparse_direction_NS_24const_host_device_scalarIT2_EEPKiS8_PKS5_SA_S6_PS5_21rocsparse_index_base_b
; %bb.0:
	s_clause 0x1
	s_load_dwordx2 s[2:3], s[4:5], 0x50
	s_load_dwordx2 s[0:1], s[4:5], 0x8
	s_add_u32 s7, s4, 8
	s_addc_u32 s10, s5, 0
	s_add_u32 s11, s4, 56
	s_addc_u32 s12, s5, 0
	s_load_dwordx2 s[8:9], s[4:5], 0x38
	s_waitcnt lgkmcnt(0)
	s_bitcmp1_b32 s3, 0
	s_cselect_b32 s0, s7, s0
	s_cselect_b32 s1, s10, s1
	v_mov_b32_e32 v1, s0
	v_mov_b32_e32 v2, s1
	s_cselect_b32 s0, s11, s8
	s_cselect_b32 s1, s12, s9
	v_mov_b32_e32 v5, s0
	v_mov_b32_e32 v6, s1
	flat_load_dwordx4 v[1:4], v[1:2]
	flat_load_dwordx4 v[5:8], v[5:6]
	s_waitcnt vmcnt(1) lgkmcnt(1)
	v_cmp_eq_f64_e32 vcc_lo, 0, v[1:2]
	v_cmp_eq_f64_e64 s0, 0, v[3:4]
	s_and_b32 s3, vcc_lo, s0
	s_mov_b32 s0, -1
	s_and_saveexec_b32 s1, s3
	s_cbranch_execz .LBB302_2
; %bb.1:
	s_waitcnt vmcnt(0) lgkmcnt(0)
	v_cmp_neq_f64_e32 vcc_lo, 1.0, v[5:6]
	v_cmp_neq_f64_e64 s0, 0, v[7:8]
	s_or_b32 s0, vcc_lo, s0
	s_orn2_b32 s0, s0, exec_lo
.LBB302_2:
	s_or_b32 exec_lo, exec_lo, s1
	s_and_saveexec_b32 s1, s0
	s_cbranch_execz .LBB302_25
; %bb.3:
	s_load_dwordx2 s[0:1], s[4:5], 0x0
	v_lshrrev_b32_e32 v9, 6, v0
	v_lshl_or_b32 v9, s6, 1, v9
	s_waitcnt lgkmcnt(0)
	v_cmp_gt_i32_e32 vcc_lo, s0, v9
	s_and_b32 exec_lo, exec_lo, vcc_lo
	s_cbranch_execz .LBB302_25
; %bb.4:
	s_load_dwordx8 s[8:15], s[4:5], 0x18
	v_ashrrev_i32_e32 v10, 31, v9
	v_and_b32_e32 v0, 63, v0
	s_cmp_lg_u32 s1, 0
	v_lshlrev_b64 v[10:11], 2, v[9:10]
	s_waitcnt lgkmcnt(0)
	v_add_co_u32 v10, vcc_lo, s8, v10
	v_add_co_ci_u32_e64 v11, null, s9, v11, vcc_lo
	global_load_dwordx2 v[10:11], v[10:11], off
	s_waitcnt vmcnt(0)
	v_subrev_nc_u32_e32 v10, s2, v10
	v_subrev_nc_u32_e32 v26, s2, v11
	v_add_nc_u32_e32 v18, v10, v0
	v_cmp_lt_i32_e64 s0, v18, v26
	s_cbranch_scc0 .LBB302_12
; %bb.5:
	v_mov_b32_e32 v10, 0
	v_mov_b32_e32 v16, 0
	;; [unrolled: 1-line block ×8, first 2 shown]
	s_and_saveexec_b32 s1, s0
	s_cbranch_execz .LBB302_11
; %bb.6:
	v_lshlrev_b32_e32 v19, 5, v18
	v_mov_b32_e32 v10, 0
	v_mov_b32_e32 v16, 0
	;; [unrolled: 1-line block ×8, first 2 shown]
	v_or_b32_e32 v27, 6, v19
	v_mov_b32_e32 v15, 0
	v_mov_b32_e32 v23, v18
	s_add_u32 s3, s12, 16
	s_addc_u32 s9, s13, 0
	s_mov_b32 s8, 0
.LBB302_7:                              ; =>This Loop Header: Depth=1
                                        ;     Child Loop BB302_8 Depth 2
	v_ashrrev_i32_e32 v24, 31, v23
	s_mov_b64 s[6:7], 0
	v_lshlrev_b64 v[20:21], 2, v[23:24]
	v_add_co_u32 v20, vcc_lo, s10, v20
	v_add_co_ci_u32_e64 v21, null, s11, v21, vcc_lo
	global_load_dword v20, v[20:21], off
	s_waitcnt vmcnt(0)
	v_subrev_nc_u32_e32 v21, s2, v20
	v_mov_b32_e32 v20, v22
	v_lshlrev_b32_e32 v21, 4, v21
	v_lshlrev_b64 v[24:25], 4, v[19:20]
	v_lshlrev_b64 v[20:21], 4, v[21:22]
	v_add_co_u32 v24, vcc_lo, s3, v24
	v_add_co_ci_u32_e64 v25, null, s9, v25, vcc_lo
	v_add_co_u32 v28, vcc_lo, s14, v20
	v_add_co_ci_u32_e64 v29, null, s15, v21, vcc_lo
	v_mov_b32_e32 v20, v27
.LBB302_8:                              ;   Parent Loop BB302_7 Depth=1
                                        ; =>  This Inner Loop Header: Depth=2
	v_add_co_u32 v58, vcc_lo, v28, s6
	v_add_co_ci_u32_e64 v59, null, s7, v29, vcc_lo
	v_add_nc_u32_e32 v21, -4, v20
	s_clause 0x1
	global_load_dwordx4 v[30:33], v[24:25], off
	global_load_dwordx4 v[34:37], v[24:25], off offset:-16
	s_clause 0x1
	global_load_dwordx4 v[38:41], v[58:59], off
	global_load_dwordx4 v[42:45], v[58:59], off offset:16
	s_add_u32 s6, s6, 64
	s_addc_u32 s7, s7, 0
	s_cmpk_eq_i32 s6, 0x100
	v_lshlrev_b64 v[46:47], 4, v[21:22]
	v_add_nc_u32_e32 v21, -2, v20
	v_add_co_u32 v50, vcc_lo, s12, v46
	v_add_co_ci_u32_e64 v51, null, s13, v47, vcc_lo
	s_clause 0x1
	global_load_dwordx4 v[46:49], v[50:51], off
	global_load_dwordx4 v[50:53], v[50:51], off offset:16
	v_lshlrev_b64 v[60:61], 4, v[21:22]
	global_load_dwordx4 v[54:57], v[58:59], off offset:48
	v_mov_b32_e32 v21, v22
	v_add_co_u32 v66, vcc_lo, s12, v60
	v_add_co_ci_u32_e64 v67, null, s13, v61, vcc_lo
	global_load_dwordx4 v[58:61], v[58:59], off offset:32
	s_clause 0x1
	global_load_dwordx4 v[62:65], v[66:67], off
	global_load_dwordx4 v[66:69], v[66:67], off offset:16
	v_lshlrev_b64 v[70:71], 4, v[20:21]
	v_add_nc_u32_e32 v20, 8, v20
	v_add_co_u32 v74, vcc_lo, s12, v70
	v_add_co_ci_u32_e64 v75, null, s13, v71, vcc_lo
	s_clause 0x1
	global_load_dwordx4 v[70:73], v[74:75], off
	global_load_dwordx4 v[74:77], v[74:75], off offset:16
	v_add_co_u32 v24, vcc_lo, 0x80, v24
	v_add_co_ci_u32_e64 v25, null, 0, v25, vcc_lo
	s_waitcnt vmcnt(9)
	v_fma_f64 v[16:17], v[34:35], v[38:39], v[16:17]
	v_fma_f64 v[10:11], v[36:37], v[38:39], v[10:11]
	;; [unrolled: 1-line block ×4, first 2 shown]
	v_fma_f64 v[16:17], -v[36:37], v[40:41], v[16:17]
	v_fma_f64 v[10:11], v[34:35], v[40:41], v[10:11]
	v_fma_f64 v[12:13], -v[32:33], v[40:41], v[12:13]
	v_fma_f64 v[14:15], v[30:31], v[40:41], v[14:15]
	s_waitcnt vmcnt(7)
	v_fma_f64 v[16:17], v[46:47], v[42:43], v[16:17]
	v_fma_f64 v[10:11], v[48:49], v[42:43], v[10:11]
	s_waitcnt vmcnt(6)
	v_fma_f64 v[12:13], v[50:51], v[42:43], v[12:13]
	v_fma_f64 v[14:15], v[52:53], v[42:43], v[14:15]
	v_fma_f64 v[16:17], -v[48:49], v[44:45], v[16:17]
	v_fma_f64 v[10:11], v[46:47], v[44:45], v[10:11]
	v_fma_f64 v[12:13], -v[52:53], v[44:45], v[12:13]
	v_fma_f64 v[14:15], v[50:51], v[44:45], v[14:15]
	s_waitcnt vmcnt(3)
	v_fma_f64 v[16:17], v[62:63], v[58:59], v[16:17]
	v_fma_f64 v[10:11], v[64:65], v[58:59], v[10:11]
	s_waitcnt vmcnt(2)
	v_fma_f64 v[12:13], v[66:67], v[58:59], v[12:13]
	v_fma_f64 v[14:15], v[68:69], v[58:59], v[14:15]
	v_fma_f64 v[16:17], -v[64:65], v[60:61], v[16:17]
	v_fma_f64 v[10:11], v[62:63], v[60:61], v[10:11]
	v_fma_f64 v[12:13], -v[68:69], v[60:61], v[12:13]
	v_fma_f64 v[14:15], v[66:67], v[60:61], v[14:15]
	s_waitcnt vmcnt(1)
	v_fma_f64 v[16:17], v[70:71], v[54:55], v[16:17]
	v_fma_f64 v[10:11], v[72:73], v[54:55], v[10:11]
	s_waitcnt vmcnt(0)
	v_fma_f64 v[12:13], v[74:75], v[54:55], v[12:13]
	v_fma_f64 v[14:15], v[76:77], v[54:55], v[14:15]
	v_fma_f64 v[16:17], -v[72:73], v[56:57], v[16:17]
	v_fma_f64 v[10:11], v[70:71], v[56:57], v[10:11]
	v_fma_f64 v[12:13], -v[76:77], v[56:57], v[12:13]
	v_fma_f64 v[14:15], v[74:75], v[56:57], v[14:15]
	s_cbranch_scc0 .LBB302_8
; %bb.9:                                ;   in Loop: Header=BB302_7 Depth=1
	v_add_nc_u32_e32 v23, 64, v23
	v_add_nc_u32_e32 v27, 0x800, v27
	;; [unrolled: 1-line block ×3, first 2 shown]
	v_cmp_ge_i32_e32 vcc_lo, v23, v26
	s_or_b32 s8, vcc_lo, s8
	s_andn2_b32 exec_lo, exec_lo, s8
	s_cbranch_execnz .LBB302_7
; %bb.10:
	s_or_b32 exec_lo, exec_lo, s8
.LBB302_11:
	s_or_b32 exec_lo, exec_lo, s1
	s_cbranch_execz .LBB302_13
	s_branch .LBB302_20
.LBB302_12:
                                        ; implicit-def: $vgpr10_vgpr11
                                        ; implicit-def: $vgpr16_vgpr17
                                        ; implicit-def: $vgpr12_vgpr13
                                        ; implicit-def: $vgpr14_vgpr15
.LBB302_13:
	v_mov_b32_e32 v10, 0
	v_mov_b32_e32 v16, 0
	;; [unrolled: 1-line block ×8, first 2 shown]
	s_and_saveexec_b32 s3, s0
	s_cbranch_execz .LBB302_19
; %bb.14:
	v_mov_b32_e32 v10, 0
	v_mov_b32_e32 v16, 0
	;; [unrolled: 1-line block ×4, first 2 shown]
	v_lshlrev_b32_e32 v20, 5, v18
	v_mov_b32_e32 v11, 0
	v_mov_b32_e32 v17, 0
	;; [unrolled: 1-line block ×5, first 2 shown]
	s_mov_b32 s6, 0
.LBB302_15:                             ; =>This Loop Header: Depth=1
                                        ;     Child Loop BB302_16 Depth 2
	v_ashrrev_i32_e32 v19, 31, v18
	v_lshlrev_b64 v[24:25], 4, v[20:21]
	s_mov_b64 s[0:1], 0
	v_lshlrev_b64 v[22:23], 2, v[18:19]
	v_add_co_u32 v22, vcc_lo, s10, v22
	v_add_co_ci_u32_e64 v23, null, s11, v23, vcc_lo
	global_load_dword v19, v[22:23], off
	v_mov_b32_e32 v23, v21
	s_waitcnt vmcnt(0)
	v_subrev_nc_u32_e32 v19, s2, v19
	v_lshlrev_b32_e32 v22, 4, v19
	v_add_co_u32 v19, vcc_lo, s12, v24
	v_lshlrev_b64 v[27:28], 4, v[22:23]
	v_add_co_ci_u32_e64 v22, null, s13, v25, vcc_lo
	v_add_co_u32 v23, vcc_lo, s14, v27
	v_add_co_ci_u32_e64 v24, null, s15, v28, vcc_lo
.LBB302_16:                             ;   Parent Loop BB302_15 Depth=1
                                        ; =>  This Inner Loop Header: Depth=2
	v_add_co_u32 v71, vcc_lo, v19, s0
	v_add_co_ci_u32_e64 v72, null, s1, v22, vcc_lo
	v_add_co_u32 v67, vcc_lo, v23, s0
	v_add_co_ci_u32_e64 v68, null, s1, v24, vcc_lo
	global_load_dwordx4 v[27:30], v[71:72], off
	global_load_dwordx4 v[31:34], v[67:68], off
	s_clause 0x1
	global_load_dwordx4 v[35:38], v[71:72], off offset:256
	global_load_dwordx4 v[39:42], v[71:72], off offset:16
	global_load_dwordx4 v[43:46], v[67:68], off offset:16
	s_clause 0x1
	global_load_dwordx4 v[47:50], v[71:72], off offset:272
	global_load_dwordx4 v[51:54], v[71:72], off offset:32
	global_load_dwordx4 v[55:58], v[67:68], off offset:32
	;; [unrolled: 4-line block ×3, first 2 shown]
	global_load_dwordx4 v[71:74], v[71:72], off offset:304
	s_add_u32 s0, s0, 64
	s_addc_u32 s1, s1, 0
	s_cmpk_eq_i32 s0, 0x100
	s_waitcnt vmcnt(10)
	v_fma_f64 v[16:17], v[27:28], v[31:32], v[16:17]
	v_fma_f64 v[10:11], v[29:30], v[31:32], v[10:11]
	s_waitcnt vmcnt(9)
	v_fma_f64 v[12:13], v[35:36], v[31:32], v[12:13]
	v_fma_f64 v[14:15], v[37:38], v[31:32], v[14:15]
	v_fma_f64 v[16:17], -v[29:30], v[33:34], v[16:17]
	v_fma_f64 v[10:11], v[27:28], v[33:34], v[10:11]
	v_fma_f64 v[12:13], -v[37:38], v[33:34], v[12:13]
	v_fma_f64 v[14:15], v[35:36], v[33:34], v[14:15]
	s_waitcnt vmcnt(7)
	v_fma_f64 v[16:17], v[39:40], v[43:44], v[16:17]
	v_fma_f64 v[10:11], v[41:42], v[43:44], v[10:11]
	s_waitcnt vmcnt(6)
	v_fma_f64 v[12:13], v[47:48], v[43:44], v[12:13]
	v_fma_f64 v[14:15], v[49:50], v[43:44], v[14:15]
	v_fma_f64 v[16:17], -v[41:42], v[45:46], v[16:17]
	v_fma_f64 v[10:11], v[39:40], v[45:46], v[10:11]
	v_fma_f64 v[12:13], -v[49:50], v[45:46], v[12:13]
	v_fma_f64 v[14:15], v[47:48], v[45:46], v[14:15]
	;; [unrolled: 10-line block ×4, first 2 shown]
	s_cbranch_scc0 .LBB302_16
; %bb.17:                               ;   in Loop: Header=BB302_15 Depth=1
	v_add_nc_u32_e32 v18, 64, v18
	v_add_nc_u32_e32 v20, 0x800, v20
	v_cmp_ge_i32_e32 vcc_lo, v18, v26
	s_or_b32 s6, vcc_lo, s6
	s_andn2_b32 exec_lo, exec_lo, s6
	s_cbranch_execnz .LBB302_15
; %bb.18:
	s_or_b32 exec_lo, exec_lo, s6
.LBB302_19:
	s_or_b32 exec_lo, exec_lo, s3
.LBB302_20:
	v_mbcnt_lo_u32_b32 v26, -1, 0
	v_or_b32_e32 v18, 32, v26
	v_cmp_gt_i32_e32 vcc_lo, 32, v18
	v_cndmask_b32_e32 v18, v26, v18, vcc_lo
	v_lshlrev_b32_e32 v25, 2, v18
	ds_bpermute_b32 v18, v25, v16
	ds_bpermute_b32 v19, v25, v17
	ds_bpermute_b32 v20, v25, v10
	ds_bpermute_b32 v21, v25, v11
	ds_bpermute_b32 v22, v25, v12
	ds_bpermute_b32 v23, v25, v13
	ds_bpermute_b32 v24, v25, v14
	ds_bpermute_b32 v25, v25, v15
	s_waitcnt lgkmcnt(6)
	v_add_f64 v[16:17], v[16:17], v[18:19]
	v_xor_b32_e32 v18, 16, v26
	s_waitcnt lgkmcnt(4)
	v_add_f64 v[10:11], v[10:11], v[20:21]
	s_waitcnt lgkmcnt(2)
	v_add_f64 v[12:13], v[12:13], v[22:23]
	s_waitcnt lgkmcnt(0)
	v_add_f64 v[14:15], v[14:15], v[24:25]
	v_cmp_gt_i32_e32 vcc_lo, 32, v18
	v_cndmask_b32_e32 v18, v26, v18, vcc_lo
	v_lshlrev_b32_e32 v25, 2, v18
	ds_bpermute_b32 v18, v25, v16
	ds_bpermute_b32 v19, v25, v17
	ds_bpermute_b32 v20, v25, v10
	ds_bpermute_b32 v21, v25, v11
	ds_bpermute_b32 v22, v25, v12
	ds_bpermute_b32 v23, v25, v13
	ds_bpermute_b32 v24, v25, v14
	ds_bpermute_b32 v25, v25, v15
	s_waitcnt lgkmcnt(6)
	v_add_f64 v[16:17], v[16:17], v[18:19]
	v_xor_b32_e32 v18, 8, v26
	s_waitcnt lgkmcnt(4)
	v_add_f64 v[10:11], v[10:11], v[20:21]
	s_waitcnt lgkmcnt(2)
	v_add_f64 v[12:13], v[12:13], v[22:23]
	s_waitcnt lgkmcnt(0)
	v_add_f64 v[14:15], v[14:15], v[24:25]
	;; [unrolled: 20-line block ×3, first 2 shown]
	v_cmp_gt_i32_e32 vcc_lo, 32, v18
	v_cndmask_b32_e32 v18, v26, v18, vcc_lo
	v_lshlrev_b32_e32 v25, 2, v18
	ds_bpermute_b32 v18, v25, v16
	ds_bpermute_b32 v19, v25, v17
	;; [unrolled: 1-line block ×8, first 2 shown]
	s_waitcnt lgkmcnt(6)
	v_add_f64 v[16:17], v[16:17], v[18:19]
	s_waitcnt lgkmcnt(4)
	v_add_f64 v[18:19], v[10:11], v[20:21]
	v_xor_b32_e32 v10, 2, v26
	s_waitcnt lgkmcnt(2)
	v_add_f64 v[12:13], v[12:13], v[22:23]
	s_waitcnt lgkmcnt(0)
	v_add_f64 v[14:15], v[14:15], v[24:25]
	v_cmp_gt_i32_e32 vcc_lo, 32, v10
	v_cndmask_b32_e32 v10, v26, v10, vcc_lo
	v_lshlrev_b32_e32 v25, 2, v10
	ds_bpermute_b32 v10, v25, v16
	ds_bpermute_b32 v11, v25, v17
	;; [unrolled: 1-line block ×8, first 2 shown]
	s_waitcnt lgkmcnt(6)
	v_add_f64 v[10:11], v[16:17], v[10:11]
	s_waitcnt lgkmcnt(4)
	v_add_f64 v[16:17], v[18:19], v[20:21]
	v_xor_b32_e32 v18, 1, v26
	s_waitcnt lgkmcnt(2)
	v_add_f64 v[12:13], v[12:13], v[22:23]
	s_waitcnt lgkmcnt(0)
	v_add_f64 v[14:15], v[14:15], v[24:25]
	v_cmp_gt_i32_e32 vcc_lo, 32, v18
	v_cndmask_b32_e32 v18, v26, v18, vcc_lo
	v_cmp_eq_u32_e32 vcc_lo, 63, v0
	v_lshlrev_b32_e32 v21, 2, v18
	ds_bpermute_b32 v24, v21, v10
	ds_bpermute_b32 v25, v21, v11
	;; [unrolled: 1-line block ×8, first 2 shown]
	s_and_b32 exec_lo, exec_lo, vcc_lo
	s_cbranch_execz .LBB302_25
; %bb.21:
	v_cmp_eq_f64_e32 vcc_lo, 0, v[5:6]
	v_cmp_eq_f64_e64 s0, 0, v[7:8]
	s_waitcnt lgkmcnt(6)
	v_add_f64 v[10:11], v[10:11], v[24:25]
	s_waitcnt lgkmcnt(4)
	v_add_f64 v[16:17], v[16:17], v[22:23]
	;; [unrolled: 2-line block ×4, first 2 shown]
	s_load_dwordx2 s[2:3], s[4:5], 0x48
	s_and_b32 s0, vcc_lo, s0
	s_and_saveexec_b32 s1, s0
	s_xor_b32 s0, exec_lo, s1
	s_cbranch_execz .LBB302_23
; %bb.22:
	v_mul_f64 v[5:6], v[16:17], -v[3:4]
	v_mul_f64 v[7:8], v[1:2], v[16:17]
	v_mul_f64 v[16:17], v[14:15], -v[3:4]
	v_mul_f64 v[14:15], v[1:2], v[14:15]
	v_lshlrev_b32_e32 v9, 1, v9
	v_fma_f64 v[5:6], v[1:2], v[10:11], v[5:6]
	v_fma_f64 v[7:8], v[3:4], v[10:11], v[7:8]
	;; [unrolled: 1-line block ×4, first 2 shown]
	v_ashrrev_i32_e32 v10, 31, v9
                                        ; implicit-def: $vgpr16_vgpr17
                                        ; implicit-def: $vgpr12_vgpr13
                                        ; implicit-def: $vgpr14_vgpr15
	v_lshlrev_b64 v[9:10], 4, v[9:10]
	s_waitcnt lgkmcnt(0)
	v_add_co_u32 v9, vcc_lo, s2, v9
	v_add_co_ci_u32_e64 v10, null, s3, v10, vcc_lo
	global_store_dwordx4 v[9:10], v[5:8], off
	global_store_dwordx4 v[9:10], v[0:3], off offset:16
                                        ; implicit-def: $vgpr9
                                        ; implicit-def: $vgpr10_vgpr11
                                        ; implicit-def: $vgpr7_vgpr8
                                        ; implicit-def: $vgpr3_vgpr4
.LBB302_23:
	s_andn2_saveexec_b32 s0, s0
	s_cbranch_execz .LBB302_25
; %bb.24:
	v_lshlrev_b32_e32 v18, 1, v9
	v_mul_f64 v[28:29], v[16:17], -v[3:4]
	v_mul_f64 v[16:17], v[1:2], v[16:17]
	v_mul_f64 v[30:31], v[14:15], -v[3:4]
	v_mul_f64 v[14:15], v[1:2], v[14:15]
	v_ashrrev_i32_e32 v19, 31, v18
	v_lshlrev_b64 v[18:19], 4, v[18:19]
	s_waitcnt lgkmcnt(0)
	v_add_co_u32 v26, vcc_lo, s2, v18
	v_add_co_ci_u32_e64 v27, null, s3, v19, vcc_lo
	s_clause 0x1
	global_load_dwordx4 v[18:21], v[26:27], off
	global_load_dwordx4 v[22:25], v[26:27], off offset:16
	v_fma_f64 v[28:29], v[1:2], v[10:11], v[28:29]
	v_fma_f64 v[9:10], v[3:4], v[10:11], v[16:17]
	;; [unrolled: 1-line block ×4, first 2 shown]
	s_waitcnt vmcnt(1)
	v_fma_f64 v[11:12], v[5:6], v[18:19], v[28:29]
	v_fma_f64 v[9:10], v[7:8], v[18:19], v[9:10]
	s_waitcnt vmcnt(0)
	v_fma_f64 v[13:14], v[5:6], v[22:23], v[0:1]
	v_fma_f64 v[15:16], v[7:8], v[22:23], v[2:3]
	v_fma_f64 v[0:1], -v[7:8], v[20:21], v[11:12]
	v_fma_f64 v[2:3], v[5:6], v[20:21], v[9:10]
	v_fma_f64 v[7:8], -v[7:8], v[24:25], v[13:14]
	v_fma_f64 v[9:10], v[5:6], v[24:25], v[15:16]
	global_store_dwordx4 v[26:27], v[0:3], off
	global_store_dwordx4 v[26:27], v[7:10], off offset:16
.LBB302_25:
	s_endpgm
	.section	.rodata,"a",@progbits
	.p2align	6, 0x0
	.amdhsa_kernel _ZN9rocsparseL19gebsrmvn_2xn_kernelILj128ELj16ELj64E21rocsparse_complex_numIdEEEvi20rocsparse_direction_NS_24const_host_device_scalarIT2_EEPKiS8_PKS5_SA_S6_PS5_21rocsparse_index_base_b
		.amdhsa_group_segment_fixed_size 0
		.amdhsa_private_segment_fixed_size 0
		.amdhsa_kernarg_size 88
		.amdhsa_user_sgpr_count 6
		.amdhsa_user_sgpr_private_segment_buffer 1
		.amdhsa_user_sgpr_dispatch_ptr 0
		.amdhsa_user_sgpr_queue_ptr 0
		.amdhsa_user_sgpr_kernarg_segment_ptr 1
		.amdhsa_user_sgpr_dispatch_id 0
		.amdhsa_user_sgpr_flat_scratch_init 0
		.amdhsa_user_sgpr_private_segment_size 0
		.amdhsa_wavefront_size32 1
		.amdhsa_uses_dynamic_stack 0
		.amdhsa_system_sgpr_private_segment_wavefront_offset 0
		.amdhsa_system_sgpr_workgroup_id_x 1
		.amdhsa_system_sgpr_workgroup_id_y 0
		.amdhsa_system_sgpr_workgroup_id_z 0
		.amdhsa_system_sgpr_workgroup_info 0
		.amdhsa_system_vgpr_workitem_id 0
		.amdhsa_next_free_vgpr 78
		.amdhsa_next_free_sgpr 16
		.amdhsa_reserve_vcc 1
		.amdhsa_reserve_flat_scratch 0
		.amdhsa_float_round_mode_32 0
		.amdhsa_float_round_mode_16_64 0
		.amdhsa_float_denorm_mode_32 3
		.amdhsa_float_denorm_mode_16_64 3
		.amdhsa_dx10_clamp 1
		.amdhsa_ieee_mode 1
		.amdhsa_fp16_overflow 0
		.amdhsa_workgroup_processor_mode 1
		.amdhsa_memory_ordered 1
		.amdhsa_forward_progress 1
		.amdhsa_shared_vgpr_count 0
		.amdhsa_exception_fp_ieee_invalid_op 0
		.amdhsa_exception_fp_denorm_src 0
		.amdhsa_exception_fp_ieee_div_zero 0
		.amdhsa_exception_fp_ieee_overflow 0
		.amdhsa_exception_fp_ieee_underflow 0
		.amdhsa_exception_fp_ieee_inexact 0
		.amdhsa_exception_int_div_zero 0
	.end_amdhsa_kernel
	.section	.text._ZN9rocsparseL19gebsrmvn_2xn_kernelILj128ELj16ELj64E21rocsparse_complex_numIdEEEvi20rocsparse_direction_NS_24const_host_device_scalarIT2_EEPKiS8_PKS5_SA_S6_PS5_21rocsparse_index_base_b,"axG",@progbits,_ZN9rocsparseL19gebsrmvn_2xn_kernelILj128ELj16ELj64E21rocsparse_complex_numIdEEEvi20rocsparse_direction_NS_24const_host_device_scalarIT2_EEPKiS8_PKS5_SA_S6_PS5_21rocsparse_index_base_b,comdat
.Lfunc_end302:
	.size	_ZN9rocsparseL19gebsrmvn_2xn_kernelILj128ELj16ELj64E21rocsparse_complex_numIdEEEvi20rocsparse_direction_NS_24const_host_device_scalarIT2_EEPKiS8_PKS5_SA_S6_PS5_21rocsparse_index_base_b, .Lfunc_end302-_ZN9rocsparseL19gebsrmvn_2xn_kernelILj128ELj16ELj64E21rocsparse_complex_numIdEEEvi20rocsparse_direction_NS_24const_host_device_scalarIT2_EEPKiS8_PKS5_SA_S6_PS5_21rocsparse_index_base_b
                                        ; -- End function
	.set _ZN9rocsparseL19gebsrmvn_2xn_kernelILj128ELj16ELj64E21rocsparse_complex_numIdEEEvi20rocsparse_direction_NS_24const_host_device_scalarIT2_EEPKiS8_PKS5_SA_S6_PS5_21rocsparse_index_base_b.num_vgpr, 78
	.set _ZN9rocsparseL19gebsrmvn_2xn_kernelILj128ELj16ELj64E21rocsparse_complex_numIdEEEvi20rocsparse_direction_NS_24const_host_device_scalarIT2_EEPKiS8_PKS5_SA_S6_PS5_21rocsparse_index_base_b.num_agpr, 0
	.set _ZN9rocsparseL19gebsrmvn_2xn_kernelILj128ELj16ELj64E21rocsparse_complex_numIdEEEvi20rocsparse_direction_NS_24const_host_device_scalarIT2_EEPKiS8_PKS5_SA_S6_PS5_21rocsparse_index_base_b.numbered_sgpr, 16
	.set _ZN9rocsparseL19gebsrmvn_2xn_kernelILj128ELj16ELj64E21rocsparse_complex_numIdEEEvi20rocsparse_direction_NS_24const_host_device_scalarIT2_EEPKiS8_PKS5_SA_S6_PS5_21rocsparse_index_base_b.num_named_barrier, 0
	.set _ZN9rocsparseL19gebsrmvn_2xn_kernelILj128ELj16ELj64E21rocsparse_complex_numIdEEEvi20rocsparse_direction_NS_24const_host_device_scalarIT2_EEPKiS8_PKS5_SA_S6_PS5_21rocsparse_index_base_b.private_seg_size, 0
	.set _ZN9rocsparseL19gebsrmvn_2xn_kernelILj128ELj16ELj64E21rocsparse_complex_numIdEEEvi20rocsparse_direction_NS_24const_host_device_scalarIT2_EEPKiS8_PKS5_SA_S6_PS5_21rocsparse_index_base_b.uses_vcc, 1
	.set _ZN9rocsparseL19gebsrmvn_2xn_kernelILj128ELj16ELj64E21rocsparse_complex_numIdEEEvi20rocsparse_direction_NS_24const_host_device_scalarIT2_EEPKiS8_PKS5_SA_S6_PS5_21rocsparse_index_base_b.uses_flat_scratch, 0
	.set _ZN9rocsparseL19gebsrmvn_2xn_kernelILj128ELj16ELj64E21rocsparse_complex_numIdEEEvi20rocsparse_direction_NS_24const_host_device_scalarIT2_EEPKiS8_PKS5_SA_S6_PS5_21rocsparse_index_base_b.has_dyn_sized_stack, 0
	.set _ZN9rocsparseL19gebsrmvn_2xn_kernelILj128ELj16ELj64E21rocsparse_complex_numIdEEEvi20rocsparse_direction_NS_24const_host_device_scalarIT2_EEPKiS8_PKS5_SA_S6_PS5_21rocsparse_index_base_b.has_recursion, 0
	.set _ZN9rocsparseL19gebsrmvn_2xn_kernelILj128ELj16ELj64E21rocsparse_complex_numIdEEEvi20rocsparse_direction_NS_24const_host_device_scalarIT2_EEPKiS8_PKS5_SA_S6_PS5_21rocsparse_index_base_b.has_indirect_call, 0
	.section	.AMDGPU.csdata,"",@progbits
; Kernel info:
; codeLenInByte = 2916
; TotalNumSgprs: 18
; NumVgprs: 78
; ScratchSize: 0
; MemoryBound: 1
; FloatMode: 240
; IeeeMode: 1
; LDSByteSize: 0 bytes/workgroup (compile time only)
; SGPRBlocks: 0
; VGPRBlocks: 9
; NumSGPRsForWavesPerEU: 18
; NumVGPRsForWavesPerEU: 78
; Occupancy: 12
; WaveLimiterHint : 1
; COMPUTE_PGM_RSRC2:SCRATCH_EN: 0
; COMPUTE_PGM_RSRC2:USER_SGPR: 6
; COMPUTE_PGM_RSRC2:TRAP_HANDLER: 0
; COMPUTE_PGM_RSRC2:TGID_X_EN: 1
; COMPUTE_PGM_RSRC2:TGID_Y_EN: 0
; COMPUTE_PGM_RSRC2:TGID_Z_EN: 0
; COMPUTE_PGM_RSRC2:TIDIG_COMP_CNT: 0
	.section	.text._ZN9rocsparseL23gebsrmvn_general_kernelILj32ELj32E21rocsparse_complex_numIdEEEvi20rocsparse_direction_NS_24const_host_device_scalarIT1_EEPKiS8_PKS5_iiSA_S6_PS5_21rocsparse_index_base_b,"axG",@progbits,_ZN9rocsparseL23gebsrmvn_general_kernelILj32ELj32E21rocsparse_complex_numIdEEEvi20rocsparse_direction_NS_24const_host_device_scalarIT1_EEPKiS8_PKS5_iiSA_S6_PS5_21rocsparse_index_base_b,comdat
	.globl	_ZN9rocsparseL23gebsrmvn_general_kernelILj32ELj32E21rocsparse_complex_numIdEEEvi20rocsparse_direction_NS_24const_host_device_scalarIT1_EEPKiS8_PKS5_iiSA_S6_PS5_21rocsparse_index_base_b ; -- Begin function _ZN9rocsparseL23gebsrmvn_general_kernelILj32ELj32E21rocsparse_complex_numIdEEEvi20rocsparse_direction_NS_24const_host_device_scalarIT1_EEPKiS8_PKS5_iiSA_S6_PS5_21rocsparse_index_base_b
	.p2align	8
	.type	_ZN9rocsparseL23gebsrmvn_general_kernelILj32ELj32E21rocsparse_complex_numIdEEEvi20rocsparse_direction_NS_24const_host_device_scalarIT1_EEPKiS8_PKS5_iiSA_S6_PS5_21rocsparse_index_base_b,@function
_ZN9rocsparseL23gebsrmvn_general_kernelILj32ELj32E21rocsparse_complex_numIdEEEvi20rocsparse_direction_NS_24const_host_device_scalarIT1_EEPKiS8_PKS5_iiSA_S6_PS5_21rocsparse_index_base_b: ; @_ZN9rocsparseL23gebsrmvn_general_kernelILj32ELj32E21rocsparse_complex_numIdEEEvi20rocsparse_direction_NS_24const_host_device_scalarIT1_EEPKiS8_PKS5_iiSA_S6_PS5_21rocsparse_index_base_b
; %bb.0:
	s_clause 0x1
	s_load_dwordx2 s[12:13], s[4:5], 0x58
	s_load_dwordx2 s[0:1], s[4:5], 0x8
	s_add_u32 s7, s4, 8
	s_addc_u32 s8, s5, 0
	s_add_u32 s9, s4, 64
	s_addc_u32 s10, s5, 0
	s_load_dwordx2 s[2:3], s[4:5], 0x40
	s_waitcnt lgkmcnt(0)
	s_bitcmp1_b32 s13, 0
	s_cselect_b32 s0, s7, s0
	s_cselect_b32 s1, s8, s1
	v_mov_b32_e32 v1, s0
	v_mov_b32_e32 v2, s1
	s_cselect_b32 s0, s9, s2
	s_cselect_b32 s1, s10, s3
	v_mov_b32_e32 v5, s0
	v_mov_b32_e32 v6, s1
	flat_load_dwordx4 v[1:4], v[1:2]
	flat_load_dwordx4 v[5:8], v[5:6]
	s_waitcnt vmcnt(1) lgkmcnt(1)
	v_cmp_eq_f64_e32 vcc_lo, 0, v[1:2]
	v_cmp_eq_f64_e64 s0, 0, v[3:4]
	s_and_b32 s2, vcc_lo, s0
	s_mov_b32 s0, -1
	s_and_saveexec_b32 s1, s2
	s_cbranch_execz .LBB303_2
; %bb.1:
	s_waitcnt vmcnt(0) lgkmcnt(0)
	v_cmp_neq_f64_e32 vcc_lo, 1.0, v[5:6]
	v_cmp_neq_f64_e64 s0, 0, v[7:8]
	s_or_b32 s0, vcc_lo, s0
	s_orn2_b32 s0, s0, exec_lo
.LBB303_2:
	s_or_b32 exec_lo, exec_lo, s1
	s_and_saveexec_b32 s1, s0
	s_cbranch_execz .LBB303_22
; %bb.3:
	s_load_dwordx2 s[14:15], s[4:5], 0x30
	s_mov_b32 s13, 0
	s_waitcnt lgkmcnt(0)
	s_cmp_gt_i32 s14, 0
	s_cselect_b32 s0, -1, 0
	s_and_b32 exec_lo, exec_lo, s0
	s_cbranch_execz .LBB303_22
; %bb.4:
	s_clause 0x3
	s_load_dwordx4 s[8:11], s[4:5], 0x18
	s_load_dwordx2 s[16:17], s[4:5], 0x50
	s_load_dwordx2 s[18:19], s[4:5], 0x28
	;; [unrolled: 1-line block ×3, first 2 shown]
	v_mbcnt_lo_u32_b32 v9, -1, 0
	s_ashr_i32 s7, s6, 31
	s_load_dword s22, s[4:5], 0x4
	s_lshl_b64 s[4:5], s[6:7], 2
	s_waitcnt vmcnt(0)
	v_cmp_eq_f64_e32 vcc_lo, 0, v[5:6]
	v_xor_b32_e32 v10, 16, v9
	v_xor_b32_e32 v11, 8, v9
	;; [unrolled: 1-line block ×4, first 2 shown]
	v_cmp_eq_f64_e64 s2, 0, v[7:8]
	v_cmp_gt_i32_e64 s3, 32, v10
	v_xor_b32_e32 v15, 1, v9
	v_mov_b32_e32 v13, 0
	v_cmp_gt_i32_e64 s0, s15, v0
	v_cmp_eq_u32_e64 s1, 31, v0
	v_cndmask_b32_e64 v10, v9, v10, s3
	s_waitcnt lgkmcnt(0)
	s_add_u32 s4, s8, s4
	s_addc_u32 s5, s9, s5
	v_cmp_gt_i32_e64 s3, 32, v11
	s_load_dwordx2 s[8:9], s[4:5], 0x0
	v_lshlrev_b32_e32 v18, 2, v10
	s_mul_i32 s6, s14, s6
	v_cndmask_b32_e64 v11, v9, v11, s3
	v_cmp_gt_i32_e64 s3, 32, v12
	v_lshlrev_b32_e32 v19, 2, v11
	v_cndmask_b32_e64 v12, v9, v12, s3
	v_cmp_gt_i32_e64 s3, 32, v14
	v_lshlrev_b32_e32 v20, 2, v12
	v_cndmask_b32_e64 v14, v9, v14, s3
	v_cmp_gt_i32_e64 s3, 32, v15
	s_waitcnt lgkmcnt(0)
	s_sub_i32 s4, s8, s12
	s_sub_i32 s5, s9, s12
	v_cndmask_b32_e64 v9, v9, v15, s3
	s_mul_i32 s3, s14, s4
	s_cmp_lt_i32 s8, s9
	s_mul_i32 s3, s15, s3
	v_lshlrev_b32_e32 v21, 2, v14
	v_lshlrev_b32_e32 v22, 2, v9
	v_mov_b32_e32 v23, s3
	s_cselect_b32 s7, -1, 0
	s_cmp_lg_u32 s22, 0
	s_mul_i32 s22, s15, s14
	s_cselect_b32 s8, -1, 0
	s_and_b32 s9, vcc_lo, s2
	s_branch .LBB303_6
.LBB303_5:                              ;   in Loop: Header=BB303_6 Depth=1
	s_or_b32 exec_lo, exec_lo, s2
	v_add_nc_u32_e32 v13, 1, v13
	v_add_nc_u32_e32 v23, s15, v23
	v_cmp_le_i32_e32 vcc_lo, s14, v13
	s_or_b32 s13, vcc_lo, s13
	s_andn2_b32 exec_lo, exec_lo, s13
	s_cbranch_execz .LBB303_22
.LBB303_6:                              ; =>This Loop Header: Depth=1
                                        ;     Child Loop BB303_10 Depth 2
                                        ;       Child Loop BB303_13 Depth 3
	v_mov_b32_e32 v9, 0
	v_mov_b32_e32 v11, 0
	;; [unrolled: 1-line block ×4, first 2 shown]
	s_andn2_b32 vcc_lo, exec_lo, s7
	s_cbranch_vccnz .LBB303_17
; %bb.7:                                ;   in Loop: Header=BB303_6 Depth=1
	v_mov_b32_e32 v9, 0
	v_mov_b32_e32 v11, 0
	;; [unrolled: 1-line block ×4, first 2 shown]
	s_waitcnt lgkmcnt(1)
	v_mov_b32_e32 v16, v23
	s_mov_b32 s2, s4
	s_branch .LBB303_10
.LBB303_8:                              ;   in Loop: Header=BB303_10 Depth=2
	s_inst_prefetch 0x2
	s_or_b32 exec_lo, exec_lo, s24
.LBB303_9:                              ;   in Loop: Header=BB303_10 Depth=2
	s_or_b32 exec_lo, exec_lo, s23
	v_add_nc_u32_e32 v16, s22, v16
	s_add_i32 s2, s2, 1
	s_cmp_ge_i32 s2, s5
	s_cbranch_scc1 .LBB303_17
.LBB303_10:                             ;   Parent Loop BB303_6 Depth=1
                                        ; =>  This Loop Header: Depth=2
                                        ;       Child Loop BB303_13 Depth 3
	s_and_saveexec_b32 s23, s0
	s_cbranch_execz .LBB303_9
; %bb.11:                               ;   in Loop: Header=BB303_10 Depth=2
	s_ashr_i32 s3, s2, 31
	s_waitcnt lgkmcnt(0)
	v_mov_b32_e32 v17, v0
	s_lshl_b64 s[24:25], s[2:3], 2
	s_add_u32 s24, s10, s24
	s_addc_u32 s25, s11, s25
	s_load_dword s3, s[24:25], 0x0
	s_mov_b32 s24, 0
	s_waitcnt lgkmcnt(0)
	s_sub_i32 s25, s3, s12
	s_mul_i32 s3, s2, s15
	s_mul_i32 s25, s25, s15
	s_inst_prefetch 0x1
	s_branch .LBB303_13
	.p2align	6
.LBB303_12:                             ;   in Loop: Header=BB303_13 Depth=3
	v_add_nc_u32_e32 v24, s25, v17
	v_ashrrev_i32_e32 v15, 31, v14
	v_add_nc_u32_e32 v17, 32, v17
	v_ashrrev_i32_e32 v25, 31, v24
	v_lshlrev_b64 v[14:15], 4, v[14:15]
	v_lshlrev_b64 v[24:25], 4, v[24:25]
	v_add_co_u32 v14, vcc_lo, s18, v14
	v_add_co_ci_u32_e64 v15, null, s19, v15, vcc_lo
	v_add_co_u32 v28, vcc_lo, s20, v24
	v_add_co_ci_u32_e64 v29, null, s21, v25, vcc_lo
	v_cmp_le_i32_e32 vcc_lo, s15, v17
	global_load_dwordx4 v[24:27], v[14:15], off
	global_load_dwordx4 v[28:31], v[28:29], off
	s_or_b32 s24, vcc_lo, s24
	s_waitcnt vmcnt(0)
	v_fma_f64 v[11:12], v[24:25], v[28:29], v[11:12]
	v_fma_f64 v[9:10], v[26:27], v[28:29], v[9:10]
	v_fma_f64 v[11:12], -v[26:27], v[30:31], v[11:12]
	v_fma_f64 v[9:10], v[24:25], v[30:31], v[9:10]
	s_andn2_b32 exec_lo, exec_lo, s24
	s_cbranch_execz .LBB303_8
.LBB303_13:                             ;   Parent Loop BB303_6 Depth=1
                                        ;     Parent Loop BB303_10 Depth=2
                                        ; =>    This Inner Loop Header: Depth=3
	s_and_b32 vcc_lo, exec_lo, s8
	s_cbranch_vccz .LBB303_15
; %bb.14:                               ;   in Loop: Header=BB303_13 Depth=3
	v_add_nc_u32_e32 v14, s3, v17
	v_mad_u64_u32 v[14:15], null, v14, s14, v[13:14]
	s_cbranch_execnz .LBB303_12
	s_branch .LBB303_16
.LBB303_15:                             ;   in Loop: Header=BB303_13 Depth=3
                                        ; implicit-def: $vgpr14
.LBB303_16:                             ;   in Loop: Header=BB303_13 Depth=3
	v_add_nc_u32_e32 v14, v16, v17
	s_branch .LBB303_12
.LBB303_17:                             ;   in Loop: Header=BB303_6 Depth=1
	s_waitcnt lgkmcnt(3)
	ds_bpermute_b32 v14, v18, v11
	s_waitcnt lgkmcnt(3)
	ds_bpermute_b32 v15, v18, v12
	;; [unrolled: 2-line block ×4, first 2 shown]
	s_waitcnt lgkmcnt(2)
	v_add_f64 v[11:12], v[11:12], v[14:15]
	s_waitcnt lgkmcnt(0)
	v_add_f64 v[9:10], v[9:10], v[16:17]
	ds_bpermute_b32 v14, v19, v11
	ds_bpermute_b32 v15, v19, v12
	ds_bpermute_b32 v16, v19, v9
	ds_bpermute_b32 v17, v19, v10
	s_waitcnt lgkmcnt(2)
	v_add_f64 v[11:12], v[11:12], v[14:15]
	s_waitcnt lgkmcnt(0)
	v_add_f64 v[9:10], v[9:10], v[16:17]
	ds_bpermute_b32 v14, v20, v11
	ds_bpermute_b32 v15, v20, v12
	ds_bpermute_b32 v16, v20, v9
	ds_bpermute_b32 v17, v20, v10
	;; [unrolled: 8-line block ×4, first 2 shown]
	s_and_saveexec_b32 s2, s1
	s_cbranch_execz .LBB303_5
; %bb.18:                               ;   in Loop: Header=BB303_6 Depth=1
	s_waitcnt lgkmcnt(0)
	v_add_f64 v[11:12], v[11:12], v[16:17]
	v_add_f64 v[14:15], v[9:10], v[14:15]
	v_mul_f64 v[9:10], v[11:12], -v[3:4]
	v_mul_f64 v[11:12], v[1:2], v[11:12]
	v_fma_f64 v[9:10], v[1:2], v[14:15], v[9:10]
	v_fma_f64 v[11:12], v[3:4], v[14:15], v[11:12]
	v_add_nc_u32_e32 v14, s6, v13
	v_ashrrev_i32_e32 v15, 31, v14
	s_and_saveexec_b32 s3, s9
	s_xor_b32 s3, exec_lo, s3
	s_cbranch_execz .LBB303_20
; %bb.19:                               ;   in Loop: Header=BB303_6 Depth=1
	v_lshlrev_b64 v[14:15], 4, v[14:15]
	v_add_co_u32 v14, vcc_lo, s16, v14
	v_add_co_ci_u32_e64 v15, null, s17, v15, vcc_lo
	global_store_dwordx4 v[14:15], v[9:12], off
                                        ; implicit-def: $vgpr14
                                        ; implicit-def: $vgpr9_vgpr10
.LBB303_20:                             ;   in Loop: Header=BB303_6 Depth=1
	s_andn2_saveexec_b32 s3, s3
	s_cbranch_execz .LBB303_5
; %bb.21:                               ;   in Loop: Header=BB303_6 Depth=1
	v_lshlrev_b64 v[14:15], 4, v[14:15]
	v_add_co_u32 v24, vcc_lo, s16, v14
	v_add_co_ci_u32_e64 v25, null, s17, v15, vcc_lo
	global_load_dwordx4 v[14:17], v[24:25], off
	s_waitcnt vmcnt(0)
	v_fma_f64 v[9:10], v[5:6], v[14:15], v[9:10]
	v_fma_f64 v[11:12], v[7:8], v[14:15], v[11:12]
	v_fma_f64 v[9:10], -v[7:8], v[16:17], v[9:10]
	v_fma_f64 v[11:12], v[5:6], v[16:17], v[11:12]
	global_store_dwordx4 v[24:25], v[9:12], off
	s_branch .LBB303_5
.LBB303_22:
	s_endpgm
	.section	.rodata,"a",@progbits
	.p2align	6, 0x0
	.amdhsa_kernel _ZN9rocsparseL23gebsrmvn_general_kernelILj32ELj32E21rocsparse_complex_numIdEEEvi20rocsparse_direction_NS_24const_host_device_scalarIT1_EEPKiS8_PKS5_iiSA_S6_PS5_21rocsparse_index_base_b
		.amdhsa_group_segment_fixed_size 0
		.amdhsa_private_segment_fixed_size 0
		.amdhsa_kernarg_size 96
		.amdhsa_user_sgpr_count 6
		.amdhsa_user_sgpr_private_segment_buffer 1
		.amdhsa_user_sgpr_dispatch_ptr 0
		.amdhsa_user_sgpr_queue_ptr 0
		.amdhsa_user_sgpr_kernarg_segment_ptr 1
		.amdhsa_user_sgpr_dispatch_id 0
		.amdhsa_user_sgpr_flat_scratch_init 0
		.amdhsa_user_sgpr_private_segment_size 0
		.amdhsa_wavefront_size32 1
		.amdhsa_uses_dynamic_stack 0
		.amdhsa_system_sgpr_private_segment_wavefront_offset 0
		.amdhsa_system_sgpr_workgroup_id_x 1
		.amdhsa_system_sgpr_workgroup_id_y 0
		.amdhsa_system_sgpr_workgroup_id_z 0
		.amdhsa_system_sgpr_workgroup_info 0
		.amdhsa_system_vgpr_workitem_id 0
		.amdhsa_next_free_vgpr 32
		.amdhsa_next_free_sgpr 26
		.amdhsa_reserve_vcc 1
		.amdhsa_reserve_flat_scratch 0
		.amdhsa_float_round_mode_32 0
		.amdhsa_float_round_mode_16_64 0
		.amdhsa_float_denorm_mode_32 3
		.amdhsa_float_denorm_mode_16_64 3
		.amdhsa_dx10_clamp 1
		.amdhsa_ieee_mode 1
		.amdhsa_fp16_overflow 0
		.amdhsa_workgroup_processor_mode 1
		.amdhsa_memory_ordered 1
		.amdhsa_forward_progress 1
		.amdhsa_shared_vgpr_count 0
		.amdhsa_exception_fp_ieee_invalid_op 0
		.amdhsa_exception_fp_denorm_src 0
		.amdhsa_exception_fp_ieee_div_zero 0
		.amdhsa_exception_fp_ieee_overflow 0
		.amdhsa_exception_fp_ieee_underflow 0
		.amdhsa_exception_fp_ieee_inexact 0
		.amdhsa_exception_int_div_zero 0
	.end_amdhsa_kernel
	.section	.text._ZN9rocsparseL23gebsrmvn_general_kernelILj32ELj32E21rocsparse_complex_numIdEEEvi20rocsparse_direction_NS_24const_host_device_scalarIT1_EEPKiS8_PKS5_iiSA_S6_PS5_21rocsparse_index_base_b,"axG",@progbits,_ZN9rocsparseL23gebsrmvn_general_kernelILj32ELj32E21rocsparse_complex_numIdEEEvi20rocsparse_direction_NS_24const_host_device_scalarIT1_EEPKiS8_PKS5_iiSA_S6_PS5_21rocsparse_index_base_b,comdat
.Lfunc_end303:
	.size	_ZN9rocsparseL23gebsrmvn_general_kernelILj32ELj32E21rocsparse_complex_numIdEEEvi20rocsparse_direction_NS_24const_host_device_scalarIT1_EEPKiS8_PKS5_iiSA_S6_PS5_21rocsparse_index_base_b, .Lfunc_end303-_ZN9rocsparseL23gebsrmvn_general_kernelILj32ELj32E21rocsparse_complex_numIdEEEvi20rocsparse_direction_NS_24const_host_device_scalarIT1_EEPKiS8_PKS5_iiSA_S6_PS5_21rocsparse_index_base_b
                                        ; -- End function
	.set _ZN9rocsparseL23gebsrmvn_general_kernelILj32ELj32E21rocsparse_complex_numIdEEEvi20rocsparse_direction_NS_24const_host_device_scalarIT1_EEPKiS8_PKS5_iiSA_S6_PS5_21rocsparse_index_base_b.num_vgpr, 32
	.set _ZN9rocsparseL23gebsrmvn_general_kernelILj32ELj32E21rocsparse_complex_numIdEEEvi20rocsparse_direction_NS_24const_host_device_scalarIT1_EEPKiS8_PKS5_iiSA_S6_PS5_21rocsparse_index_base_b.num_agpr, 0
	.set _ZN9rocsparseL23gebsrmvn_general_kernelILj32ELj32E21rocsparse_complex_numIdEEEvi20rocsparse_direction_NS_24const_host_device_scalarIT1_EEPKiS8_PKS5_iiSA_S6_PS5_21rocsparse_index_base_b.numbered_sgpr, 26
	.set _ZN9rocsparseL23gebsrmvn_general_kernelILj32ELj32E21rocsparse_complex_numIdEEEvi20rocsparse_direction_NS_24const_host_device_scalarIT1_EEPKiS8_PKS5_iiSA_S6_PS5_21rocsparse_index_base_b.num_named_barrier, 0
	.set _ZN9rocsparseL23gebsrmvn_general_kernelILj32ELj32E21rocsparse_complex_numIdEEEvi20rocsparse_direction_NS_24const_host_device_scalarIT1_EEPKiS8_PKS5_iiSA_S6_PS5_21rocsparse_index_base_b.private_seg_size, 0
	.set _ZN9rocsparseL23gebsrmvn_general_kernelILj32ELj32E21rocsparse_complex_numIdEEEvi20rocsparse_direction_NS_24const_host_device_scalarIT1_EEPKiS8_PKS5_iiSA_S6_PS5_21rocsparse_index_base_b.uses_vcc, 1
	.set _ZN9rocsparseL23gebsrmvn_general_kernelILj32ELj32E21rocsparse_complex_numIdEEEvi20rocsparse_direction_NS_24const_host_device_scalarIT1_EEPKiS8_PKS5_iiSA_S6_PS5_21rocsparse_index_base_b.uses_flat_scratch, 0
	.set _ZN9rocsparseL23gebsrmvn_general_kernelILj32ELj32E21rocsparse_complex_numIdEEEvi20rocsparse_direction_NS_24const_host_device_scalarIT1_EEPKiS8_PKS5_iiSA_S6_PS5_21rocsparse_index_base_b.has_dyn_sized_stack, 0
	.set _ZN9rocsparseL23gebsrmvn_general_kernelILj32ELj32E21rocsparse_complex_numIdEEEvi20rocsparse_direction_NS_24const_host_device_scalarIT1_EEPKiS8_PKS5_iiSA_S6_PS5_21rocsparse_index_base_b.has_recursion, 0
	.set _ZN9rocsparseL23gebsrmvn_general_kernelILj32ELj32E21rocsparse_complex_numIdEEEvi20rocsparse_direction_NS_24const_host_device_scalarIT1_EEPKiS8_PKS5_iiSA_S6_PS5_21rocsparse_index_base_b.has_indirect_call, 0
	.section	.AMDGPU.csdata,"",@progbits
; Kernel info:
; codeLenInByte = 1348
; TotalNumSgprs: 28
; NumVgprs: 32
; ScratchSize: 0
; MemoryBound: 0
; FloatMode: 240
; IeeeMode: 1
; LDSByteSize: 0 bytes/workgroup (compile time only)
; SGPRBlocks: 0
; VGPRBlocks: 3
; NumSGPRsForWavesPerEU: 28
; NumVGPRsForWavesPerEU: 32
; Occupancy: 16
; WaveLimiterHint : 1
; COMPUTE_PGM_RSRC2:SCRATCH_EN: 0
; COMPUTE_PGM_RSRC2:USER_SGPR: 6
; COMPUTE_PGM_RSRC2:TRAP_HANDLER: 0
; COMPUTE_PGM_RSRC2:TGID_X_EN: 1
; COMPUTE_PGM_RSRC2:TGID_Y_EN: 0
; COMPUTE_PGM_RSRC2:TGID_Z_EN: 0
; COMPUTE_PGM_RSRC2:TIDIG_COMP_CNT: 0
	.section	.AMDGPU.gpr_maximums,"",@progbits
	.set amdgpu.max_num_vgpr, 0
	.set amdgpu.max_num_agpr, 0
	.set amdgpu.max_num_sgpr, 0
	.section	.AMDGPU.csdata,"",@progbits
	.type	__hip_cuid_887de2e1414001a,@object ; @__hip_cuid_887de2e1414001a
	.section	.bss,"aw",@nobits
	.globl	__hip_cuid_887de2e1414001a
__hip_cuid_887de2e1414001a:
	.byte	0                               ; 0x0
	.size	__hip_cuid_887de2e1414001a, 1

	.ident	"AMD clang version 22.0.0git (https://github.com/RadeonOpenCompute/llvm-project roc-7.2.4 26084 f58b06dce1f9c15707c5f808fd002e18c2accf7e)"
	.section	".note.GNU-stack","",@progbits
	.addrsig
	.addrsig_sym __hip_cuid_887de2e1414001a
	.amdgpu_metadata
---
amdhsa.kernels:
  - .args:
      - .offset:         0
        .size:           4
        .value_kind:     by_value
      - .offset:         4
        .size:           4
        .value_kind:     by_value
      - .offset:         8
        .size:           8
        .value_kind:     by_value
      - .actual_access:  read_only
        .address_space:  global
        .offset:         16
        .size:           8
        .value_kind:     global_buffer
      - .actual_access:  read_only
        .address_space:  global
        .offset:         24
        .size:           8
        .value_kind:     global_buffer
      - .actual_access:  read_only
        .address_space:  global
        .offset:         32
        .size:           8
        .value_kind:     global_buffer
      - .actual_access:  read_only
        .address_space:  global
        .offset:         40
        .size:           8
        .value_kind:     global_buffer
      - .offset:         48
        .size:           8
        .value_kind:     by_value
      - .address_space:  global
        .offset:         56
        .size:           8
        .value_kind:     global_buffer
      - .offset:         64
        .size:           4
        .value_kind:     by_value
      - .offset:         68
        .size:           1
        .value_kind:     by_value
    .group_segment_fixed_size: 0
    .kernarg_segment_align: 8
    .kernarg_segment_size: 72
    .language:       OpenCL C
    .language_version:
      - 2
      - 0
    .max_flat_workgroup_size: 128
    .name:           _ZN9rocsparseL19gebsrmvn_2xn_kernelILj128ELj1ELj4EfEEvi20rocsparse_direction_NS_24const_host_device_scalarIT2_EEPKiS6_PKS3_S8_S4_PS3_21rocsparse_index_base_b
    .private_segment_fixed_size: 0
    .sgpr_count:     22
    .sgpr_spill_count: 0
    .symbol:         _ZN9rocsparseL19gebsrmvn_2xn_kernelILj128ELj1ELj4EfEEvi20rocsparse_direction_NS_24const_host_device_scalarIT2_EEPKiS6_PKS3_S8_S4_PS3_21rocsparse_index_base_b.kd
    .uniform_work_group_size: 1
    .uses_dynamic_stack: false
    .vgpr_count:     14
    .vgpr_spill_count: 0
    .wavefront_size: 32
    .workgroup_processor_mode: 1
  - .args:
      - .offset:         0
        .size:           4
        .value_kind:     by_value
      - .offset:         4
        .size:           4
        .value_kind:     by_value
      - .offset:         8
        .size:           8
        .value_kind:     by_value
      - .actual_access:  read_only
        .address_space:  global
        .offset:         16
        .size:           8
        .value_kind:     global_buffer
      - .actual_access:  read_only
        .address_space:  global
        .offset:         24
        .size:           8
        .value_kind:     global_buffer
      - .actual_access:  read_only
        .address_space:  global
        .offset:         32
        .size:           8
        .value_kind:     global_buffer
      - .actual_access:  read_only
        .address_space:  global
        .offset:         40
        .size:           8
        .value_kind:     global_buffer
      - .offset:         48
        .size:           8
        .value_kind:     by_value
      - .address_space:  global
        .offset:         56
        .size:           8
        .value_kind:     global_buffer
      - .offset:         64
        .size:           4
        .value_kind:     by_value
      - .offset:         68
        .size:           1
        .value_kind:     by_value
    .group_segment_fixed_size: 0
    .kernarg_segment_align: 8
    .kernarg_segment_size: 72
    .language:       OpenCL C
    .language_version:
      - 2
      - 0
    .max_flat_workgroup_size: 128
    .name:           _ZN9rocsparseL19gebsrmvn_2xn_kernelILj128ELj1ELj8EfEEvi20rocsparse_direction_NS_24const_host_device_scalarIT2_EEPKiS6_PKS3_S8_S4_PS3_21rocsparse_index_base_b
    .private_segment_fixed_size: 0
    .sgpr_count:     22
    .sgpr_spill_count: 0
    .symbol:         _ZN9rocsparseL19gebsrmvn_2xn_kernelILj128ELj1ELj8EfEEvi20rocsparse_direction_NS_24const_host_device_scalarIT2_EEPKiS6_PKS3_S8_S4_PS3_21rocsparse_index_base_b.kd
    .uniform_work_group_size: 1
    .uses_dynamic_stack: false
    .vgpr_count:     14
    .vgpr_spill_count: 0
    .wavefront_size: 32
    .workgroup_processor_mode: 1
  - .args:
      - .offset:         0
        .size:           4
        .value_kind:     by_value
      - .offset:         4
        .size:           4
        .value_kind:     by_value
      - .offset:         8
        .size:           8
        .value_kind:     by_value
      - .actual_access:  read_only
        .address_space:  global
        .offset:         16
        .size:           8
        .value_kind:     global_buffer
      - .actual_access:  read_only
        .address_space:  global
        .offset:         24
        .size:           8
        .value_kind:     global_buffer
      - .actual_access:  read_only
        .address_space:  global
        .offset:         32
        .size:           8
        .value_kind:     global_buffer
      - .actual_access:  read_only
        .address_space:  global
        .offset:         40
        .size:           8
        .value_kind:     global_buffer
      - .offset:         48
        .size:           8
        .value_kind:     by_value
      - .address_space:  global
        .offset:         56
        .size:           8
        .value_kind:     global_buffer
      - .offset:         64
        .size:           4
        .value_kind:     by_value
      - .offset:         68
        .size:           1
        .value_kind:     by_value
    .group_segment_fixed_size: 0
    .kernarg_segment_align: 8
    .kernarg_segment_size: 72
    .language:       OpenCL C
    .language_version:
      - 2
      - 0
    .max_flat_workgroup_size: 128
    .name:           _ZN9rocsparseL19gebsrmvn_2xn_kernelILj128ELj1ELj16EfEEvi20rocsparse_direction_NS_24const_host_device_scalarIT2_EEPKiS6_PKS3_S8_S4_PS3_21rocsparse_index_base_b
    .private_segment_fixed_size: 0
    .sgpr_count:     22
    .sgpr_spill_count: 0
    .symbol:         _ZN9rocsparseL19gebsrmvn_2xn_kernelILj128ELj1ELj16EfEEvi20rocsparse_direction_NS_24const_host_device_scalarIT2_EEPKiS6_PKS3_S8_S4_PS3_21rocsparse_index_base_b.kd
    .uniform_work_group_size: 1
    .uses_dynamic_stack: false
    .vgpr_count:     14
    .vgpr_spill_count: 0
    .wavefront_size: 32
    .workgroup_processor_mode: 1
  - .args:
      - .offset:         0
        .size:           4
        .value_kind:     by_value
      - .offset:         4
        .size:           4
        .value_kind:     by_value
      - .offset:         8
        .size:           8
        .value_kind:     by_value
      - .actual_access:  read_only
        .address_space:  global
        .offset:         16
        .size:           8
        .value_kind:     global_buffer
      - .actual_access:  read_only
        .address_space:  global
        .offset:         24
        .size:           8
        .value_kind:     global_buffer
      - .actual_access:  read_only
        .address_space:  global
        .offset:         32
        .size:           8
        .value_kind:     global_buffer
      - .actual_access:  read_only
        .address_space:  global
        .offset:         40
        .size:           8
        .value_kind:     global_buffer
      - .offset:         48
        .size:           8
        .value_kind:     by_value
      - .address_space:  global
        .offset:         56
        .size:           8
        .value_kind:     global_buffer
      - .offset:         64
        .size:           4
        .value_kind:     by_value
      - .offset:         68
        .size:           1
        .value_kind:     by_value
    .group_segment_fixed_size: 0
    .kernarg_segment_align: 8
    .kernarg_segment_size: 72
    .language:       OpenCL C
    .language_version:
      - 2
      - 0
    .max_flat_workgroup_size: 128
    .name:           _ZN9rocsparseL19gebsrmvn_2xn_kernelILj128ELj1ELj32EfEEvi20rocsparse_direction_NS_24const_host_device_scalarIT2_EEPKiS6_PKS3_S8_S4_PS3_21rocsparse_index_base_b
    .private_segment_fixed_size: 0
    .sgpr_count:     22
    .sgpr_spill_count: 0
    .symbol:         _ZN9rocsparseL19gebsrmvn_2xn_kernelILj128ELj1ELj32EfEEvi20rocsparse_direction_NS_24const_host_device_scalarIT2_EEPKiS6_PKS3_S8_S4_PS3_21rocsparse_index_base_b.kd
    .uniform_work_group_size: 1
    .uses_dynamic_stack: false
    .vgpr_count:     14
    .vgpr_spill_count: 0
    .wavefront_size: 32
    .workgroup_processor_mode: 1
  - .args:
      - .offset:         0
        .size:           4
        .value_kind:     by_value
      - .offset:         4
        .size:           4
        .value_kind:     by_value
      - .offset:         8
        .size:           8
        .value_kind:     by_value
      - .actual_access:  read_only
        .address_space:  global
        .offset:         16
        .size:           8
        .value_kind:     global_buffer
      - .actual_access:  read_only
        .address_space:  global
        .offset:         24
        .size:           8
        .value_kind:     global_buffer
      - .actual_access:  read_only
        .address_space:  global
        .offset:         32
        .size:           8
        .value_kind:     global_buffer
      - .actual_access:  read_only
        .address_space:  global
        .offset:         40
        .size:           8
        .value_kind:     global_buffer
      - .offset:         48
        .size:           8
        .value_kind:     by_value
      - .address_space:  global
        .offset:         56
        .size:           8
        .value_kind:     global_buffer
      - .offset:         64
        .size:           4
        .value_kind:     by_value
      - .offset:         68
        .size:           1
        .value_kind:     by_value
    .group_segment_fixed_size: 0
    .kernarg_segment_align: 8
    .kernarg_segment_size: 72
    .language:       OpenCL C
    .language_version:
      - 2
      - 0
    .max_flat_workgroup_size: 128
    .name:           _ZN9rocsparseL19gebsrmvn_2xn_kernelILj128ELj1ELj64EfEEvi20rocsparse_direction_NS_24const_host_device_scalarIT2_EEPKiS6_PKS3_S8_S4_PS3_21rocsparse_index_base_b
    .private_segment_fixed_size: 0
    .sgpr_count:     22
    .sgpr_spill_count: 0
    .symbol:         _ZN9rocsparseL19gebsrmvn_2xn_kernelILj128ELj1ELj64EfEEvi20rocsparse_direction_NS_24const_host_device_scalarIT2_EEPKiS6_PKS3_S8_S4_PS3_21rocsparse_index_base_b.kd
    .uniform_work_group_size: 1
    .uses_dynamic_stack: false
    .vgpr_count:     14
    .vgpr_spill_count: 0
    .wavefront_size: 32
    .workgroup_processor_mode: 1
  - .args:
      - .offset:         0
        .size:           4
        .value_kind:     by_value
      - .offset:         4
        .size:           4
        .value_kind:     by_value
      - .offset:         8
        .size:           8
        .value_kind:     by_value
      - .actual_access:  read_only
        .address_space:  global
        .offset:         16
        .size:           8
        .value_kind:     global_buffer
      - .actual_access:  read_only
        .address_space:  global
        .offset:         24
        .size:           8
        .value_kind:     global_buffer
      - .actual_access:  read_only
        .address_space:  global
        .offset:         32
        .size:           8
        .value_kind:     global_buffer
      - .actual_access:  read_only
        .address_space:  global
        .offset:         40
        .size:           8
        .value_kind:     global_buffer
      - .offset:         48
        .size:           8
        .value_kind:     by_value
      - .address_space:  global
        .offset:         56
        .size:           8
        .value_kind:     global_buffer
      - .offset:         64
        .size:           4
        .value_kind:     by_value
      - .offset:         68
        .size:           1
        .value_kind:     by_value
    .group_segment_fixed_size: 0
    .kernarg_segment_align: 8
    .kernarg_segment_size: 72
    .language:       OpenCL C
    .language_version:
      - 2
      - 0
    .max_flat_workgroup_size: 128
    .name:           _ZN9rocsparseL19gebsrmvn_2xn_kernelILj128ELj3ELj4EfEEvi20rocsparse_direction_NS_24const_host_device_scalarIT2_EEPKiS6_PKS3_S8_S4_PS3_21rocsparse_index_base_b
    .private_segment_fixed_size: 0
    .sgpr_count:     22
    .sgpr_spill_count: 0
    .symbol:         _ZN9rocsparseL19gebsrmvn_2xn_kernelILj128ELj3ELj4EfEEvi20rocsparse_direction_NS_24const_host_device_scalarIT2_EEPKiS6_PKS3_S8_S4_PS3_21rocsparse_index_base_b.kd
    .uniform_work_group_size: 1
    .uses_dynamic_stack: false
    .vgpr_count:     25
    .vgpr_spill_count: 0
    .wavefront_size: 32
    .workgroup_processor_mode: 1
  - .args:
      - .offset:         0
        .size:           4
        .value_kind:     by_value
      - .offset:         4
        .size:           4
        .value_kind:     by_value
      - .offset:         8
        .size:           8
        .value_kind:     by_value
      - .actual_access:  read_only
        .address_space:  global
        .offset:         16
        .size:           8
        .value_kind:     global_buffer
      - .actual_access:  read_only
        .address_space:  global
        .offset:         24
        .size:           8
        .value_kind:     global_buffer
      - .actual_access:  read_only
        .address_space:  global
        .offset:         32
        .size:           8
        .value_kind:     global_buffer
      - .actual_access:  read_only
        .address_space:  global
        .offset:         40
        .size:           8
        .value_kind:     global_buffer
      - .offset:         48
        .size:           8
        .value_kind:     by_value
      - .address_space:  global
        .offset:         56
        .size:           8
        .value_kind:     global_buffer
      - .offset:         64
        .size:           4
        .value_kind:     by_value
      - .offset:         68
        .size:           1
        .value_kind:     by_value
    .group_segment_fixed_size: 0
    .kernarg_segment_align: 8
    .kernarg_segment_size: 72
    .language:       OpenCL C
    .language_version:
      - 2
      - 0
    .max_flat_workgroup_size: 128
    .name:           _ZN9rocsparseL19gebsrmvn_2xn_kernelILj128ELj3ELj8EfEEvi20rocsparse_direction_NS_24const_host_device_scalarIT2_EEPKiS6_PKS3_S8_S4_PS3_21rocsparse_index_base_b
    .private_segment_fixed_size: 0
    .sgpr_count:     22
    .sgpr_spill_count: 0
    .symbol:         _ZN9rocsparseL19gebsrmvn_2xn_kernelILj128ELj3ELj8EfEEvi20rocsparse_direction_NS_24const_host_device_scalarIT2_EEPKiS6_PKS3_S8_S4_PS3_21rocsparse_index_base_b.kd
    .uniform_work_group_size: 1
    .uses_dynamic_stack: false
    .vgpr_count:     25
    .vgpr_spill_count: 0
    .wavefront_size: 32
    .workgroup_processor_mode: 1
  - .args:
      - .offset:         0
        .size:           4
        .value_kind:     by_value
      - .offset:         4
        .size:           4
        .value_kind:     by_value
      - .offset:         8
        .size:           8
        .value_kind:     by_value
      - .actual_access:  read_only
        .address_space:  global
        .offset:         16
        .size:           8
        .value_kind:     global_buffer
      - .actual_access:  read_only
        .address_space:  global
        .offset:         24
        .size:           8
        .value_kind:     global_buffer
      - .actual_access:  read_only
        .address_space:  global
        .offset:         32
        .size:           8
        .value_kind:     global_buffer
      - .actual_access:  read_only
        .address_space:  global
        .offset:         40
        .size:           8
        .value_kind:     global_buffer
      - .offset:         48
        .size:           8
        .value_kind:     by_value
      - .address_space:  global
        .offset:         56
        .size:           8
        .value_kind:     global_buffer
      - .offset:         64
        .size:           4
        .value_kind:     by_value
      - .offset:         68
        .size:           1
        .value_kind:     by_value
    .group_segment_fixed_size: 0
    .kernarg_segment_align: 8
    .kernarg_segment_size: 72
    .language:       OpenCL C
    .language_version:
      - 2
      - 0
    .max_flat_workgroup_size: 128
    .name:           _ZN9rocsparseL19gebsrmvn_2xn_kernelILj128ELj3ELj16EfEEvi20rocsparse_direction_NS_24const_host_device_scalarIT2_EEPKiS6_PKS3_S8_S4_PS3_21rocsparse_index_base_b
    .private_segment_fixed_size: 0
    .sgpr_count:     22
    .sgpr_spill_count: 0
    .symbol:         _ZN9rocsparseL19gebsrmvn_2xn_kernelILj128ELj3ELj16EfEEvi20rocsparse_direction_NS_24const_host_device_scalarIT2_EEPKiS6_PKS3_S8_S4_PS3_21rocsparse_index_base_b.kd
    .uniform_work_group_size: 1
    .uses_dynamic_stack: false
    .vgpr_count:     25
    .vgpr_spill_count: 0
    .wavefront_size: 32
    .workgroup_processor_mode: 1
  - .args:
      - .offset:         0
        .size:           4
        .value_kind:     by_value
      - .offset:         4
        .size:           4
        .value_kind:     by_value
      - .offset:         8
        .size:           8
        .value_kind:     by_value
      - .actual_access:  read_only
        .address_space:  global
        .offset:         16
        .size:           8
        .value_kind:     global_buffer
      - .actual_access:  read_only
        .address_space:  global
        .offset:         24
        .size:           8
        .value_kind:     global_buffer
      - .actual_access:  read_only
        .address_space:  global
        .offset:         32
        .size:           8
        .value_kind:     global_buffer
      - .actual_access:  read_only
        .address_space:  global
        .offset:         40
        .size:           8
        .value_kind:     global_buffer
      - .offset:         48
        .size:           8
        .value_kind:     by_value
      - .address_space:  global
        .offset:         56
        .size:           8
        .value_kind:     global_buffer
      - .offset:         64
        .size:           4
        .value_kind:     by_value
      - .offset:         68
        .size:           1
        .value_kind:     by_value
    .group_segment_fixed_size: 0
    .kernarg_segment_align: 8
    .kernarg_segment_size: 72
    .language:       OpenCL C
    .language_version:
      - 2
      - 0
    .max_flat_workgroup_size: 128
    .name:           _ZN9rocsparseL19gebsrmvn_2xn_kernelILj128ELj3ELj32EfEEvi20rocsparse_direction_NS_24const_host_device_scalarIT2_EEPKiS6_PKS3_S8_S4_PS3_21rocsparse_index_base_b
    .private_segment_fixed_size: 0
    .sgpr_count:     22
    .sgpr_spill_count: 0
    .symbol:         _ZN9rocsparseL19gebsrmvn_2xn_kernelILj128ELj3ELj32EfEEvi20rocsparse_direction_NS_24const_host_device_scalarIT2_EEPKiS6_PKS3_S8_S4_PS3_21rocsparse_index_base_b.kd
    .uniform_work_group_size: 1
    .uses_dynamic_stack: false
    .vgpr_count:     25
    .vgpr_spill_count: 0
    .wavefront_size: 32
    .workgroup_processor_mode: 1
  - .args:
      - .offset:         0
        .size:           4
        .value_kind:     by_value
      - .offset:         4
        .size:           4
        .value_kind:     by_value
      - .offset:         8
        .size:           8
        .value_kind:     by_value
      - .actual_access:  read_only
        .address_space:  global
        .offset:         16
        .size:           8
        .value_kind:     global_buffer
      - .actual_access:  read_only
        .address_space:  global
        .offset:         24
        .size:           8
        .value_kind:     global_buffer
      - .actual_access:  read_only
        .address_space:  global
        .offset:         32
        .size:           8
        .value_kind:     global_buffer
      - .actual_access:  read_only
        .address_space:  global
        .offset:         40
        .size:           8
        .value_kind:     global_buffer
      - .offset:         48
        .size:           8
        .value_kind:     by_value
      - .address_space:  global
        .offset:         56
        .size:           8
        .value_kind:     global_buffer
      - .offset:         64
        .size:           4
        .value_kind:     by_value
      - .offset:         68
        .size:           1
        .value_kind:     by_value
    .group_segment_fixed_size: 0
    .kernarg_segment_align: 8
    .kernarg_segment_size: 72
    .language:       OpenCL C
    .language_version:
      - 2
      - 0
    .max_flat_workgroup_size: 128
    .name:           _ZN9rocsparseL19gebsrmvn_2xn_kernelILj128ELj3ELj64EfEEvi20rocsparse_direction_NS_24const_host_device_scalarIT2_EEPKiS6_PKS3_S8_S4_PS3_21rocsparse_index_base_b
    .private_segment_fixed_size: 0
    .sgpr_count:     22
    .sgpr_spill_count: 0
    .symbol:         _ZN9rocsparseL19gebsrmvn_2xn_kernelILj128ELj3ELj64EfEEvi20rocsparse_direction_NS_24const_host_device_scalarIT2_EEPKiS6_PKS3_S8_S4_PS3_21rocsparse_index_base_b.kd
    .uniform_work_group_size: 1
    .uses_dynamic_stack: false
    .vgpr_count:     25
    .vgpr_spill_count: 0
    .wavefront_size: 32
    .workgroup_processor_mode: 1
  - .args:
      - .offset:         0
        .size:           4
        .value_kind:     by_value
      - .offset:         4
        .size:           4
        .value_kind:     by_value
      - .offset:         8
        .size:           8
        .value_kind:     by_value
      - .actual_access:  read_only
        .address_space:  global
        .offset:         16
        .size:           8
        .value_kind:     global_buffer
      - .actual_access:  read_only
        .address_space:  global
        .offset:         24
        .size:           8
        .value_kind:     global_buffer
      - .actual_access:  read_only
        .address_space:  global
        .offset:         32
        .size:           8
        .value_kind:     global_buffer
      - .actual_access:  read_only
        .address_space:  global
        .offset:         40
        .size:           8
        .value_kind:     global_buffer
      - .offset:         48
        .size:           8
        .value_kind:     by_value
      - .address_space:  global
        .offset:         56
        .size:           8
        .value_kind:     global_buffer
      - .offset:         64
        .size:           4
        .value_kind:     by_value
      - .offset:         68
        .size:           1
        .value_kind:     by_value
    .group_segment_fixed_size: 0
    .kernarg_segment_align: 8
    .kernarg_segment_size: 72
    .language:       OpenCL C
    .language_version:
      - 2
      - 0
    .max_flat_workgroup_size: 128
    .name:           _ZN9rocsparseL19gebsrmvn_2xn_kernelILj128ELj4ELj4EfEEvi20rocsparse_direction_NS_24const_host_device_scalarIT2_EEPKiS6_PKS3_S8_S4_PS3_21rocsparse_index_base_b
    .private_segment_fixed_size: 0
    .sgpr_count:     22
    .sgpr_spill_count: 0
    .symbol:         _ZN9rocsparseL19gebsrmvn_2xn_kernelILj128ELj4ELj4EfEEvi20rocsparse_direction_NS_24const_host_device_scalarIT2_EEPKiS6_PKS3_S8_S4_PS3_21rocsparse_index_base_b.kd
    .uniform_work_group_size: 1
    .uses_dynamic_stack: false
    .vgpr_count:     22
    .vgpr_spill_count: 0
    .wavefront_size: 32
    .workgroup_processor_mode: 1
  - .args:
      - .offset:         0
        .size:           4
        .value_kind:     by_value
      - .offset:         4
        .size:           4
        .value_kind:     by_value
      - .offset:         8
        .size:           8
        .value_kind:     by_value
      - .actual_access:  read_only
        .address_space:  global
        .offset:         16
        .size:           8
        .value_kind:     global_buffer
      - .actual_access:  read_only
        .address_space:  global
        .offset:         24
        .size:           8
        .value_kind:     global_buffer
      - .actual_access:  read_only
        .address_space:  global
        .offset:         32
        .size:           8
        .value_kind:     global_buffer
      - .actual_access:  read_only
        .address_space:  global
        .offset:         40
        .size:           8
        .value_kind:     global_buffer
      - .offset:         48
        .size:           8
        .value_kind:     by_value
      - .address_space:  global
        .offset:         56
        .size:           8
        .value_kind:     global_buffer
      - .offset:         64
        .size:           4
        .value_kind:     by_value
      - .offset:         68
        .size:           1
        .value_kind:     by_value
    .group_segment_fixed_size: 0
    .kernarg_segment_align: 8
    .kernarg_segment_size: 72
    .language:       OpenCL C
    .language_version:
      - 2
      - 0
    .max_flat_workgroup_size: 128
    .name:           _ZN9rocsparseL19gebsrmvn_2xn_kernelILj128ELj4ELj8EfEEvi20rocsparse_direction_NS_24const_host_device_scalarIT2_EEPKiS6_PKS3_S8_S4_PS3_21rocsparse_index_base_b
    .private_segment_fixed_size: 0
    .sgpr_count:     22
    .sgpr_spill_count: 0
    .symbol:         _ZN9rocsparseL19gebsrmvn_2xn_kernelILj128ELj4ELj8EfEEvi20rocsparse_direction_NS_24const_host_device_scalarIT2_EEPKiS6_PKS3_S8_S4_PS3_21rocsparse_index_base_b.kd
    .uniform_work_group_size: 1
    .uses_dynamic_stack: false
    .vgpr_count:     22
    .vgpr_spill_count: 0
    .wavefront_size: 32
    .workgroup_processor_mode: 1
  - .args:
      - .offset:         0
        .size:           4
        .value_kind:     by_value
      - .offset:         4
        .size:           4
        .value_kind:     by_value
      - .offset:         8
        .size:           8
        .value_kind:     by_value
      - .actual_access:  read_only
        .address_space:  global
        .offset:         16
        .size:           8
        .value_kind:     global_buffer
      - .actual_access:  read_only
        .address_space:  global
        .offset:         24
        .size:           8
        .value_kind:     global_buffer
      - .actual_access:  read_only
        .address_space:  global
        .offset:         32
        .size:           8
        .value_kind:     global_buffer
      - .actual_access:  read_only
        .address_space:  global
        .offset:         40
        .size:           8
        .value_kind:     global_buffer
      - .offset:         48
        .size:           8
        .value_kind:     by_value
      - .address_space:  global
        .offset:         56
        .size:           8
        .value_kind:     global_buffer
      - .offset:         64
        .size:           4
        .value_kind:     by_value
      - .offset:         68
        .size:           1
        .value_kind:     by_value
    .group_segment_fixed_size: 0
    .kernarg_segment_align: 8
    .kernarg_segment_size: 72
    .language:       OpenCL C
    .language_version:
      - 2
      - 0
    .max_flat_workgroup_size: 128
    .name:           _ZN9rocsparseL19gebsrmvn_2xn_kernelILj128ELj4ELj16EfEEvi20rocsparse_direction_NS_24const_host_device_scalarIT2_EEPKiS6_PKS3_S8_S4_PS3_21rocsparse_index_base_b
    .private_segment_fixed_size: 0
    .sgpr_count:     22
    .sgpr_spill_count: 0
    .symbol:         _ZN9rocsparseL19gebsrmvn_2xn_kernelILj128ELj4ELj16EfEEvi20rocsparse_direction_NS_24const_host_device_scalarIT2_EEPKiS6_PKS3_S8_S4_PS3_21rocsparse_index_base_b.kd
    .uniform_work_group_size: 1
    .uses_dynamic_stack: false
    .vgpr_count:     22
    .vgpr_spill_count: 0
    .wavefront_size: 32
    .workgroup_processor_mode: 1
  - .args:
      - .offset:         0
        .size:           4
        .value_kind:     by_value
      - .offset:         4
        .size:           4
        .value_kind:     by_value
      - .offset:         8
        .size:           8
        .value_kind:     by_value
      - .actual_access:  read_only
        .address_space:  global
        .offset:         16
        .size:           8
        .value_kind:     global_buffer
      - .actual_access:  read_only
        .address_space:  global
        .offset:         24
        .size:           8
        .value_kind:     global_buffer
      - .actual_access:  read_only
        .address_space:  global
        .offset:         32
        .size:           8
        .value_kind:     global_buffer
      - .actual_access:  read_only
        .address_space:  global
        .offset:         40
        .size:           8
        .value_kind:     global_buffer
      - .offset:         48
        .size:           8
        .value_kind:     by_value
      - .address_space:  global
        .offset:         56
        .size:           8
        .value_kind:     global_buffer
      - .offset:         64
        .size:           4
        .value_kind:     by_value
      - .offset:         68
        .size:           1
        .value_kind:     by_value
    .group_segment_fixed_size: 0
    .kernarg_segment_align: 8
    .kernarg_segment_size: 72
    .language:       OpenCL C
    .language_version:
      - 2
      - 0
    .max_flat_workgroup_size: 128
    .name:           _ZN9rocsparseL19gebsrmvn_2xn_kernelILj128ELj4ELj32EfEEvi20rocsparse_direction_NS_24const_host_device_scalarIT2_EEPKiS6_PKS3_S8_S4_PS3_21rocsparse_index_base_b
    .private_segment_fixed_size: 0
    .sgpr_count:     22
    .sgpr_spill_count: 0
    .symbol:         _ZN9rocsparseL19gebsrmvn_2xn_kernelILj128ELj4ELj32EfEEvi20rocsparse_direction_NS_24const_host_device_scalarIT2_EEPKiS6_PKS3_S8_S4_PS3_21rocsparse_index_base_b.kd
    .uniform_work_group_size: 1
    .uses_dynamic_stack: false
    .vgpr_count:     22
    .vgpr_spill_count: 0
    .wavefront_size: 32
    .workgroup_processor_mode: 1
  - .args:
      - .offset:         0
        .size:           4
        .value_kind:     by_value
      - .offset:         4
        .size:           4
        .value_kind:     by_value
      - .offset:         8
        .size:           8
        .value_kind:     by_value
      - .actual_access:  read_only
        .address_space:  global
        .offset:         16
        .size:           8
        .value_kind:     global_buffer
      - .actual_access:  read_only
        .address_space:  global
        .offset:         24
        .size:           8
        .value_kind:     global_buffer
      - .actual_access:  read_only
        .address_space:  global
        .offset:         32
        .size:           8
        .value_kind:     global_buffer
      - .actual_access:  read_only
        .address_space:  global
        .offset:         40
        .size:           8
        .value_kind:     global_buffer
      - .offset:         48
        .size:           8
        .value_kind:     by_value
      - .address_space:  global
        .offset:         56
        .size:           8
        .value_kind:     global_buffer
      - .offset:         64
        .size:           4
        .value_kind:     by_value
      - .offset:         68
        .size:           1
        .value_kind:     by_value
    .group_segment_fixed_size: 0
    .kernarg_segment_align: 8
    .kernarg_segment_size: 72
    .language:       OpenCL C
    .language_version:
      - 2
      - 0
    .max_flat_workgroup_size: 128
    .name:           _ZN9rocsparseL19gebsrmvn_2xn_kernelILj128ELj4ELj64EfEEvi20rocsparse_direction_NS_24const_host_device_scalarIT2_EEPKiS6_PKS3_S8_S4_PS3_21rocsparse_index_base_b
    .private_segment_fixed_size: 0
    .sgpr_count:     22
    .sgpr_spill_count: 0
    .symbol:         _ZN9rocsparseL19gebsrmvn_2xn_kernelILj128ELj4ELj64EfEEvi20rocsparse_direction_NS_24const_host_device_scalarIT2_EEPKiS6_PKS3_S8_S4_PS3_21rocsparse_index_base_b.kd
    .uniform_work_group_size: 1
    .uses_dynamic_stack: false
    .vgpr_count:     22
    .vgpr_spill_count: 0
    .wavefront_size: 32
    .workgroup_processor_mode: 1
  - .args:
      - .offset:         0
        .size:           4
        .value_kind:     by_value
      - .offset:         4
        .size:           4
        .value_kind:     by_value
      - .offset:         8
        .size:           8
        .value_kind:     by_value
      - .actual_access:  read_only
        .address_space:  global
        .offset:         16
        .size:           8
        .value_kind:     global_buffer
      - .actual_access:  read_only
        .address_space:  global
        .offset:         24
        .size:           8
        .value_kind:     global_buffer
      - .actual_access:  read_only
        .address_space:  global
        .offset:         32
        .size:           8
        .value_kind:     global_buffer
      - .actual_access:  read_only
        .address_space:  global
        .offset:         40
        .size:           8
        .value_kind:     global_buffer
      - .offset:         48
        .size:           8
        .value_kind:     by_value
      - .address_space:  global
        .offset:         56
        .size:           8
        .value_kind:     global_buffer
      - .offset:         64
        .size:           4
        .value_kind:     by_value
      - .offset:         68
        .size:           1
        .value_kind:     by_value
    .group_segment_fixed_size: 0
    .kernarg_segment_align: 8
    .kernarg_segment_size: 72
    .language:       OpenCL C
    .language_version:
      - 2
      - 0
    .max_flat_workgroup_size: 128
    .name:           _ZN9rocsparseL19gebsrmvn_2xn_kernelILj128ELj5ELj4EfEEvi20rocsparse_direction_NS_24const_host_device_scalarIT2_EEPKiS6_PKS3_S8_S4_PS3_21rocsparse_index_base_b
    .private_segment_fixed_size: 0
    .sgpr_count:     22
    .sgpr_spill_count: 0
    .symbol:         _ZN9rocsparseL19gebsrmvn_2xn_kernelILj128ELj5ELj4EfEEvi20rocsparse_direction_NS_24const_host_device_scalarIT2_EEPKiS6_PKS3_S8_S4_PS3_21rocsparse_index_base_b.kd
    .uniform_work_group_size: 1
    .uses_dynamic_stack: false
    .vgpr_count:     30
    .vgpr_spill_count: 0
    .wavefront_size: 32
    .workgroup_processor_mode: 1
  - .args:
      - .offset:         0
        .size:           4
        .value_kind:     by_value
      - .offset:         4
        .size:           4
        .value_kind:     by_value
      - .offset:         8
        .size:           8
        .value_kind:     by_value
      - .actual_access:  read_only
        .address_space:  global
        .offset:         16
        .size:           8
        .value_kind:     global_buffer
      - .actual_access:  read_only
        .address_space:  global
        .offset:         24
        .size:           8
        .value_kind:     global_buffer
      - .actual_access:  read_only
        .address_space:  global
        .offset:         32
        .size:           8
        .value_kind:     global_buffer
      - .actual_access:  read_only
        .address_space:  global
        .offset:         40
        .size:           8
        .value_kind:     global_buffer
      - .offset:         48
        .size:           8
        .value_kind:     by_value
      - .address_space:  global
        .offset:         56
        .size:           8
        .value_kind:     global_buffer
      - .offset:         64
        .size:           4
        .value_kind:     by_value
      - .offset:         68
        .size:           1
        .value_kind:     by_value
    .group_segment_fixed_size: 0
    .kernarg_segment_align: 8
    .kernarg_segment_size: 72
    .language:       OpenCL C
    .language_version:
      - 2
      - 0
    .max_flat_workgroup_size: 128
    .name:           _ZN9rocsparseL19gebsrmvn_2xn_kernelILj128ELj5ELj8EfEEvi20rocsparse_direction_NS_24const_host_device_scalarIT2_EEPKiS6_PKS3_S8_S4_PS3_21rocsparse_index_base_b
    .private_segment_fixed_size: 0
    .sgpr_count:     22
    .sgpr_spill_count: 0
    .symbol:         _ZN9rocsparseL19gebsrmvn_2xn_kernelILj128ELj5ELj8EfEEvi20rocsparse_direction_NS_24const_host_device_scalarIT2_EEPKiS6_PKS3_S8_S4_PS3_21rocsparse_index_base_b.kd
    .uniform_work_group_size: 1
    .uses_dynamic_stack: false
    .vgpr_count:     30
    .vgpr_spill_count: 0
    .wavefront_size: 32
    .workgroup_processor_mode: 1
  - .args:
      - .offset:         0
        .size:           4
        .value_kind:     by_value
      - .offset:         4
        .size:           4
        .value_kind:     by_value
      - .offset:         8
        .size:           8
        .value_kind:     by_value
      - .actual_access:  read_only
        .address_space:  global
        .offset:         16
        .size:           8
        .value_kind:     global_buffer
      - .actual_access:  read_only
        .address_space:  global
        .offset:         24
        .size:           8
        .value_kind:     global_buffer
      - .actual_access:  read_only
        .address_space:  global
        .offset:         32
        .size:           8
        .value_kind:     global_buffer
      - .actual_access:  read_only
        .address_space:  global
        .offset:         40
        .size:           8
        .value_kind:     global_buffer
      - .offset:         48
        .size:           8
        .value_kind:     by_value
      - .address_space:  global
        .offset:         56
        .size:           8
        .value_kind:     global_buffer
      - .offset:         64
        .size:           4
        .value_kind:     by_value
      - .offset:         68
        .size:           1
        .value_kind:     by_value
    .group_segment_fixed_size: 0
    .kernarg_segment_align: 8
    .kernarg_segment_size: 72
    .language:       OpenCL C
    .language_version:
      - 2
      - 0
    .max_flat_workgroup_size: 128
    .name:           _ZN9rocsparseL19gebsrmvn_2xn_kernelILj128ELj5ELj16EfEEvi20rocsparse_direction_NS_24const_host_device_scalarIT2_EEPKiS6_PKS3_S8_S4_PS3_21rocsparse_index_base_b
    .private_segment_fixed_size: 0
    .sgpr_count:     22
    .sgpr_spill_count: 0
    .symbol:         _ZN9rocsparseL19gebsrmvn_2xn_kernelILj128ELj5ELj16EfEEvi20rocsparse_direction_NS_24const_host_device_scalarIT2_EEPKiS6_PKS3_S8_S4_PS3_21rocsparse_index_base_b.kd
    .uniform_work_group_size: 1
    .uses_dynamic_stack: false
    .vgpr_count:     30
    .vgpr_spill_count: 0
    .wavefront_size: 32
    .workgroup_processor_mode: 1
  - .args:
      - .offset:         0
        .size:           4
        .value_kind:     by_value
      - .offset:         4
        .size:           4
        .value_kind:     by_value
      - .offset:         8
        .size:           8
        .value_kind:     by_value
      - .actual_access:  read_only
        .address_space:  global
        .offset:         16
        .size:           8
        .value_kind:     global_buffer
      - .actual_access:  read_only
        .address_space:  global
        .offset:         24
        .size:           8
        .value_kind:     global_buffer
      - .actual_access:  read_only
        .address_space:  global
        .offset:         32
        .size:           8
        .value_kind:     global_buffer
      - .actual_access:  read_only
        .address_space:  global
        .offset:         40
        .size:           8
        .value_kind:     global_buffer
      - .offset:         48
        .size:           8
        .value_kind:     by_value
      - .address_space:  global
        .offset:         56
        .size:           8
        .value_kind:     global_buffer
      - .offset:         64
        .size:           4
        .value_kind:     by_value
      - .offset:         68
        .size:           1
        .value_kind:     by_value
    .group_segment_fixed_size: 0
    .kernarg_segment_align: 8
    .kernarg_segment_size: 72
    .language:       OpenCL C
    .language_version:
      - 2
      - 0
    .max_flat_workgroup_size: 128
    .name:           _ZN9rocsparseL19gebsrmvn_2xn_kernelILj128ELj5ELj32EfEEvi20rocsparse_direction_NS_24const_host_device_scalarIT2_EEPKiS6_PKS3_S8_S4_PS3_21rocsparse_index_base_b
    .private_segment_fixed_size: 0
    .sgpr_count:     22
    .sgpr_spill_count: 0
    .symbol:         _ZN9rocsparseL19gebsrmvn_2xn_kernelILj128ELj5ELj32EfEEvi20rocsparse_direction_NS_24const_host_device_scalarIT2_EEPKiS6_PKS3_S8_S4_PS3_21rocsparse_index_base_b.kd
    .uniform_work_group_size: 1
    .uses_dynamic_stack: false
    .vgpr_count:     30
    .vgpr_spill_count: 0
    .wavefront_size: 32
    .workgroup_processor_mode: 1
  - .args:
      - .offset:         0
        .size:           4
        .value_kind:     by_value
      - .offset:         4
        .size:           4
        .value_kind:     by_value
      - .offset:         8
        .size:           8
        .value_kind:     by_value
      - .actual_access:  read_only
        .address_space:  global
        .offset:         16
        .size:           8
        .value_kind:     global_buffer
      - .actual_access:  read_only
        .address_space:  global
        .offset:         24
        .size:           8
        .value_kind:     global_buffer
      - .actual_access:  read_only
        .address_space:  global
        .offset:         32
        .size:           8
        .value_kind:     global_buffer
      - .actual_access:  read_only
        .address_space:  global
        .offset:         40
        .size:           8
        .value_kind:     global_buffer
      - .offset:         48
        .size:           8
        .value_kind:     by_value
      - .address_space:  global
        .offset:         56
        .size:           8
        .value_kind:     global_buffer
      - .offset:         64
        .size:           4
        .value_kind:     by_value
      - .offset:         68
        .size:           1
        .value_kind:     by_value
    .group_segment_fixed_size: 0
    .kernarg_segment_align: 8
    .kernarg_segment_size: 72
    .language:       OpenCL C
    .language_version:
      - 2
      - 0
    .max_flat_workgroup_size: 128
    .name:           _ZN9rocsparseL19gebsrmvn_2xn_kernelILj128ELj5ELj64EfEEvi20rocsparse_direction_NS_24const_host_device_scalarIT2_EEPKiS6_PKS3_S8_S4_PS3_21rocsparse_index_base_b
    .private_segment_fixed_size: 0
    .sgpr_count:     22
    .sgpr_spill_count: 0
    .symbol:         _ZN9rocsparseL19gebsrmvn_2xn_kernelILj128ELj5ELj64EfEEvi20rocsparse_direction_NS_24const_host_device_scalarIT2_EEPKiS6_PKS3_S8_S4_PS3_21rocsparse_index_base_b.kd
    .uniform_work_group_size: 1
    .uses_dynamic_stack: false
    .vgpr_count:     30
    .vgpr_spill_count: 0
    .wavefront_size: 32
    .workgroup_processor_mode: 1
  - .args:
      - .offset:         0
        .size:           4
        .value_kind:     by_value
      - .offset:         4
        .size:           4
        .value_kind:     by_value
      - .offset:         8
        .size:           8
        .value_kind:     by_value
      - .actual_access:  read_only
        .address_space:  global
        .offset:         16
        .size:           8
        .value_kind:     global_buffer
      - .actual_access:  read_only
        .address_space:  global
        .offset:         24
        .size:           8
        .value_kind:     global_buffer
      - .actual_access:  read_only
        .address_space:  global
        .offset:         32
        .size:           8
        .value_kind:     global_buffer
      - .actual_access:  read_only
        .address_space:  global
        .offset:         40
        .size:           8
        .value_kind:     global_buffer
      - .offset:         48
        .size:           8
        .value_kind:     by_value
      - .address_space:  global
        .offset:         56
        .size:           8
        .value_kind:     global_buffer
      - .offset:         64
        .size:           4
        .value_kind:     by_value
      - .offset:         68
        .size:           1
        .value_kind:     by_value
    .group_segment_fixed_size: 0
    .kernarg_segment_align: 8
    .kernarg_segment_size: 72
    .language:       OpenCL C
    .language_version:
      - 2
      - 0
    .max_flat_workgroup_size: 128
    .name:           _ZN9rocsparseL19gebsrmvn_2xn_kernelILj128ELj6ELj4EfEEvi20rocsparse_direction_NS_24const_host_device_scalarIT2_EEPKiS6_PKS3_S8_S4_PS3_21rocsparse_index_base_b
    .private_segment_fixed_size: 0
    .sgpr_count:     22
    .sgpr_spill_count: 0
    .symbol:         _ZN9rocsparseL19gebsrmvn_2xn_kernelILj128ELj6ELj4EfEEvi20rocsparse_direction_NS_24const_host_device_scalarIT2_EEPKiS6_PKS3_S8_S4_PS3_21rocsparse_index_base_b.kd
    .uniform_work_group_size: 1
    .uses_dynamic_stack: false
    .vgpr_count:     32
    .vgpr_spill_count: 0
    .wavefront_size: 32
    .workgroup_processor_mode: 1
  - .args:
      - .offset:         0
        .size:           4
        .value_kind:     by_value
      - .offset:         4
        .size:           4
        .value_kind:     by_value
      - .offset:         8
        .size:           8
        .value_kind:     by_value
      - .actual_access:  read_only
        .address_space:  global
        .offset:         16
        .size:           8
        .value_kind:     global_buffer
      - .actual_access:  read_only
        .address_space:  global
        .offset:         24
        .size:           8
        .value_kind:     global_buffer
      - .actual_access:  read_only
        .address_space:  global
        .offset:         32
        .size:           8
        .value_kind:     global_buffer
      - .actual_access:  read_only
        .address_space:  global
        .offset:         40
        .size:           8
        .value_kind:     global_buffer
      - .offset:         48
        .size:           8
        .value_kind:     by_value
      - .address_space:  global
        .offset:         56
        .size:           8
        .value_kind:     global_buffer
      - .offset:         64
        .size:           4
        .value_kind:     by_value
      - .offset:         68
        .size:           1
        .value_kind:     by_value
    .group_segment_fixed_size: 0
    .kernarg_segment_align: 8
    .kernarg_segment_size: 72
    .language:       OpenCL C
    .language_version:
      - 2
      - 0
    .max_flat_workgroup_size: 128
    .name:           _ZN9rocsparseL19gebsrmvn_2xn_kernelILj128ELj6ELj8EfEEvi20rocsparse_direction_NS_24const_host_device_scalarIT2_EEPKiS6_PKS3_S8_S4_PS3_21rocsparse_index_base_b
    .private_segment_fixed_size: 0
    .sgpr_count:     22
    .sgpr_spill_count: 0
    .symbol:         _ZN9rocsparseL19gebsrmvn_2xn_kernelILj128ELj6ELj8EfEEvi20rocsparse_direction_NS_24const_host_device_scalarIT2_EEPKiS6_PKS3_S8_S4_PS3_21rocsparse_index_base_b.kd
    .uniform_work_group_size: 1
    .uses_dynamic_stack: false
    .vgpr_count:     32
    .vgpr_spill_count: 0
    .wavefront_size: 32
    .workgroup_processor_mode: 1
  - .args:
      - .offset:         0
        .size:           4
        .value_kind:     by_value
      - .offset:         4
        .size:           4
        .value_kind:     by_value
      - .offset:         8
        .size:           8
        .value_kind:     by_value
      - .actual_access:  read_only
        .address_space:  global
        .offset:         16
        .size:           8
        .value_kind:     global_buffer
      - .actual_access:  read_only
        .address_space:  global
        .offset:         24
        .size:           8
        .value_kind:     global_buffer
      - .actual_access:  read_only
        .address_space:  global
        .offset:         32
        .size:           8
        .value_kind:     global_buffer
      - .actual_access:  read_only
        .address_space:  global
        .offset:         40
        .size:           8
        .value_kind:     global_buffer
      - .offset:         48
        .size:           8
        .value_kind:     by_value
      - .address_space:  global
        .offset:         56
        .size:           8
        .value_kind:     global_buffer
      - .offset:         64
        .size:           4
        .value_kind:     by_value
      - .offset:         68
        .size:           1
        .value_kind:     by_value
    .group_segment_fixed_size: 0
    .kernarg_segment_align: 8
    .kernarg_segment_size: 72
    .language:       OpenCL C
    .language_version:
      - 2
      - 0
    .max_flat_workgroup_size: 128
    .name:           _ZN9rocsparseL19gebsrmvn_2xn_kernelILj128ELj6ELj16EfEEvi20rocsparse_direction_NS_24const_host_device_scalarIT2_EEPKiS6_PKS3_S8_S4_PS3_21rocsparse_index_base_b
    .private_segment_fixed_size: 0
    .sgpr_count:     22
    .sgpr_spill_count: 0
    .symbol:         _ZN9rocsparseL19gebsrmvn_2xn_kernelILj128ELj6ELj16EfEEvi20rocsparse_direction_NS_24const_host_device_scalarIT2_EEPKiS6_PKS3_S8_S4_PS3_21rocsparse_index_base_b.kd
    .uniform_work_group_size: 1
    .uses_dynamic_stack: false
    .vgpr_count:     32
    .vgpr_spill_count: 0
    .wavefront_size: 32
    .workgroup_processor_mode: 1
  - .args:
      - .offset:         0
        .size:           4
        .value_kind:     by_value
      - .offset:         4
        .size:           4
        .value_kind:     by_value
      - .offset:         8
        .size:           8
        .value_kind:     by_value
      - .actual_access:  read_only
        .address_space:  global
        .offset:         16
        .size:           8
        .value_kind:     global_buffer
      - .actual_access:  read_only
        .address_space:  global
        .offset:         24
        .size:           8
        .value_kind:     global_buffer
      - .actual_access:  read_only
        .address_space:  global
        .offset:         32
        .size:           8
        .value_kind:     global_buffer
      - .actual_access:  read_only
        .address_space:  global
        .offset:         40
        .size:           8
        .value_kind:     global_buffer
      - .offset:         48
        .size:           8
        .value_kind:     by_value
      - .address_space:  global
        .offset:         56
        .size:           8
        .value_kind:     global_buffer
      - .offset:         64
        .size:           4
        .value_kind:     by_value
      - .offset:         68
        .size:           1
        .value_kind:     by_value
    .group_segment_fixed_size: 0
    .kernarg_segment_align: 8
    .kernarg_segment_size: 72
    .language:       OpenCL C
    .language_version:
      - 2
      - 0
    .max_flat_workgroup_size: 128
    .name:           _ZN9rocsparseL19gebsrmvn_2xn_kernelILj128ELj6ELj32EfEEvi20rocsparse_direction_NS_24const_host_device_scalarIT2_EEPKiS6_PKS3_S8_S4_PS3_21rocsparse_index_base_b
    .private_segment_fixed_size: 0
    .sgpr_count:     22
    .sgpr_spill_count: 0
    .symbol:         _ZN9rocsparseL19gebsrmvn_2xn_kernelILj128ELj6ELj32EfEEvi20rocsparse_direction_NS_24const_host_device_scalarIT2_EEPKiS6_PKS3_S8_S4_PS3_21rocsparse_index_base_b.kd
    .uniform_work_group_size: 1
    .uses_dynamic_stack: false
    .vgpr_count:     32
    .vgpr_spill_count: 0
    .wavefront_size: 32
    .workgroup_processor_mode: 1
  - .args:
      - .offset:         0
        .size:           4
        .value_kind:     by_value
      - .offset:         4
        .size:           4
        .value_kind:     by_value
      - .offset:         8
        .size:           8
        .value_kind:     by_value
      - .actual_access:  read_only
        .address_space:  global
        .offset:         16
        .size:           8
        .value_kind:     global_buffer
      - .actual_access:  read_only
        .address_space:  global
        .offset:         24
        .size:           8
        .value_kind:     global_buffer
      - .actual_access:  read_only
        .address_space:  global
        .offset:         32
        .size:           8
        .value_kind:     global_buffer
      - .actual_access:  read_only
        .address_space:  global
        .offset:         40
        .size:           8
        .value_kind:     global_buffer
      - .offset:         48
        .size:           8
        .value_kind:     by_value
      - .address_space:  global
        .offset:         56
        .size:           8
        .value_kind:     global_buffer
      - .offset:         64
        .size:           4
        .value_kind:     by_value
      - .offset:         68
        .size:           1
        .value_kind:     by_value
    .group_segment_fixed_size: 0
    .kernarg_segment_align: 8
    .kernarg_segment_size: 72
    .language:       OpenCL C
    .language_version:
      - 2
      - 0
    .max_flat_workgroup_size: 128
    .name:           _ZN9rocsparseL19gebsrmvn_2xn_kernelILj128ELj6ELj64EfEEvi20rocsparse_direction_NS_24const_host_device_scalarIT2_EEPKiS6_PKS3_S8_S4_PS3_21rocsparse_index_base_b
    .private_segment_fixed_size: 0
    .sgpr_count:     22
    .sgpr_spill_count: 0
    .symbol:         _ZN9rocsparseL19gebsrmvn_2xn_kernelILj128ELj6ELj64EfEEvi20rocsparse_direction_NS_24const_host_device_scalarIT2_EEPKiS6_PKS3_S8_S4_PS3_21rocsparse_index_base_b.kd
    .uniform_work_group_size: 1
    .uses_dynamic_stack: false
    .vgpr_count:     32
    .vgpr_spill_count: 0
    .wavefront_size: 32
    .workgroup_processor_mode: 1
  - .args:
      - .offset:         0
        .size:           4
        .value_kind:     by_value
      - .offset:         4
        .size:           4
        .value_kind:     by_value
      - .offset:         8
        .size:           8
        .value_kind:     by_value
      - .actual_access:  read_only
        .address_space:  global
        .offset:         16
        .size:           8
        .value_kind:     global_buffer
      - .actual_access:  read_only
        .address_space:  global
        .offset:         24
        .size:           8
        .value_kind:     global_buffer
      - .actual_access:  read_only
        .address_space:  global
        .offset:         32
        .size:           8
        .value_kind:     global_buffer
      - .actual_access:  read_only
        .address_space:  global
        .offset:         40
        .size:           8
        .value_kind:     global_buffer
      - .offset:         48
        .size:           8
        .value_kind:     by_value
      - .address_space:  global
        .offset:         56
        .size:           8
        .value_kind:     global_buffer
      - .offset:         64
        .size:           4
        .value_kind:     by_value
      - .offset:         68
        .size:           1
        .value_kind:     by_value
    .group_segment_fixed_size: 0
    .kernarg_segment_align: 8
    .kernarg_segment_size: 72
    .language:       OpenCL C
    .language_version:
      - 2
      - 0
    .max_flat_workgroup_size: 128
    .name:           _ZN9rocsparseL19gebsrmvn_2xn_kernelILj128ELj7ELj4EfEEvi20rocsparse_direction_NS_24const_host_device_scalarIT2_EEPKiS6_PKS3_S8_S4_PS3_21rocsparse_index_base_b
    .private_segment_fixed_size: 0
    .sgpr_count:     22
    .sgpr_spill_count: 0
    .symbol:         _ZN9rocsparseL19gebsrmvn_2xn_kernelILj128ELj7ELj4EfEEvi20rocsparse_direction_NS_24const_host_device_scalarIT2_EEPKiS6_PKS3_S8_S4_PS3_21rocsparse_index_base_b.kd
    .uniform_work_group_size: 1
    .uses_dynamic_stack: false
    .vgpr_count:     36
    .vgpr_spill_count: 0
    .wavefront_size: 32
    .workgroup_processor_mode: 1
  - .args:
      - .offset:         0
        .size:           4
        .value_kind:     by_value
      - .offset:         4
        .size:           4
        .value_kind:     by_value
      - .offset:         8
        .size:           8
        .value_kind:     by_value
      - .actual_access:  read_only
        .address_space:  global
        .offset:         16
        .size:           8
        .value_kind:     global_buffer
      - .actual_access:  read_only
        .address_space:  global
        .offset:         24
        .size:           8
        .value_kind:     global_buffer
      - .actual_access:  read_only
        .address_space:  global
        .offset:         32
        .size:           8
        .value_kind:     global_buffer
      - .actual_access:  read_only
        .address_space:  global
        .offset:         40
        .size:           8
        .value_kind:     global_buffer
      - .offset:         48
        .size:           8
        .value_kind:     by_value
      - .address_space:  global
        .offset:         56
        .size:           8
        .value_kind:     global_buffer
      - .offset:         64
        .size:           4
        .value_kind:     by_value
      - .offset:         68
        .size:           1
        .value_kind:     by_value
    .group_segment_fixed_size: 0
    .kernarg_segment_align: 8
    .kernarg_segment_size: 72
    .language:       OpenCL C
    .language_version:
      - 2
      - 0
    .max_flat_workgroup_size: 128
    .name:           _ZN9rocsparseL19gebsrmvn_2xn_kernelILj128ELj7ELj8EfEEvi20rocsparse_direction_NS_24const_host_device_scalarIT2_EEPKiS6_PKS3_S8_S4_PS3_21rocsparse_index_base_b
    .private_segment_fixed_size: 0
    .sgpr_count:     22
    .sgpr_spill_count: 0
    .symbol:         _ZN9rocsparseL19gebsrmvn_2xn_kernelILj128ELj7ELj8EfEEvi20rocsparse_direction_NS_24const_host_device_scalarIT2_EEPKiS6_PKS3_S8_S4_PS3_21rocsparse_index_base_b.kd
    .uniform_work_group_size: 1
    .uses_dynamic_stack: false
    .vgpr_count:     36
    .vgpr_spill_count: 0
    .wavefront_size: 32
    .workgroup_processor_mode: 1
  - .args:
      - .offset:         0
        .size:           4
        .value_kind:     by_value
      - .offset:         4
        .size:           4
        .value_kind:     by_value
      - .offset:         8
        .size:           8
        .value_kind:     by_value
      - .actual_access:  read_only
        .address_space:  global
        .offset:         16
        .size:           8
        .value_kind:     global_buffer
      - .actual_access:  read_only
        .address_space:  global
        .offset:         24
        .size:           8
        .value_kind:     global_buffer
      - .actual_access:  read_only
        .address_space:  global
        .offset:         32
        .size:           8
        .value_kind:     global_buffer
      - .actual_access:  read_only
        .address_space:  global
        .offset:         40
        .size:           8
        .value_kind:     global_buffer
      - .offset:         48
        .size:           8
        .value_kind:     by_value
      - .address_space:  global
        .offset:         56
        .size:           8
        .value_kind:     global_buffer
      - .offset:         64
        .size:           4
        .value_kind:     by_value
      - .offset:         68
        .size:           1
        .value_kind:     by_value
    .group_segment_fixed_size: 0
    .kernarg_segment_align: 8
    .kernarg_segment_size: 72
    .language:       OpenCL C
    .language_version:
      - 2
      - 0
    .max_flat_workgroup_size: 128
    .name:           _ZN9rocsparseL19gebsrmvn_2xn_kernelILj128ELj7ELj16EfEEvi20rocsparse_direction_NS_24const_host_device_scalarIT2_EEPKiS6_PKS3_S8_S4_PS3_21rocsparse_index_base_b
    .private_segment_fixed_size: 0
    .sgpr_count:     22
    .sgpr_spill_count: 0
    .symbol:         _ZN9rocsparseL19gebsrmvn_2xn_kernelILj128ELj7ELj16EfEEvi20rocsparse_direction_NS_24const_host_device_scalarIT2_EEPKiS6_PKS3_S8_S4_PS3_21rocsparse_index_base_b.kd
    .uniform_work_group_size: 1
    .uses_dynamic_stack: false
    .vgpr_count:     36
    .vgpr_spill_count: 0
    .wavefront_size: 32
    .workgroup_processor_mode: 1
  - .args:
      - .offset:         0
        .size:           4
        .value_kind:     by_value
      - .offset:         4
        .size:           4
        .value_kind:     by_value
      - .offset:         8
        .size:           8
        .value_kind:     by_value
      - .actual_access:  read_only
        .address_space:  global
        .offset:         16
        .size:           8
        .value_kind:     global_buffer
      - .actual_access:  read_only
        .address_space:  global
        .offset:         24
        .size:           8
        .value_kind:     global_buffer
      - .actual_access:  read_only
        .address_space:  global
        .offset:         32
        .size:           8
        .value_kind:     global_buffer
      - .actual_access:  read_only
        .address_space:  global
        .offset:         40
        .size:           8
        .value_kind:     global_buffer
      - .offset:         48
        .size:           8
        .value_kind:     by_value
      - .address_space:  global
        .offset:         56
        .size:           8
        .value_kind:     global_buffer
      - .offset:         64
        .size:           4
        .value_kind:     by_value
      - .offset:         68
        .size:           1
        .value_kind:     by_value
    .group_segment_fixed_size: 0
    .kernarg_segment_align: 8
    .kernarg_segment_size: 72
    .language:       OpenCL C
    .language_version:
      - 2
      - 0
    .max_flat_workgroup_size: 128
    .name:           _ZN9rocsparseL19gebsrmvn_2xn_kernelILj128ELj7ELj32EfEEvi20rocsparse_direction_NS_24const_host_device_scalarIT2_EEPKiS6_PKS3_S8_S4_PS3_21rocsparse_index_base_b
    .private_segment_fixed_size: 0
    .sgpr_count:     22
    .sgpr_spill_count: 0
    .symbol:         _ZN9rocsparseL19gebsrmvn_2xn_kernelILj128ELj7ELj32EfEEvi20rocsparse_direction_NS_24const_host_device_scalarIT2_EEPKiS6_PKS3_S8_S4_PS3_21rocsparse_index_base_b.kd
    .uniform_work_group_size: 1
    .uses_dynamic_stack: false
    .vgpr_count:     36
    .vgpr_spill_count: 0
    .wavefront_size: 32
    .workgroup_processor_mode: 1
  - .args:
      - .offset:         0
        .size:           4
        .value_kind:     by_value
      - .offset:         4
        .size:           4
        .value_kind:     by_value
      - .offset:         8
        .size:           8
        .value_kind:     by_value
      - .actual_access:  read_only
        .address_space:  global
        .offset:         16
        .size:           8
        .value_kind:     global_buffer
      - .actual_access:  read_only
        .address_space:  global
        .offset:         24
        .size:           8
        .value_kind:     global_buffer
      - .actual_access:  read_only
        .address_space:  global
        .offset:         32
        .size:           8
        .value_kind:     global_buffer
      - .actual_access:  read_only
        .address_space:  global
        .offset:         40
        .size:           8
        .value_kind:     global_buffer
      - .offset:         48
        .size:           8
        .value_kind:     by_value
      - .address_space:  global
        .offset:         56
        .size:           8
        .value_kind:     global_buffer
      - .offset:         64
        .size:           4
        .value_kind:     by_value
      - .offset:         68
        .size:           1
        .value_kind:     by_value
    .group_segment_fixed_size: 0
    .kernarg_segment_align: 8
    .kernarg_segment_size: 72
    .language:       OpenCL C
    .language_version:
      - 2
      - 0
    .max_flat_workgroup_size: 128
    .name:           _ZN9rocsparseL19gebsrmvn_2xn_kernelILj128ELj7ELj64EfEEvi20rocsparse_direction_NS_24const_host_device_scalarIT2_EEPKiS6_PKS3_S8_S4_PS3_21rocsparse_index_base_b
    .private_segment_fixed_size: 0
    .sgpr_count:     22
    .sgpr_spill_count: 0
    .symbol:         _ZN9rocsparseL19gebsrmvn_2xn_kernelILj128ELj7ELj64EfEEvi20rocsparse_direction_NS_24const_host_device_scalarIT2_EEPKiS6_PKS3_S8_S4_PS3_21rocsparse_index_base_b.kd
    .uniform_work_group_size: 1
    .uses_dynamic_stack: false
    .vgpr_count:     36
    .vgpr_spill_count: 0
    .wavefront_size: 32
    .workgroup_processor_mode: 1
  - .args:
      - .offset:         0
        .size:           4
        .value_kind:     by_value
      - .offset:         4
        .size:           4
        .value_kind:     by_value
      - .offset:         8
        .size:           8
        .value_kind:     by_value
      - .actual_access:  read_only
        .address_space:  global
        .offset:         16
        .size:           8
        .value_kind:     global_buffer
      - .actual_access:  read_only
        .address_space:  global
        .offset:         24
        .size:           8
        .value_kind:     global_buffer
      - .actual_access:  read_only
        .address_space:  global
        .offset:         32
        .size:           8
        .value_kind:     global_buffer
      - .actual_access:  read_only
        .address_space:  global
        .offset:         40
        .size:           8
        .value_kind:     global_buffer
      - .offset:         48
        .size:           8
        .value_kind:     by_value
      - .address_space:  global
        .offset:         56
        .size:           8
        .value_kind:     global_buffer
      - .offset:         64
        .size:           4
        .value_kind:     by_value
      - .offset:         68
        .size:           1
        .value_kind:     by_value
    .group_segment_fixed_size: 0
    .kernarg_segment_align: 8
    .kernarg_segment_size: 72
    .language:       OpenCL C
    .language_version:
      - 2
      - 0
    .max_flat_workgroup_size: 128
    .name:           _ZN9rocsparseL19gebsrmvn_2xn_kernelILj128ELj8ELj4EfEEvi20rocsparse_direction_NS_24const_host_device_scalarIT2_EEPKiS6_PKS3_S8_S4_PS3_21rocsparse_index_base_b
    .private_segment_fixed_size: 0
    .sgpr_count:     22
    .sgpr_spill_count: 0
    .symbol:         _ZN9rocsparseL19gebsrmvn_2xn_kernelILj128ELj8ELj4EfEEvi20rocsparse_direction_NS_24const_host_device_scalarIT2_EEPKiS6_PKS3_S8_S4_PS3_21rocsparse_index_base_b.kd
    .uniform_work_group_size: 1
    .uses_dynamic_stack: false
    .vgpr_count:     34
    .vgpr_spill_count: 0
    .wavefront_size: 32
    .workgroup_processor_mode: 1
  - .args:
      - .offset:         0
        .size:           4
        .value_kind:     by_value
      - .offset:         4
        .size:           4
        .value_kind:     by_value
      - .offset:         8
        .size:           8
        .value_kind:     by_value
      - .actual_access:  read_only
        .address_space:  global
        .offset:         16
        .size:           8
        .value_kind:     global_buffer
      - .actual_access:  read_only
        .address_space:  global
        .offset:         24
        .size:           8
        .value_kind:     global_buffer
      - .actual_access:  read_only
        .address_space:  global
        .offset:         32
        .size:           8
        .value_kind:     global_buffer
      - .actual_access:  read_only
        .address_space:  global
        .offset:         40
        .size:           8
        .value_kind:     global_buffer
      - .offset:         48
        .size:           8
        .value_kind:     by_value
      - .address_space:  global
        .offset:         56
        .size:           8
        .value_kind:     global_buffer
      - .offset:         64
        .size:           4
        .value_kind:     by_value
      - .offset:         68
        .size:           1
        .value_kind:     by_value
    .group_segment_fixed_size: 0
    .kernarg_segment_align: 8
    .kernarg_segment_size: 72
    .language:       OpenCL C
    .language_version:
      - 2
      - 0
    .max_flat_workgroup_size: 128
    .name:           _ZN9rocsparseL19gebsrmvn_2xn_kernelILj128ELj8ELj8EfEEvi20rocsparse_direction_NS_24const_host_device_scalarIT2_EEPKiS6_PKS3_S8_S4_PS3_21rocsparse_index_base_b
    .private_segment_fixed_size: 0
    .sgpr_count:     22
    .sgpr_spill_count: 0
    .symbol:         _ZN9rocsparseL19gebsrmvn_2xn_kernelILj128ELj8ELj8EfEEvi20rocsparse_direction_NS_24const_host_device_scalarIT2_EEPKiS6_PKS3_S8_S4_PS3_21rocsparse_index_base_b.kd
    .uniform_work_group_size: 1
    .uses_dynamic_stack: false
    .vgpr_count:     34
    .vgpr_spill_count: 0
    .wavefront_size: 32
    .workgroup_processor_mode: 1
  - .args:
      - .offset:         0
        .size:           4
        .value_kind:     by_value
      - .offset:         4
        .size:           4
        .value_kind:     by_value
      - .offset:         8
        .size:           8
        .value_kind:     by_value
      - .actual_access:  read_only
        .address_space:  global
        .offset:         16
        .size:           8
        .value_kind:     global_buffer
      - .actual_access:  read_only
        .address_space:  global
        .offset:         24
        .size:           8
        .value_kind:     global_buffer
      - .actual_access:  read_only
        .address_space:  global
        .offset:         32
        .size:           8
        .value_kind:     global_buffer
      - .actual_access:  read_only
        .address_space:  global
        .offset:         40
        .size:           8
        .value_kind:     global_buffer
      - .offset:         48
        .size:           8
        .value_kind:     by_value
      - .address_space:  global
        .offset:         56
        .size:           8
        .value_kind:     global_buffer
      - .offset:         64
        .size:           4
        .value_kind:     by_value
      - .offset:         68
        .size:           1
        .value_kind:     by_value
    .group_segment_fixed_size: 0
    .kernarg_segment_align: 8
    .kernarg_segment_size: 72
    .language:       OpenCL C
    .language_version:
      - 2
      - 0
    .max_flat_workgroup_size: 128
    .name:           _ZN9rocsparseL19gebsrmvn_2xn_kernelILj128ELj8ELj16EfEEvi20rocsparse_direction_NS_24const_host_device_scalarIT2_EEPKiS6_PKS3_S8_S4_PS3_21rocsparse_index_base_b
    .private_segment_fixed_size: 0
    .sgpr_count:     22
    .sgpr_spill_count: 0
    .symbol:         _ZN9rocsparseL19gebsrmvn_2xn_kernelILj128ELj8ELj16EfEEvi20rocsparse_direction_NS_24const_host_device_scalarIT2_EEPKiS6_PKS3_S8_S4_PS3_21rocsparse_index_base_b.kd
    .uniform_work_group_size: 1
    .uses_dynamic_stack: false
    .vgpr_count:     34
    .vgpr_spill_count: 0
    .wavefront_size: 32
    .workgroup_processor_mode: 1
  - .args:
      - .offset:         0
        .size:           4
        .value_kind:     by_value
      - .offset:         4
        .size:           4
        .value_kind:     by_value
      - .offset:         8
        .size:           8
        .value_kind:     by_value
      - .actual_access:  read_only
        .address_space:  global
        .offset:         16
        .size:           8
        .value_kind:     global_buffer
      - .actual_access:  read_only
        .address_space:  global
        .offset:         24
        .size:           8
        .value_kind:     global_buffer
      - .actual_access:  read_only
        .address_space:  global
        .offset:         32
        .size:           8
        .value_kind:     global_buffer
      - .actual_access:  read_only
        .address_space:  global
        .offset:         40
        .size:           8
        .value_kind:     global_buffer
      - .offset:         48
        .size:           8
        .value_kind:     by_value
      - .address_space:  global
        .offset:         56
        .size:           8
        .value_kind:     global_buffer
      - .offset:         64
        .size:           4
        .value_kind:     by_value
      - .offset:         68
        .size:           1
        .value_kind:     by_value
    .group_segment_fixed_size: 0
    .kernarg_segment_align: 8
    .kernarg_segment_size: 72
    .language:       OpenCL C
    .language_version:
      - 2
      - 0
    .max_flat_workgroup_size: 128
    .name:           _ZN9rocsparseL19gebsrmvn_2xn_kernelILj128ELj8ELj32EfEEvi20rocsparse_direction_NS_24const_host_device_scalarIT2_EEPKiS6_PKS3_S8_S4_PS3_21rocsparse_index_base_b
    .private_segment_fixed_size: 0
    .sgpr_count:     22
    .sgpr_spill_count: 0
    .symbol:         _ZN9rocsparseL19gebsrmvn_2xn_kernelILj128ELj8ELj32EfEEvi20rocsparse_direction_NS_24const_host_device_scalarIT2_EEPKiS6_PKS3_S8_S4_PS3_21rocsparse_index_base_b.kd
    .uniform_work_group_size: 1
    .uses_dynamic_stack: false
    .vgpr_count:     34
    .vgpr_spill_count: 0
    .wavefront_size: 32
    .workgroup_processor_mode: 1
  - .args:
      - .offset:         0
        .size:           4
        .value_kind:     by_value
      - .offset:         4
        .size:           4
        .value_kind:     by_value
      - .offset:         8
        .size:           8
        .value_kind:     by_value
      - .actual_access:  read_only
        .address_space:  global
        .offset:         16
        .size:           8
        .value_kind:     global_buffer
      - .actual_access:  read_only
        .address_space:  global
        .offset:         24
        .size:           8
        .value_kind:     global_buffer
      - .actual_access:  read_only
        .address_space:  global
        .offset:         32
        .size:           8
        .value_kind:     global_buffer
      - .actual_access:  read_only
        .address_space:  global
        .offset:         40
        .size:           8
        .value_kind:     global_buffer
      - .offset:         48
        .size:           8
        .value_kind:     by_value
      - .address_space:  global
        .offset:         56
        .size:           8
        .value_kind:     global_buffer
      - .offset:         64
        .size:           4
        .value_kind:     by_value
      - .offset:         68
        .size:           1
        .value_kind:     by_value
    .group_segment_fixed_size: 0
    .kernarg_segment_align: 8
    .kernarg_segment_size: 72
    .language:       OpenCL C
    .language_version:
      - 2
      - 0
    .max_flat_workgroup_size: 128
    .name:           _ZN9rocsparseL19gebsrmvn_2xn_kernelILj128ELj8ELj64EfEEvi20rocsparse_direction_NS_24const_host_device_scalarIT2_EEPKiS6_PKS3_S8_S4_PS3_21rocsparse_index_base_b
    .private_segment_fixed_size: 0
    .sgpr_count:     22
    .sgpr_spill_count: 0
    .symbol:         _ZN9rocsparseL19gebsrmvn_2xn_kernelILj128ELj8ELj64EfEEvi20rocsparse_direction_NS_24const_host_device_scalarIT2_EEPKiS6_PKS3_S8_S4_PS3_21rocsparse_index_base_b.kd
    .uniform_work_group_size: 1
    .uses_dynamic_stack: false
    .vgpr_count:     34
    .vgpr_spill_count: 0
    .wavefront_size: 32
    .workgroup_processor_mode: 1
  - .args:
      - .offset:         0
        .size:           4
        .value_kind:     by_value
      - .offset:         4
        .size:           4
        .value_kind:     by_value
      - .offset:         8
        .size:           8
        .value_kind:     by_value
      - .actual_access:  read_only
        .address_space:  global
        .offset:         16
        .size:           8
        .value_kind:     global_buffer
      - .actual_access:  read_only
        .address_space:  global
        .offset:         24
        .size:           8
        .value_kind:     global_buffer
      - .actual_access:  read_only
        .address_space:  global
        .offset:         32
        .size:           8
        .value_kind:     global_buffer
      - .actual_access:  read_only
        .address_space:  global
        .offset:         40
        .size:           8
        .value_kind:     global_buffer
      - .offset:         48
        .size:           8
        .value_kind:     by_value
      - .address_space:  global
        .offset:         56
        .size:           8
        .value_kind:     global_buffer
      - .offset:         64
        .size:           4
        .value_kind:     by_value
      - .offset:         68
        .size:           1
        .value_kind:     by_value
    .group_segment_fixed_size: 0
    .kernarg_segment_align: 8
    .kernarg_segment_size: 72
    .language:       OpenCL C
    .language_version:
      - 2
      - 0
    .max_flat_workgroup_size: 128
    .name:           _ZN9rocsparseL19gebsrmvn_2xn_kernelILj128ELj9ELj4EfEEvi20rocsparse_direction_NS_24const_host_device_scalarIT2_EEPKiS6_PKS3_S8_S4_PS3_21rocsparse_index_base_b
    .private_segment_fixed_size: 0
    .sgpr_count:     22
    .sgpr_spill_count: 0
    .symbol:         _ZN9rocsparseL19gebsrmvn_2xn_kernelILj128ELj9ELj4EfEEvi20rocsparse_direction_NS_24const_host_device_scalarIT2_EEPKiS6_PKS3_S8_S4_PS3_21rocsparse_index_base_b.kd
    .uniform_work_group_size: 1
    .uses_dynamic_stack: false
    .vgpr_count:     42
    .vgpr_spill_count: 0
    .wavefront_size: 32
    .workgroup_processor_mode: 1
  - .args:
      - .offset:         0
        .size:           4
        .value_kind:     by_value
      - .offset:         4
        .size:           4
        .value_kind:     by_value
      - .offset:         8
        .size:           8
        .value_kind:     by_value
      - .actual_access:  read_only
        .address_space:  global
        .offset:         16
        .size:           8
        .value_kind:     global_buffer
      - .actual_access:  read_only
        .address_space:  global
        .offset:         24
        .size:           8
        .value_kind:     global_buffer
      - .actual_access:  read_only
        .address_space:  global
        .offset:         32
        .size:           8
        .value_kind:     global_buffer
      - .actual_access:  read_only
        .address_space:  global
        .offset:         40
        .size:           8
        .value_kind:     global_buffer
      - .offset:         48
        .size:           8
        .value_kind:     by_value
      - .address_space:  global
        .offset:         56
        .size:           8
        .value_kind:     global_buffer
      - .offset:         64
        .size:           4
        .value_kind:     by_value
      - .offset:         68
        .size:           1
        .value_kind:     by_value
    .group_segment_fixed_size: 0
    .kernarg_segment_align: 8
    .kernarg_segment_size: 72
    .language:       OpenCL C
    .language_version:
      - 2
      - 0
    .max_flat_workgroup_size: 128
    .name:           _ZN9rocsparseL19gebsrmvn_2xn_kernelILj128ELj9ELj8EfEEvi20rocsparse_direction_NS_24const_host_device_scalarIT2_EEPKiS6_PKS3_S8_S4_PS3_21rocsparse_index_base_b
    .private_segment_fixed_size: 0
    .sgpr_count:     22
    .sgpr_spill_count: 0
    .symbol:         _ZN9rocsparseL19gebsrmvn_2xn_kernelILj128ELj9ELj8EfEEvi20rocsparse_direction_NS_24const_host_device_scalarIT2_EEPKiS6_PKS3_S8_S4_PS3_21rocsparse_index_base_b.kd
    .uniform_work_group_size: 1
    .uses_dynamic_stack: false
    .vgpr_count:     42
    .vgpr_spill_count: 0
    .wavefront_size: 32
    .workgroup_processor_mode: 1
  - .args:
      - .offset:         0
        .size:           4
        .value_kind:     by_value
      - .offset:         4
        .size:           4
        .value_kind:     by_value
      - .offset:         8
        .size:           8
        .value_kind:     by_value
      - .actual_access:  read_only
        .address_space:  global
        .offset:         16
        .size:           8
        .value_kind:     global_buffer
      - .actual_access:  read_only
        .address_space:  global
        .offset:         24
        .size:           8
        .value_kind:     global_buffer
      - .actual_access:  read_only
        .address_space:  global
        .offset:         32
        .size:           8
        .value_kind:     global_buffer
      - .actual_access:  read_only
        .address_space:  global
        .offset:         40
        .size:           8
        .value_kind:     global_buffer
      - .offset:         48
        .size:           8
        .value_kind:     by_value
      - .address_space:  global
        .offset:         56
        .size:           8
        .value_kind:     global_buffer
      - .offset:         64
        .size:           4
        .value_kind:     by_value
      - .offset:         68
        .size:           1
        .value_kind:     by_value
    .group_segment_fixed_size: 0
    .kernarg_segment_align: 8
    .kernarg_segment_size: 72
    .language:       OpenCL C
    .language_version:
      - 2
      - 0
    .max_flat_workgroup_size: 128
    .name:           _ZN9rocsparseL19gebsrmvn_2xn_kernelILj128ELj9ELj16EfEEvi20rocsparse_direction_NS_24const_host_device_scalarIT2_EEPKiS6_PKS3_S8_S4_PS3_21rocsparse_index_base_b
    .private_segment_fixed_size: 0
    .sgpr_count:     22
    .sgpr_spill_count: 0
    .symbol:         _ZN9rocsparseL19gebsrmvn_2xn_kernelILj128ELj9ELj16EfEEvi20rocsparse_direction_NS_24const_host_device_scalarIT2_EEPKiS6_PKS3_S8_S4_PS3_21rocsparse_index_base_b.kd
    .uniform_work_group_size: 1
    .uses_dynamic_stack: false
    .vgpr_count:     42
    .vgpr_spill_count: 0
    .wavefront_size: 32
    .workgroup_processor_mode: 1
  - .args:
      - .offset:         0
        .size:           4
        .value_kind:     by_value
      - .offset:         4
        .size:           4
        .value_kind:     by_value
      - .offset:         8
        .size:           8
        .value_kind:     by_value
      - .actual_access:  read_only
        .address_space:  global
        .offset:         16
        .size:           8
        .value_kind:     global_buffer
      - .actual_access:  read_only
        .address_space:  global
        .offset:         24
        .size:           8
        .value_kind:     global_buffer
      - .actual_access:  read_only
        .address_space:  global
        .offset:         32
        .size:           8
        .value_kind:     global_buffer
      - .actual_access:  read_only
        .address_space:  global
        .offset:         40
        .size:           8
        .value_kind:     global_buffer
      - .offset:         48
        .size:           8
        .value_kind:     by_value
      - .address_space:  global
        .offset:         56
        .size:           8
        .value_kind:     global_buffer
      - .offset:         64
        .size:           4
        .value_kind:     by_value
      - .offset:         68
        .size:           1
        .value_kind:     by_value
    .group_segment_fixed_size: 0
    .kernarg_segment_align: 8
    .kernarg_segment_size: 72
    .language:       OpenCL C
    .language_version:
      - 2
      - 0
    .max_flat_workgroup_size: 128
    .name:           _ZN9rocsparseL19gebsrmvn_2xn_kernelILj128ELj9ELj32EfEEvi20rocsparse_direction_NS_24const_host_device_scalarIT2_EEPKiS6_PKS3_S8_S4_PS3_21rocsparse_index_base_b
    .private_segment_fixed_size: 0
    .sgpr_count:     22
    .sgpr_spill_count: 0
    .symbol:         _ZN9rocsparseL19gebsrmvn_2xn_kernelILj128ELj9ELj32EfEEvi20rocsparse_direction_NS_24const_host_device_scalarIT2_EEPKiS6_PKS3_S8_S4_PS3_21rocsparse_index_base_b.kd
    .uniform_work_group_size: 1
    .uses_dynamic_stack: false
    .vgpr_count:     42
    .vgpr_spill_count: 0
    .wavefront_size: 32
    .workgroup_processor_mode: 1
  - .args:
      - .offset:         0
        .size:           4
        .value_kind:     by_value
      - .offset:         4
        .size:           4
        .value_kind:     by_value
      - .offset:         8
        .size:           8
        .value_kind:     by_value
      - .actual_access:  read_only
        .address_space:  global
        .offset:         16
        .size:           8
        .value_kind:     global_buffer
      - .actual_access:  read_only
        .address_space:  global
        .offset:         24
        .size:           8
        .value_kind:     global_buffer
      - .actual_access:  read_only
        .address_space:  global
        .offset:         32
        .size:           8
        .value_kind:     global_buffer
      - .actual_access:  read_only
        .address_space:  global
        .offset:         40
        .size:           8
        .value_kind:     global_buffer
      - .offset:         48
        .size:           8
        .value_kind:     by_value
      - .address_space:  global
        .offset:         56
        .size:           8
        .value_kind:     global_buffer
      - .offset:         64
        .size:           4
        .value_kind:     by_value
      - .offset:         68
        .size:           1
        .value_kind:     by_value
    .group_segment_fixed_size: 0
    .kernarg_segment_align: 8
    .kernarg_segment_size: 72
    .language:       OpenCL C
    .language_version:
      - 2
      - 0
    .max_flat_workgroup_size: 128
    .name:           _ZN9rocsparseL19gebsrmvn_2xn_kernelILj128ELj9ELj64EfEEvi20rocsparse_direction_NS_24const_host_device_scalarIT2_EEPKiS6_PKS3_S8_S4_PS3_21rocsparse_index_base_b
    .private_segment_fixed_size: 0
    .sgpr_count:     22
    .sgpr_spill_count: 0
    .symbol:         _ZN9rocsparseL19gebsrmvn_2xn_kernelILj128ELj9ELj64EfEEvi20rocsparse_direction_NS_24const_host_device_scalarIT2_EEPKiS6_PKS3_S8_S4_PS3_21rocsparse_index_base_b.kd
    .uniform_work_group_size: 1
    .uses_dynamic_stack: false
    .vgpr_count:     42
    .vgpr_spill_count: 0
    .wavefront_size: 32
    .workgroup_processor_mode: 1
  - .args:
      - .offset:         0
        .size:           4
        .value_kind:     by_value
      - .offset:         4
        .size:           4
        .value_kind:     by_value
      - .offset:         8
        .size:           8
        .value_kind:     by_value
      - .actual_access:  read_only
        .address_space:  global
        .offset:         16
        .size:           8
        .value_kind:     global_buffer
      - .actual_access:  read_only
        .address_space:  global
        .offset:         24
        .size:           8
        .value_kind:     global_buffer
      - .actual_access:  read_only
        .address_space:  global
        .offset:         32
        .size:           8
        .value_kind:     global_buffer
      - .actual_access:  read_only
        .address_space:  global
        .offset:         40
        .size:           8
        .value_kind:     global_buffer
      - .offset:         48
        .size:           8
        .value_kind:     by_value
      - .address_space:  global
        .offset:         56
        .size:           8
        .value_kind:     global_buffer
      - .offset:         64
        .size:           4
        .value_kind:     by_value
      - .offset:         68
        .size:           1
        .value_kind:     by_value
    .group_segment_fixed_size: 0
    .kernarg_segment_align: 8
    .kernarg_segment_size: 72
    .language:       OpenCL C
    .language_version:
      - 2
      - 0
    .max_flat_workgroup_size: 128
    .name:           _ZN9rocsparseL19gebsrmvn_2xn_kernelILj128ELj10ELj4EfEEvi20rocsparse_direction_NS_24const_host_device_scalarIT2_EEPKiS6_PKS3_S8_S4_PS3_21rocsparse_index_base_b
    .private_segment_fixed_size: 0
    .sgpr_count:     22
    .sgpr_spill_count: 0
    .symbol:         _ZN9rocsparseL19gebsrmvn_2xn_kernelILj128ELj10ELj4EfEEvi20rocsparse_direction_NS_24const_host_device_scalarIT2_EEPKiS6_PKS3_S8_S4_PS3_21rocsparse_index_base_b.kd
    .uniform_work_group_size: 1
    .uses_dynamic_stack: false
    .vgpr_count:     43
    .vgpr_spill_count: 0
    .wavefront_size: 32
    .workgroup_processor_mode: 1
  - .args:
      - .offset:         0
        .size:           4
        .value_kind:     by_value
      - .offset:         4
        .size:           4
        .value_kind:     by_value
      - .offset:         8
        .size:           8
        .value_kind:     by_value
      - .actual_access:  read_only
        .address_space:  global
        .offset:         16
        .size:           8
        .value_kind:     global_buffer
      - .actual_access:  read_only
        .address_space:  global
        .offset:         24
        .size:           8
        .value_kind:     global_buffer
      - .actual_access:  read_only
        .address_space:  global
        .offset:         32
        .size:           8
        .value_kind:     global_buffer
      - .actual_access:  read_only
        .address_space:  global
        .offset:         40
        .size:           8
        .value_kind:     global_buffer
      - .offset:         48
        .size:           8
        .value_kind:     by_value
      - .address_space:  global
        .offset:         56
        .size:           8
        .value_kind:     global_buffer
      - .offset:         64
        .size:           4
        .value_kind:     by_value
      - .offset:         68
        .size:           1
        .value_kind:     by_value
    .group_segment_fixed_size: 0
    .kernarg_segment_align: 8
    .kernarg_segment_size: 72
    .language:       OpenCL C
    .language_version:
      - 2
      - 0
    .max_flat_workgroup_size: 128
    .name:           _ZN9rocsparseL19gebsrmvn_2xn_kernelILj128ELj10ELj8EfEEvi20rocsparse_direction_NS_24const_host_device_scalarIT2_EEPKiS6_PKS3_S8_S4_PS3_21rocsparse_index_base_b
    .private_segment_fixed_size: 0
    .sgpr_count:     22
    .sgpr_spill_count: 0
    .symbol:         _ZN9rocsparseL19gebsrmvn_2xn_kernelILj128ELj10ELj8EfEEvi20rocsparse_direction_NS_24const_host_device_scalarIT2_EEPKiS6_PKS3_S8_S4_PS3_21rocsparse_index_base_b.kd
    .uniform_work_group_size: 1
    .uses_dynamic_stack: false
    .vgpr_count:     43
    .vgpr_spill_count: 0
    .wavefront_size: 32
    .workgroup_processor_mode: 1
  - .args:
      - .offset:         0
        .size:           4
        .value_kind:     by_value
      - .offset:         4
        .size:           4
        .value_kind:     by_value
      - .offset:         8
        .size:           8
        .value_kind:     by_value
      - .actual_access:  read_only
        .address_space:  global
        .offset:         16
        .size:           8
        .value_kind:     global_buffer
      - .actual_access:  read_only
        .address_space:  global
        .offset:         24
        .size:           8
        .value_kind:     global_buffer
      - .actual_access:  read_only
        .address_space:  global
        .offset:         32
        .size:           8
        .value_kind:     global_buffer
      - .actual_access:  read_only
        .address_space:  global
        .offset:         40
        .size:           8
        .value_kind:     global_buffer
      - .offset:         48
        .size:           8
        .value_kind:     by_value
      - .address_space:  global
        .offset:         56
        .size:           8
        .value_kind:     global_buffer
      - .offset:         64
        .size:           4
        .value_kind:     by_value
      - .offset:         68
        .size:           1
        .value_kind:     by_value
    .group_segment_fixed_size: 0
    .kernarg_segment_align: 8
    .kernarg_segment_size: 72
    .language:       OpenCL C
    .language_version:
      - 2
      - 0
    .max_flat_workgroup_size: 128
    .name:           _ZN9rocsparseL19gebsrmvn_2xn_kernelILj128ELj10ELj16EfEEvi20rocsparse_direction_NS_24const_host_device_scalarIT2_EEPKiS6_PKS3_S8_S4_PS3_21rocsparse_index_base_b
    .private_segment_fixed_size: 0
    .sgpr_count:     22
    .sgpr_spill_count: 0
    .symbol:         _ZN9rocsparseL19gebsrmvn_2xn_kernelILj128ELj10ELj16EfEEvi20rocsparse_direction_NS_24const_host_device_scalarIT2_EEPKiS6_PKS3_S8_S4_PS3_21rocsparse_index_base_b.kd
    .uniform_work_group_size: 1
    .uses_dynamic_stack: false
    .vgpr_count:     43
    .vgpr_spill_count: 0
    .wavefront_size: 32
    .workgroup_processor_mode: 1
  - .args:
      - .offset:         0
        .size:           4
        .value_kind:     by_value
      - .offset:         4
        .size:           4
        .value_kind:     by_value
      - .offset:         8
        .size:           8
        .value_kind:     by_value
      - .actual_access:  read_only
        .address_space:  global
        .offset:         16
        .size:           8
        .value_kind:     global_buffer
      - .actual_access:  read_only
        .address_space:  global
        .offset:         24
        .size:           8
        .value_kind:     global_buffer
      - .actual_access:  read_only
        .address_space:  global
        .offset:         32
        .size:           8
        .value_kind:     global_buffer
      - .actual_access:  read_only
        .address_space:  global
        .offset:         40
        .size:           8
        .value_kind:     global_buffer
      - .offset:         48
        .size:           8
        .value_kind:     by_value
      - .address_space:  global
        .offset:         56
        .size:           8
        .value_kind:     global_buffer
      - .offset:         64
        .size:           4
        .value_kind:     by_value
      - .offset:         68
        .size:           1
        .value_kind:     by_value
    .group_segment_fixed_size: 0
    .kernarg_segment_align: 8
    .kernarg_segment_size: 72
    .language:       OpenCL C
    .language_version:
      - 2
      - 0
    .max_flat_workgroup_size: 128
    .name:           _ZN9rocsparseL19gebsrmvn_2xn_kernelILj128ELj10ELj32EfEEvi20rocsparse_direction_NS_24const_host_device_scalarIT2_EEPKiS6_PKS3_S8_S4_PS3_21rocsparse_index_base_b
    .private_segment_fixed_size: 0
    .sgpr_count:     22
    .sgpr_spill_count: 0
    .symbol:         _ZN9rocsparseL19gebsrmvn_2xn_kernelILj128ELj10ELj32EfEEvi20rocsparse_direction_NS_24const_host_device_scalarIT2_EEPKiS6_PKS3_S8_S4_PS3_21rocsparse_index_base_b.kd
    .uniform_work_group_size: 1
    .uses_dynamic_stack: false
    .vgpr_count:     43
    .vgpr_spill_count: 0
    .wavefront_size: 32
    .workgroup_processor_mode: 1
  - .args:
      - .offset:         0
        .size:           4
        .value_kind:     by_value
      - .offset:         4
        .size:           4
        .value_kind:     by_value
      - .offset:         8
        .size:           8
        .value_kind:     by_value
      - .actual_access:  read_only
        .address_space:  global
        .offset:         16
        .size:           8
        .value_kind:     global_buffer
      - .actual_access:  read_only
        .address_space:  global
        .offset:         24
        .size:           8
        .value_kind:     global_buffer
      - .actual_access:  read_only
        .address_space:  global
        .offset:         32
        .size:           8
        .value_kind:     global_buffer
      - .actual_access:  read_only
        .address_space:  global
        .offset:         40
        .size:           8
        .value_kind:     global_buffer
      - .offset:         48
        .size:           8
        .value_kind:     by_value
      - .address_space:  global
        .offset:         56
        .size:           8
        .value_kind:     global_buffer
      - .offset:         64
        .size:           4
        .value_kind:     by_value
      - .offset:         68
        .size:           1
        .value_kind:     by_value
    .group_segment_fixed_size: 0
    .kernarg_segment_align: 8
    .kernarg_segment_size: 72
    .language:       OpenCL C
    .language_version:
      - 2
      - 0
    .max_flat_workgroup_size: 128
    .name:           _ZN9rocsparseL19gebsrmvn_2xn_kernelILj128ELj10ELj64EfEEvi20rocsparse_direction_NS_24const_host_device_scalarIT2_EEPKiS6_PKS3_S8_S4_PS3_21rocsparse_index_base_b
    .private_segment_fixed_size: 0
    .sgpr_count:     22
    .sgpr_spill_count: 0
    .symbol:         _ZN9rocsparseL19gebsrmvn_2xn_kernelILj128ELj10ELj64EfEEvi20rocsparse_direction_NS_24const_host_device_scalarIT2_EEPKiS6_PKS3_S8_S4_PS3_21rocsparse_index_base_b.kd
    .uniform_work_group_size: 1
    .uses_dynamic_stack: false
    .vgpr_count:     43
    .vgpr_spill_count: 0
    .wavefront_size: 32
    .workgroup_processor_mode: 1
  - .args:
      - .offset:         0
        .size:           4
        .value_kind:     by_value
      - .offset:         4
        .size:           4
        .value_kind:     by_value
      - .offset:         8
        .size:           8
        .value_kind:     by_value
      - .actual_access:  read_only
        .address_space:  global
        .offset:         16
        .size:           8
        .value_kind:     global_buffer
      - .actual_access:  read_only
        .address_space:  global
        .offset:         24
        .size:           8
        .value_kind:     global_buffer
      - .actual_access:  read_only
        .address_space:  global
        .offset:         32
        .size:           8
        .value_kind:     global_buffer
      - .actual_access:  read_only
        .address_space:  global
        .offset:         40
        .size:           8
        .value_kind:     global_buffer
      - .offset:         48
        .size:           8
        .value_kind:     by_value
      - .address_space:  global
        .offset:         56
        .size:           8
        .value_kind:     global_buffer
      - .offset:         64
        .size:           4
        .value_kind:     by_value
      - .offset:         68
        .size:           1
        .value_kind:     by_value
    .group_segment_fixed_size: 0
    .kernarg_segment_align: 8
    .kernarg_segment_size: 72
    .language:       OpenCL C
    .language_version:
      - 2
      - 0
    .max_flat_workgroup_size: 128
    .name:           _ZN9rocsparseL19gebsrmvn_2xn_kernelILj128ELj11ELj4EfEEvi20rocsparse_direction_NS_24const_host_device_scalarIT2_EEPKiS6_PKS3_S8_S4_PS3_21rocsparse_index_base_b
    .private_segment_fixed_size: 0
    .sgpr_count:     22
    .sgpr_spill_count: 0
    .symbol:         _ZN9rocsparseL19gebsrmvn_2xn_kernelILj128ELj11ELj4EfEEvi20rocsparse_direction_NS_24const_host_device_scalarIT2_EEPKiS6_PKS3_S8_S4_PS3_21rocsparse_index_base_b.kd
    .uniform_work_group_size: 1
    .uses_dynamic_stack: false
    .vgpr_count:     48
    .vgpr_spill_count: 0
    .wavefront_size: 32
    .workgroup_processor_mode: 1
  - .args:
      - .offset:         0
        .size:           4
        .value_kind:     by_value
      - .offset:         4
        .size:           4
        .value_kind:     by_value
      - .offset:         8
        .size:           8
        .value_kind:     by_value
      - .actual_access:  read_only
        .address_space:  global
        .offset:         16
        .size:           8
        .value_kind:     global_buffer
      - .actual_access:  read_only
        .address_space:  global
        .offset:         24
        .size:           8
        .value_kind:     global_buffer
      - .actual_access:  read_only
        .address_space:  global
        .offset:         32
        .size:           8
        .value_kind:     global_buffer
      - .actual_access:  read_only
        .address_space:  global
        .offset:         40
        .size:           8
        .value_kind:     global_buffer
      - .offset:         48
        .size:           8
        .value_kind:     by_value
      - .address_space:  global
        .offset:         56
        .size:           8
        .value_kind:     global_buffer
      - .offset:         64
        .size:           4
        .value_kind:     by_value
      - .offset:         68
        .size:           1
        .value_kind:     by_value
    .group_segment_fixed_size: 0
    .kernarg_segment_align: 8
    .kernarg_segment_size: 72
    .language:       OpenCL C
    .language_version:
      - 2
      - 0
    .max_flat_workgroup_size: 128
    .name:           _ZN9rocsparseL19gebsrmvn_2xn_kernelILj128ELj11ELj8EfEEvi20rocsparse_direction_NS_24const_host_device_scalarIT2_EEPKiS6_PKS3_S8_S4_PS3_21rocsparse_index_base_b
    .private_segment_fixed_size: 0
    .sgpr_count:     22
    .sgpr_spill_count: 0
    .symbol:         _ZN9rocsparseL19gebsrmvn_2xn_kernelILj128ELj11ELj8EfEEvi20rocsparse_direction_NS_24const_host_device_scalarIT2_EEPKiS6_PKS3_S8_S4_PS3_21rocsparse_index_base_b.kd
    .uniform_work_group_size: 1
    .uses_dynamic_stack: false
    .vgpr_count:     48
    .vgpr_spill_count: 0
    .wavefront_size: 32
    .workgroup_processor_mode: 1
  - .args:
      - .offset:         0
        .size:           4
        .value_kind:     by_value
      - .offset:         4
        .size:           4
        .value_kind:     by_value
      - .offset:         8
        .size:           8
        .value_kind:     by_value
      - .actual_access:  read_only
        .address_space:  global
        .offset:         16
        .size:           8
        .value_kind:     global_buffer
      - .actual_access:  read_only
        .address_space:  global
        .offset:         24
        .size:           8
        .value_kind:     global_buffer
      - .actual_access:  read_only
        .address_space:  global
        .offset:         32
        .size:           8
        .value_kind:     global_buffer
      - .actual_access:  read_only
        .address_space:  global
        .offset:         40
        .size:           8
        .value_kind:     global_buffer
      - .offset:         48
        .size:           8
        .value_kind:     by_value
      - .address_space:  global
        .offset:         56
        .size:           8
        .value_kind:     global_buffer
      - .offset:         64
        .size:           4
        .value_kind:     by_value
      - .offset:         68
        .size:           1
        .value_kind:     by_value
    .group_segment_fixed_size: 0
    .kernarg_segment_align: 8
    .kernarg_segment_size: 72
    .language:       OpenCL C
    .language_version:
      - 2
      - 0
    .max_flat_workgroup_size: 128
    .name:           _ZN9rocsparseL19gebsrmvn_2xn_kernelILj128ELj11ELj16EfEEvi20rocsparse_direction_NS_24const_host_device_scalarIT2_EEPKiS6_PKS3_S8_S4_PS3_21rocsparse_index_base_b
    .private_segment_fixed_size: 0
    .sgpr_count:     22
    .sgpr_spill_count: 0
    .symbol:         _ZN9rocsparseL19gebsrmvn_2xn_kernelILj128ELj11ELj16EfEEvi20rocsparse_direction_NS_24const_host_device_scalarIT2_EEPKiS6_PKS3_S8_S4_PS3_21rocsparse_index_base_b.kd
    .uniform_work_group_size: 1
    .uses_dynamic_stack: false
    .vgpr_count:     48
    .vgpr_spill_count: 0
    .wavefront_size: 32
    .workgroup_processor_mode: 1
  - .args:
      - .offset:         0
        .size:           4
        .value_kind:     by_value
      - .offset:         4
        .size:           4
        .value_kind:     by_value
      - .offset:         8
        .size:           8
        .value_kind:     by_value
      - .actual_access:  read_only
        .address_space:  global
        .offset:         16
        .size:           8
        .value_kind:     global_buffer
      - .actual_access:  read_only
        .address_space:  global
        .offset:         24
        .size:           8
        .value_kind:     global_buffer
      - .actual_access:  read_only
        .address_space:  global
        .offset:         32
        .size:           8
        .value_kind:     global_buffer
      - .actual_access:  read_only
        .address_space:  global
        .offset:         40
        .size:           8
        .value_kind:     global_buffer
      - .offset:         48
        .size:           8
        .value_kind:     by_value
      - .address_space:  global
        .offset:         56
        .size:           8
        .value_kind:     global_buffer
      - .offset:         64
        .size:           4
        .value_kind:     by_value
      - .offset:         68
        .size:           1
        .value_kind:     by_value
    .group_segment_fixed_size: 0
    .kernarg_segment_align: 8
    .kernarg_segment_size: 72
    .language:       OpenCL C
    .language_version:
      - 2
      - 0
    .max_flat_workgroup_size: 128
    .name:           _ZN9rocsparseL19gebsrmvn_2xn_kernelILj128ELj11ELj32EfEEvi20rocsparse_direction_NS_24const_host_device_scalarIT2_EEPKiS6_PKS3_S8_S4_PS3_21rocsparse_index_base_b
    .private_segment_fixed_size: 0
    .sgpr_count:     22
    .sgpr_spill_count: 0
    .symbol:         _ZN9rocsparseL19gebsrmvn_2xn_kernelILj128ELj11ELj32EfEEvi20rocsparse_direction_NS_24const_host_device_scalarIT2_EEPKiS6_PKS3_S8_S4_PS3_21rocsparse_index_base_b.kd
    .uniform_work_group_size: 1
    .uses_dynamic_stack: false
    .vgpr_count:     48
    .vgpr_spill_count: 0
    .wavefront_size: 32
    .workgroup_processor_mode: 1
  - .args:
      - .offset:         0
        .size:           4
        .value_kind:     by_value
      - .offset:         4
        .size:           4
        .value_kind:     by_value
      - .offset:         8
        .size:           8
        .value_kind:     by_value
      - .actual_access:  read_only
        .address_space:  global
        .offset:         16
        .size:           8
        .value_kind:     global_buffer
      - .actual_access:  read_only
        .address_space:  global
        .offset:         24
        .size:           8
        .value_kind:     global_buffer
      - .actual_access:  read_only
        .address_space:  global
        .offset:         32
        .size:           8
        .value_kind:     global_buffer
      - .actual_access:  read_only
        .address_space:  global
        .offset:         40
        .size:           8
        .value_kind:     global_buffer
      - .offset:         48
        .size:           8
        .value_kind:     by_value
      - .address_space:  global
        .offset:         56
        .size:           8
        .value_kind:     global_buffer
      - .offset:         64
        .size:           4
        .value_kind:     by_value
      - .offset:         68
        .size:           1
        .value_kind:     by_value
    .group_segment_fixed_size: 0
    .kernarg_segment_align: 8
    .kernarg_segment_size: 72
    .language:       OpenCL C
    .language_version:
      - 2
      - 0
    .max_flat_workgroup_size: 128
    .name:           _ZN9rocsparseL19gebsrmvn_2xn_kernelILj128ELj11ELj64EfEEvi20rocsparse_direction_NS_24const_host_device_scalarIT2_EEPKiS6_PKS3_S8_S4_PS3_21rocsparse_index_base_b
    .private_segment_fixed_size: 0
    .sgpr_count:     22
    .sgpr_spill_count: 0
    .symbol:         _ZN9rocsparseL19gebsrmvn_2xn_kernelILj128ELj11ELj64EfEEvi20rocsparse_direction_NS_24const_host_device_scalarIT2_EEPKiS6_PKS3_S8_S4_PS3_21rocsparse_index_base_b.kd
    .uniform_work_group_size: 1
    .uses_dynamic_stack: false
    .vgpr_count:     48
    .vgpr_spill_count: 0
    .wavefront_size: 32
    .workgroup_processor_mode: 1
  - .args:
      - .offset:         0
        .size:           4
        .value_kind:     by_value
      - .offset:         4
        .size:           4
        .value_kind:     by_value
      - .offset:         8
        .size:           8
        .value_kind:     by_value
      - .actual_access:  read_only
        .address_space:  global
        .offset:         16
        .size:           8
        .value_kind:     global_buffer
      - .actual_access:  read_only
        .address_space:  global
        .offset:         24
        .size:           8
        .value_kind:     global_buffer
      - .actual_access:  read_only
        .address_space:  global
        .offset:         32
        .size:           8
        .value_kind:     global_buffer
      - .actual_access:  read_only
        .address_space:  global
        .offset:         40
        .size:           8
        .value_kind:     global_buffer
      - .offset:         48
        .size:           8
        .value_kind:     by_value
      - .address_space:  global
        .offset:         56
        .size:           8
        .value_kind:     global_buffer
      - .offset:         64
        .size:           4
        .value_kind:     by_value
      - .offset:         68
        .size:           1
        .value_kind:     by_value
    .group_segment_fixed_size: 0
    .kernarg_segment_align: 8
    .kernarg_segment_size: 72
    .language:       OpenCL C
    .language_version:
      - 2
      - 0
    .max_flat_workgroup_size: 128
    .name:           _ZN9rocsparseL19gebsrmvn_2xn_kernelILj128ELj12ELj4EfEEvi20rocsparse_direction_NS_24const_host_device_scalarIT2_EEPKiS6_PKS3_S8_S4_PS3_21rocsparse_index_base_b
    .private_segment_fixed_size: 0
    .sgpr_count:     22
    .sgpr_spill_count: 0
    .symbol:         _ZN9rocsparseL19gebsrmvn_2xn_kernelILj128ELj12ELj4EfEEvi20rocsparse_direction_NS_24const_host_device_scalarIT2_EEPKiS6_PKS3_S8_S4_PS3_21rocsparse_index_base_b.kd
    .uniform_work_group_size: 1
    .uses_dynamic_stack: false
    .vgpr_count:     49
    .vgpr_spill_count: 0
    .wavefront_size: 32
    .workgroup_processor_mode: 1
  - .args:
      - .offset:         0
        .size:           4
        .value_kind:     by_value
      - .offset:         4
        .size:           4
        .value_kind:     by_value
      - .offset:         8
        .size:           8
        .value_kind:     by_value
      - .actual_access:  read_only
        .address_space:  global
        .offset:         16
        .size:           8
        .value_kind:     global_buffer
      - .actual_access:  read_only
        .address_space:  global
        .offset:         24
        .size:           8
        .value_kind:     global_buffer
      - .actual_access:  read_only
        .address_space:  global
        .offset:         32
        .size:           8
        .value_kind:     global_buffer
      - .actual_access:  read_only
        .address_space:  global
        .offset:         40
        .size:           8
        .value_kind:     global_buffer
      - .offset:         48
        .size:           8
        .value_kind:     by_value
      - .address_space:  global
        .offset:         56
        .size:           8
        .value_kind:     global_buffer
      - .offset:         64
        .size:           4
        .value_kind:     by_value
      - .offset:         68
        .size:           1
        .value_kind:     by_value
    .group_segment_fixed_size: 0
    .kernarg_segment_align: 8
    .kernarg_segment_size: 72
    .language:       OpenCL C
    .language_version:
      - 2
      - 0
    .max_flat_workgroup_size: 128
    .name:           _ZN9rocsparseL19gebsrmvn_2xn_kernelILj128ELj12ELj8EfEEvi20rocsparse_direction_NS_24const_host_device_scalarIT2_EEPKiS6_PKS3_S8_S4_PS3_21rocsparse_index_base_b
    .private_segment_fixed_size: 0
    .sgpr_count:     22
    .sgpr_spill_count: 0
    .symbol:         _ZN9rocsparseL19gebsrmvn_2xn_kernelILj128ELj12ELj8EfEEvi20rocsparse_direction_NS_24const_host_device_scalarIT2_EEPKiS6_PKS3_S8_S4_PS3_21rocsparse_index_base_b.kd
    .uniform_work_group_size: 1
    .uses_dynamic_stack: false
    .vgpr_count:     49
    .vgpr_spill_count: 0
    .wavefront_size: 32
    .workgroup_processor_mode: 1
  - .args:
      - .offset:         0
        .size:           4
        .value_kind:     by_value
      - .offset:         4
        .size:           4
        .value_kind:     by_value
      - .offset:         8
        .size:           8
        .value_kind:     by_value
      - .actual_access:  read_only
        .address_space:  global
        .offset:         16
        .size:           8
        .value_kind:     global_buffer
      - .actual_access:  read_only
        .address_space:  global
        .offset:         24
        .size:           8
        .value_kind:     global_buffer
      - .actual_access:  read_only
        .address_space:  global
        .offset:         32
        .size:           8
        .value_kind:     global_buffer
      - .actual_access:  read_only
        .address_space:  global
        .offset:         40
        .size:           8
        .value_kind:     global_buffer
      - .offset:         48
        .size:           8
        .value_kind:     by_value
      - .address_space:  global
        .offset:         56
        .size:           8
        .value_kind:     global_buffer
      - .offset:         64
        .size:           4
        .value_kind:     by_value
      - .offset:         68
        .size:           1
        .value_kind:     by_value
    .group_segment_fixed_size: 0
    .kernarg_segment_align: 8
    .kernarg_segment_size: 72
    .language:       OpenCL C
    .language_version:
      - 2
      - 0
    .max_flat_workgroup_size: 128
    .name:           _ZN9rocsparseL19gebsrmvn_2xn_kernelILj128ELj12ELj16EfEEvi20rocsparse_direction_NS_24const_host_device_scalarIT2_EEPKiS6_PKS3_S8_S4_PS3_21rocsparse_index_base_b
    .private_segment_fixed_size: 0
    .sgpr_count:     22
    .sgpr_spill_count: 0
    .symbol:         _ZN9rocsparseL19gebsrmvn_2xn_kernelILj128ELj12ELj16EfEEvi20rocsparse_direction_NS_24const_host_device_scalarIT2_EEPKiS6_PKS3_S8_S4_PS3_21rocsparse_index_base_b.kd
    .uniform_work_group_size: 1
    .uses_dynamic_stack: false
    .vgpr_count:     49
    .vgpr_spill_count: 0
    .wavefront_size: 32
    .workgroup_processor_mode: 1
  - .args:
      - .offset:         0
        .size:           4
        .value_kind:     by_value
      - .offset:         4
        .size:           4
        .value_kind:     by_value
      - .offset:         8
        .size:           8
        .value_kind:     by_value
      - .actual_access:  read_only
        .address_space:  global
        .offset:         16
        .size:           8
        .value_kind:     global_buffer
      - .actual_access:  read_only
        .address_space:  global
        .offset:         24
        .size:           8
        .value_kind:     global_buffer
      - .actual_access:  read_only
        .address_space:  global
        .offset:         32
        .size:           8
        .value_kind:     global_buffer
      - .actual_access:  read_only
        .address_space:  global
        .offset:         40
        .size:           8
        .value_kind:     global_buffer
      - .offset:         48
        .size:           8
        .value_kind:     by_value
      - .address_space:  global
        .offset:         56
        .size:           8
        .value_kind:     global_buffer
      - .offset:         64
        .size:           4
        .value_kind:     by_value
      - .offset:         68
        .size:           1
        .value_kind:     by_value
    .group_segment_fixed_size: 0
    .kernarg_segment_align: 8
    .kernarg_segment_size: 72
    .language:       OpenCL C
    .language_version:
      - 2
      - 0
    .max_flat_workgroup_size: 128
    .name:           _ZN9rocsparseL19gebsrmvn_2xn_kernelILj128ELj12ELj32EfEEvi20rocsparse_direction_NS_24const_host_device_scalarIT2_EEPKiS6_PKS3_S8_S4_PS3_21rocsparse_index_base_b
    .private_segment_fixed_size: 0
    .sgpr_count:     22
    .sgpr_spill_count: 0
    .symbol:         _ZN9rocsparseL19gebsrmvn_2xn_kernelILj128ELj12ELj32EfEEvi20rocsparse_direction_NS_24const_host_device_scalarIT2_EEPKiS6_PKS3_S8_S4_PS3_21rocsparse_index_base_b.kd
    .uniform_work_group_size: 1
    .uses_dynamic_stack: false
    .vgpr_count:     49
    .vgpr_spill_count: 0
    .wavefront_size: 32
    .workgroup_processor_mode: 1
  - .args:
      - .offset:         0
        .size:           4
        .value_kind:     by_value
      - .offset:         4
        .size:           4
        .value_kind:     by_value
      - .offset:         8
        .size:           8
        .value_kind:     by_value
      - .actual_access:  read_only
        .address_space:  global
        .offset:         16
        .size:           8
        .value_kind:     global_buffer
      - .actual_access:  read_only
        .address_space:  global
        .offset:         24
        .size:           8
        .value_kind:     global_buffer
      - .actual_access:  read_only
        .address_space:  global
        .offset:         32
        .size:           8
        .value_kind:     global_buffer
      - .actual_access:  read_only
        .address_space:  global
        .offset:         40
        .size:           8
        .value_kind:     global_buffer
      - .offset:         48
        .size:           8
        .value_kind:     by_value
      - .address_space:  global
        .offset:         56
        .size:           8
        .value_kind:     global_buffer
      - .offset:         64
        .size:           4
        .value_kind:     by_value
      - .offset:         68
        .size:           1
        .value_kind:     by_value
    .group_segment_fixed_size: 0
    .kernarg_segment_align: 8
    .kernarg_segment_size: 72
    .language:       OpenCL C
    .language_version:
      - 2
      - 0
    .max_flat_workgroup_size: 128
    .name:           _ZN9rocsparseL19gebsrmvn_2xn_kernelILj128ELj12ELj64EfEEvi20rocsparse_direction_NS_24const_host_device_scalarIT2_EEPKiS6_PKS3_S8_S4_PS3_21rocsparse_index_base_b
    .private_segment_fixed_size: 0
    .sgpr_count:     22
    .sgpr_spill_count: 0
    .symbol:         _ZN9rocsparseL19gebsrmvn_2xn_kernelILj128ELj12ELj64EfEEvi20rocsparse_direction_NS_24const_host_device_scalarIT2_EEPKiS6_PKS3_S8_S4_PS3_21rocsparse_index_base_b.kd
    .uniform_work_group_size: 1
    .uses_dynamic_stack: false
    .vgpr_count:     49
    .vgpr_spill_count: 0
    .wavefront_size: 32
    .workgroup_processor_mode: 1
  - .args:
      - .offset:         0
        .size:           4
        .value_kind:     by_value
      - .offset:         4
        .size:           4
        .value_kind:     by_value
      - .offset:         8
        .size:           8
        .value_kind:     by_value
      - .actual_access:  read_only
        .address_space:  global
        .offset:         16
        .size:           8
        .value_kind:     global_buffer
      - .actual_access:  read_only
        .address_space:  global
        .offset:         24
        .size:           8
        .value_kind:     global_buffer
      - .actual_access:  read_only
        .address_space:  global
        .offset:         32
        .size:           8
        .value_kind:     global_buffer
      - .actual_access:  read_only
        .address_space:  global
        .offset:         40
        .size:           8
        .value_kind:     global_buffer
      - .offset:         48
        .size:           8
        .value_kind:     by_value
      - .address_space:  global
        .offset:         56
        .size:           8
        .value_kind:     global_buffer
      - .offset:         64
        .size:           4
        .value_kind:     by_value
      - .offset:         68
        .size:           1
        .value_kind:     by_value
    .group_segment_fixed_size: 0
    .kernarg_segment_align: 8
    .kernarg_segment_size: 72
    .language:       OpenCL C
    .language_version:
      - 2
      - 0
    .max_flat_workgroup_size: 128
    .name:           _ZN9rocsparseL19gebsrmvn_2xn_kernelILj128ELj13ELj4EfEEvi20rocsparse_direction_NS_24const_host_device_scalarIT2_EEPKiS6_PKS3_S8_S4_PS3_21rocsparse_index_base_b
    .private_segment_fixed_size: 0
    .sgpr_count:     22
    .sgpr_spill_count: 0
    .symbol:         _ZN9rocsparseL19gebsrmvn_2xn_kernelILj128ELj13ELj4EfEEvi20rocsparse_direction_NS_24const_host_device_scalarIT2_EEPKiS6_PKS3_S8_S4_PS3_21rocsparse_index_base_b.kd
    .uniform_work_group_size: 1
    .uses_dynamic_stack: false
    .vgpr_count:     54
    .vgpr_spill_count: 0
    .wavefront_size: 32
    .workgroup_processor_mode: 1
  - .args:
      - .offset:         0
        .size:           4
        .value_kind:     by_value
      - .offset:         4
        .size:           4
        .value_kind:     by_value
      - .offset:         8
        .size:           8
        .value_kind:     by_value
      - .actual_access:  read_only
        .address_space:  global
        .offset:         16
        .size:           8
        .value_kind:     global_buffer
      - .actual_access:  read_only
        .address_space:  global
        .offset:         24
        .size:           8
        .value_kind:     global_buffer
      - .actual_access:  read_only
        .address_space:  global
        .offset:         32
        .size:           8
        .value_kind:     global_buffer
      - .actual_access:  read_only
        .address_space:  global
        .offset:         40
        .size:           8
        .value_kind:     global_buffer
      - .offset:         48
        .size:           8
        .value_kind:     by_value
      - .address_space:  global
        .offset:         56
        .size:           8
        .value_kind:     global_buffer
      - .offset:         64
        .size:           4
        .value_kind:     by_value
      - .offset:         68
        .size:           1
        .value_kind:     by_value
    .group_segment_fixed_size: 0
    .kernarg_segment_align: 8
    .kernarg_segment_size: 72
    .language:       OpenCL C
    .language_version:
      - 2
      - 0
    .max_flat_workgroup_size: 128
    .name:           _ZN9rocsparseL19gebsrmvn_2xn_kernelILj128ELj13ELj8EfEEvi20rocsparse_direction_NS_24const_host_device_scalarIT2_EEPKiS6_PKS3_S8_S4_PS3_21rocsparse_index_base_b
    .private_segment_fixed_size: 0
    .sgpr_count:     22
    .sgpr_spill_count: 0
    .symbol:         _ZN9rocsparseL19gebsrmvn_2xn_kernelILj128ELj13ELj8EfEEvi20rocsparse_direction_NS_24const_host_device_scalarIT2_EEPKiS6_PKS3_S8_S4_PS3_21rocsparse_index_base_b.kd
    .uniform_work_group_size: 1
    .uses_dynamic_stack: false
    .vgpr_count:     54
    .vgpr_spill_count: 0
    .wavefront_size: 32
    .workgroup_processor_mode: 1
  - .args:
      - .offset:         0
        .size:           4
        .value_kind:     by_value
      - .offset:         4
        .size:           4
        .value_kind:     by_value
      - .offset:         8
        .size:           8
        .value_kind:     by_value
      - .actual_access:  read_only
        .address_space:  global
        .offset:         16
        .size:           8
        .value_kind:     global_buffer
      - .actual_access:  read_only
        .address_space:  global
        .offset:         24
        .size:           8
        .value_kind:     global_buffer
      - .actual_access:  read_only
        .address_space:  global
        .offset:         32
        .size:           8
        .value_kind:     global_buffer
      - .actual_access:  read_only
        .address_space:  global
        .offset:         40
        .size:           8
        .value_kind:     global_buffer
      - .offset:         48
        .size:           8
        .value_kind:     by_value
      - .address_space:  global
        .offset:         56
        .size:           8
        .value_kind:     global_buffer
      - .offset:         64
        .size:           4
        .value_kind:     by_value
      - .offset:         68
        .size:           1
        .value_kind:     by_value
    .group_segment_fixed_size: 0
    .kernarg_segment_align: 8
    .kernarg_segment_size: 72
    .language:       OpenCL C
    .language_version:
      - 2
      - 0
    .max_flat_workgroup_size: 128
    .name:           _ZN9rocsparseL19gebsrmvn_2xn_kernelILj128ELj13ELj16EfEEvi20rocsparse_direction_NS_24const_host_device_scalarIT2_EEPKiS6_PKS3_S8_S4_PS3_21rocsparse_index_base_b
    .private_segment_fixed_size: 0
    .sgpr_count:     22
    .sgpr_spill_count: 0
    .symbol:         _ZN9rocsparseL19gebsrmvn_2xn_kernelILj128ELj13ELj16EfEEvi20rocsparse_direction_NS_24const_host_device_scalarIT2_EEPKiS6_PKS3_S8_S4_PS3_21rocsparse_index_base_b.kd
    .uniform_work_group_size: 1
    .uses_dynamic_stack: false
    .vgpr_count:     54
    .vgpr_spill_count: 0
    .wavefront_size: 32
    .workgroup_processor_mode: 1
  - .args:
      - .offset:         0
        .size:           4
        .value_kind:     by_value
      - .offset:         4
        .size:           4
        .value_kind:     by_value
      - .offset:         8
        .size:           8
        .value_kind:     by_value
      - .actual_access:  read_only
        .address_space:  global
        .offset:         16
        .size:           8
        .value_kind:     global_buffer
      - .actual_access:  read_only
        .address_space:  global
        .offset:         24
        .size:           8
        .value_kind:     global_buffer
      - .actual_access:  read_only
        .address_space:  global
        .offset:         32
        .size:           8
        .value_kind:     global_buffer
      - .actual_access:  read_only
        .address_space:  global
        .offset:         40
        .size:           8
        .value_kind:     global_buffer
      - .offset:         48
        .size:           8
        .value_kind:     by_value
      - .address_space:  global
        .offset:         56
        .size:           8
        .value_kind:     global_buffer
      - .offset:         64
        .size:           4
        .value_kind:     by_value
      - .offset:         68
        .size:           1
        .value_kind:     by_value
    .group_segment_fixed_size: 0
    .kernarg_segment_align: 8
    .kernarg_segment_size: 72
    .language:       OpenCL C
    .language_version:
      - 2
      - 0
    .max_flat_workgroup_size: 128
    .name:           _ZN9rocsparseL19gebsrmvn_2xn_kernelILj128ELj13ELj32EfEEvi20rocsparse_direction_NS_24const_host_device_scalarIT2_EEPKiS6_PKS3_S8_S4_PS3_21rocsparse_index_base_b
    .private_segment_fixed_size: 0
    .sgpr_count:     22
    .sgpr_spill_count: 0
    .symbol:         _ZN9rocsparseL19gebsrmvn_2xn_kernelILj128ELj13ELj32EfEEvi20rocsparse_direction_NS_24const_host_device_scalarIT2_EEPKiS6_PKS3_S8_S4_PS3_21rocsparse_index_base_b.kd
    .uniform_work_group_size: 1
    .uses_dynamic_stack: false
    .vgpr_count:     54
    .vgpr_spill_count: 0
    .wavefront_size: 32
    .workgroup_processor_mode: 1
  - .args:
      - .offset:         0
        .size:           4
        .value_kind:     by_value
      - .offset:         4
        .size:           4
        .value_kind:     by_value
      - .offset:         8
        .size:           8
        .value_kind:     by_value
      - .actual_access:  read_only
        .address_space:  global
        .offset:         16
        .size:           8
        .value_kind:     global_buffer
      - .actual_access:  read_only
        .address_space:  global
        .offset:         24
        .size:           8
        .value_kind:     global_buffer
      - .actual_access:  read_only
        .address_space:  global
        .offset:         32
        .size:           8
        .value_kind:     global_buffer
      - .actual_access:  read_only
        .address_space:  global
        .offset:         40
        .size:           8
        .value_kind:     global_buffer
      - .offset:         48
        .size:           8
        .value_kind:     by_value
      - .address_space:  global
        .offset:         56
        .size:           8
        .value_kind:     global_buffer
      - .offset:         64
        .size:           4
        .value_kind:     by_value
      - .offset:         68
        .size:           1
        .value_kind:     by_value
    .group_segment_fixed_size: 0
    .kernarg_segment_align: 8
    .kernarg_segment_size: 72
    .language:       OpenCL C
    .language_version:
      - 2
      - 0
    .max_flat_workgroup_size: 128
    .name:           _ZN9rocsparseL19gebsrmvn_2xn_kernelILj128ELj13ELj64EfEEvi20rocsparse_direction_NS_24const_host_device_scalarIT2_EEPKiS6_PKS3_S8_S4_PS3_21rocsparse_index_base_b
    .private_segment_fixed_size: 0
    .sgpr_count:     22
    .sgpr_spill_count: 0
    .symbol:         _ZN9rocsparseL19gebsrmvn_2xn_kernelILj128ELj13ELj64EfEEvi20rocsparse_direction_NS_24const_host_device_scalarIT2_EEPKiS6_PKS3_S8_S4_PS3_21rocsparse_index_base_b.kd
    .uniform_work_group_size: 1
    .uses_dynamic_stack: false
    .vgpr_count:     54
    .vgpr_spill_count: 0
    .wavefront_size: 32
    .workgroup_processor_mode: 1
  - .args:
      - .offset:         0
        .size:           4
        .value_kind:     by_value
      - .offset:         4
        .size:           4
        .value_kind:     by_value
      - .offset:         8
        .size:           8
        .value_kind:     by_value
      - .actual_access:  read_only
        .address_space:  global
        .offset:         16
        .size:           8
        .value_kind:     global_buffer
      - .actual_access:  read_only
        .address_space:  global
        .offset:         24
        .size:           8
        .value_kind:     global_buffer
      - .actual_access:  read_only
        .address_space:  global
        .offset:         32
        .size:           8
        .value_kind:     global_buffer
      - .actual_access:  read_only
        .address_space:  global
        .offset:         40
        .size:           8
        .value_kind:     global_buffer
      - .offset:         48
        .size:           8
        .value_kind:     by_value
      - .address_space:  global
        .offset:         56
        .size:           8
        .value_kind:     global_buffer
      - .offset:         64
        .size:           4
        .value_kind:     by_value
      - .offset:         68
        .size:           1
        .value_kind:     by_value
    .group_segment_fixed_size: 0
    .kernarg_segment_align: 8
    .kernarg_segment_size: 72
    .language:       OpenCL C
    .language_version:
      - 2
      - 0
    .max_flat_workgroup_size: 128
    .name:           _ZN9rocsparseL19gebsrmvn_2xn_kernelILj128ELj14ELj4EfEEvi20rocsparse_direction_NS_24const_host_device_scalarIT2_EEPKiS6_PKS3_S8_S4_PS3_21rocsparse_index_base_b
    .private_segment_fixed_size: 0
    .sgpr_count:     22
    .sgpr_spill_count: 0
    .symbol:         _ZN9rocsparseL19gebsrmvn_2xn_kernelILj128ELj14ELj4EfEEvi20rocsparse_direction_NS_24const_host_device_scalarIT2_EEPKiS6_PKS3_S8_S4_PS3_21rocsparse_index_base_b.kd
    .uniform_work_group_size: 1
    .uses_dynamic_stack: false
    .vgpr_count:     55
    .vgpr_spill_count: 0
    .wavefront_size: 32
    .workgroup_processor_mode: 1
  - .args:
      - .offset:         0
        .size:           4
        .value_kind:     by_value
      - .offset:         4
        .size:           4
        .value_kind:     by_value
      - .offset:         8
        .size:           8
        .value_kind:     by_value
      - .actual_access:  read_only
        .address_space:  global
        .offset:         16
        .size:           8
        .value_kind:     global_buffer
      - .actual_access:  read_only
        .address_space:  global
        .offset:         24
        .size:           8
        .value_kind:     global_buffer
      - .actual_access:  read_only
        .address_space:  global
        .offset:         32
        .size:           8
        .value_kind:     global_buffer
      - .actual_access:  read_only
        .address_space:  global
        .offset:         40
        .size:           8
        .value_kind:     global_buffer
      - .offset:         48
        .size:           8
        .value_kind:     by_value
      - .address_space:  global
        .offset:         56
        .size:           8
        .value_kind:     global_buffer
      - .offset:         64
        .size:           4
        .value_kind:     by_value
      - .offset:         68
        .size:           1
        .value_kind:     by_value
    .group_segment_fixed_size: 0
    .kernarg_segment_align: 8
    .kernarg_segment_size: 72
    .language:       OpenCL C
    .language_version:
      - 2
      - 0
    .max_flat_workgroup_size: 128
    .name:           _ZN9rocsparseL19gebsrmvn_2xn_kernelILj128ELj14ELj8EfEEvi20rocsparse_direction_NS_24const_host_device_scalarIT2_EEPKiS6_PKS3_S8_S4_PS3_21rocsparse_index_base_b
    .private_segment_fixed_size: 0
    .sgpr_count:     22
    .sgpr_spill_count: 0
    .symbol:         _ZN9rocsparseL19gebsrmvn_2xn_kernelILj128ELj14ELj8EfEEvi20rocsparse_direction_NS_24const_host_device_scalarIT2_EEPKiS6_PKS3_S8_S4_PS3_21rocsparse_index_base_b.kd
    .uniform_work_group_size: 1
    .uses_dynamic_stack: false
    .vgpr_count:     55
    .vgpr_spill_count: 0
    .wavefront_size: 32
    .workgroup_processor_mode: 1
  - .args:
      - .offset:         0
        .size:           4
        .value_kind:     by_value
      - .offset:         4
        .size:           4
        .value_kind:     by_value
      - .offset:         8
        .size:           8
        .value_kind:     by_value
      - .actual_access:  read_only
        .address_space:  global
        .offset:         16
        .size:           8
        .value_kind:     global_buffer
      - .actual_access:  read_only
        .address_space:  global
        .offset:         24
        .size:           8
        .value_kind:     global_buffer
      - .actual_access:  read_only
        .address_space:  global
        .offset:         32
        .size:           8
        .value_kind:     global_buffer
      - .actual_access:  read_only
        .address_space:  global
        .offset:         40
        .size:           8
        .value_kind:     global_buffer
      - .offset:         48
        .size:           8
        .value_kind:     by_value
      - .address_space:  global
        .offset:         56
        .size:           8
        .value_kind:     global_buffer
      - .offset:         64
        .size:           4
        .value_kind:     by_value
      - .offset:         68
        .size:           1
        .value_kind:     by_value
    .group_segment_fixed_size: 0
    .kernarg_segment_align: 8
    .kernarg_segment_size: 72
    .language:       OpenCL C
    .language_version:
      - 2
      - 0
    .max_flat_workgroup_size: 128
    .name:           _ZN9rocsparseL19gebsrmvn_2xn_kernelILj128ELj14ELj16EfEEvi20rocsparse_direction_NS_24const_host_device_scalarIT2_EEPKiS6_PKS3_S8_S4_PS3_21rocsparse_index_base_b
    .private_segment_fixed_size: 0
    .sgpr_count:     22
    .sgpr_spill_count: 0
    .symbol:         _ZN9rocsparseL19gebsrmvn_2xn_kernelILj128ELj14ELj16EfEEvi20rocsparse_direction_NS_24const_host_device_scalarIT2_EEPKiS6_PKS3_S8_S4_PS3_21rocsparse_index_base_b.kd
    .uniform_work_group_size: 1
    .uses_dynamic_stack: false
    .vgpr_count:     55
    .vgpr_spill_count: 0
    .wavefront_size: 32
    .workgroup_processor_mode: 1
  - .args:
      - .offset:         0
        .size:           4
        .value_kind:     by_value
      - .offset:         4
        .size:           4
        .value_kind:     by_value
      - .offset:         8
        .size:           8
        .value_kind:     by_value
      - .actual_access:  read_only
        .address_space:  global
        .offset:         16
        .size:           8
        .value_kind:     global_buffer
      - .actual_access:  read_only
        .address_space:  global
        .offset:         24
        .size:           8
        .value_kind:     global_buffer
      - .actual_access:  read_only
        .address_space:  global
        .offset:         32
        .size:           8
        .value_kind:     global_buffer
      - .actual_access:  read_only
        .address_space:  global
        .offset:         40
        .size:           8
        .value_kind:     global_buffer
      - .offset:         48
        .size:           8
        .value_kind:     by_value
      - .address_space:  global
        .offset:         56
        .size:           8
        .value_kind:     global_buffer
      - .offset:         64
        .size:           4
        .value_kind:     by_value
      - .offset:         68
        .size:           1
        .value_kind:     by_value
    .group_segment_fixed_size: 0
    .kernarg_segment_align: 8
    .kernarg_segment_size: 72
    .language:       OpenCL C
    .language_version:
      - 2
      - 0
    .max_flat_workgroup_size: 128
    .name:           _ZN9rocsparseL19gebsrmvn_2xn_kernelILj128ELj14ELj32EfEEvi20rocsparse_direction_NS_24const_host_device_scalarIT2_EEPKiS6_PKS3_S8_S4_PS3_21rocsparse_index_base_b
    .private_segment_fixed_size: 0
    .sgpr_count:     22
    .sgpr_spill_count: 0
    .symbol:         _ZN9rocsparseL19gebsrmvn_2xn_kernelILj128ELj14ELj32EfEEvi20rocsparse_direction_NS_24const_host_device_scalarIT2_EEPKiS6_PKS3_S8_S4_PS3_21rocsparse_index_base_b.kd
    .uniform_work_group_size: 1
    .uses_dynamic_stack: false
    .vgpr_count:     55
    .vgpr_spill_count: 0
    .wavefront_size: 32
    .workgroup_processor_mode: 1
  - .args:
      - .offset:         0
        .size:           4
        .value_kind:     by_value
      - .offset:         4
        .size:           4
        .value_kind:     by_value
      - .offset:         8
        .size:           8
        .value_kind:     by_value
      - .actual_access:  read_only
        .address_space:  global
        .offset:         16
        .size:           8
        .value_kind:     global_buffer
      - .actual_access:  read_only
        .address_space:  global
        .offset:         24
        .size:           8
        .value_kind:     global_buffer
      - .actual_access:  read_only
        .address_space:  global
        .offset:         32
        .size:           8
        .value_kind:     global_buffer
      - .actual_access:  read_only
        .address_space:  global
        .offset:         40
        .size:           8
        .value_kind:     global_buffer
      - .offset:         48
        .size:           8
        .value_kind:     by_value
      - .address_space:  global
        .offset:         56
        .size:           8
        .value_kind:     global_buffer
      - .offset:         64
        .size:           4
        .value_kind:     by_value
      - .offset:         68
        .size:           1
        .value_kind:     by_value
    .group_segment_fixed_size: 0
    .kernarg_segment_align: 8
    .kernarg_segment_size: 72
    .language:       OpenCL C
    .language_version:
      - 2
      - 0
    .max_flat_workgroup_size: 128
    .name:           _ZN9rocsparseL19gebsrmvn_2xn_kernelILj128ELj14ELj64EfEEvi20rocsparse_direction_NS_24const_host_device_scalarIT2_EEPKiS6_PKS3_S8_S4_PS3_21rocsparse_index_base_b
    .private_segment_fixed_size: 0
    .sgpr_count:     22
    .sgpr_spill_count: 0
    .symbol:         _ZN9rocsparseL19gebsrmvn_2xn_kernelILj128ELj14ELj64EfEEvi20rocsparse_direction_NS_24const_host_device_scalarIT2_EEPKiS6_PKS3_S8_S4_PS3_21rocsparse_index_base_b.kd
    .uniform_work_group_size: 1
    .uses_dynamic_stack: false
    .vgpr_count:     55
    .vgpr_spill_count: 0
    .wavefront_size: 32
    .workgroup_processor_mode: 1
  - .args:
      - .offset:         0
        .size:           4
        .value_kind:     by_value
      - .offset:         4
        .size:           4
        .value_kind:     by_value
      - .offset:         8
        .size:           8
        .value_kind:     by_value
      - .actual_access:  read_only
        .address_space:  global
        .offset:         16
        .size:           8
        .value_kind:     global_buffer
      - .actual_access:  read_only
        .address_space:  global
        .offset:         24
        .size:           8
        .value_kind:     global_buffer
      - .actual_access:  read_only
        .address_space:  global
        .offset:         32
        .size:           8
        .value_kind:     global_buffer
      - .actual_access:  read_only
        .address_space:  global
        .offset:         40
        .size:           8
        .value_kind:     global_buffer
      - .offset:         48
        .size:           8
        .value_kind:     by_value
      - .address_space:  global
        .offset:         56
        .size:           8
        .value_kind:     global_buffer
      - .offset:         64
        .size:           4
        .value_kind:     by_value
      - .offset:         68
        .size:           1
        .value_kind:     by_value
    .group_segment_fixed_size: 0
    .kernarg_segment_align: 8
    .kernarg_segment_size: 72
    .language:       OpenCL C
    .language_version:
      - 2
      - 0
    .max_flat_workgroup_size: 128
    .name:           _ZN9rocsparseL19gebsrmvn_2xn_kernelILj128ELj15ELj4EfEEvi20rocsparse_direction_NS_24const_host_device_scalarIT2_EEPKiS6_PKS3_S8_S4_PS3_21rocsparse_index_base_b
    .private_segment_fixed_size: 0
    .sgpr_count:     22
    .sgpr_spill_count: 0
    .symbol:         _ZN9rocsparseL19gebsrmvn_2xn_kernelILj128ELj15ELj4EfEEvi20rocsparse_direction_NS_24const_host_device_scalarIT2_EEPKiS6_PKS3_S8_S4_PS3_21rocsparse_index_base_b.kd
    .uniform_work_group_size: 1
    .uses_dynamic_stack: false
    .vgpr_count:     60
    .vgpr_spill_count: 0
    .wavefront_size: 32
    .workgroup_processor_mode: 1
  - .args:
      - .offset:         0
        .size:           4
        .value_kind:     by_value
      - .offset:         4
        .size:           4
        .value_kind:     by_value
      - .offset:         8
        .size:           8
        .value_kind:     by_value
      - .actual_access:  read_only
        .address_space:  global
        .offset:         16
        .size:           8
        .value_kind:     global_buffer
      - .actual_access:  read_only
        .address_space:  global
        .offset:         24
        .size:           8
        .value_kind:     global_buffer
      - .actual_access:  read_only
        .address_space:  global
        .offset:         32
        .size:           8
        .value_kind:     global_buffer
      - .actual_access:  read_only
        .address_space:  global
        .offset:         40
        .size:           8
        .value_kind:     global_buffer
      - .offset:         48
        .size:           8
        .value_kind:     by_value
      - .address_space:  global
        .offset:         56
        .size:           8
        .value_kind:     global_buffer
      - .offset:         64
        .size:           4
        .value_kind:     by_value
      - .offset:         68
        .size:           1
        .value_kind:     by_value
    .group_segment_fixed_size: 0
    .kernarg_segment_align: 8
    .kernarg_segment_size: 72
    .language:       OpenCL C
    .language_version:
      - 2
      - 0
    .max_flat_workgroup_size: 128
    .name:           _ZN9rocsparseL19gebsrmvn_2xn_kernelILj128ELj15ELj8EfEEvi20rocsparse_direction_NS_24const_host_device_scalarIT2_EEPKiS6_PKS3_S8_S4_PS3_21rocsparse_index_base_b
    .private_segment_fixed_size: 0
    .sgpr_count:     22
    .sgpr_spill_count: 0
    .symbol:         _ZN9rocsparseL19gebsrmvn_2xn_kernelILj128ELj15ELj8EfEEvi20rocsparse_direction_NS_24const_host_device_scalarIT2_EEPKiS6_PKS3_S8_S4_PS3_21rocsparse_index_base_b.kd
    .uniform_work_group_size: 1
    .uses_dynamic_stack: false
    .vgpr_count:     60
    .vgpr_spill_count: 0
    .wavefront_size: 32
    .workgroup_processor_mode: 1
  - .args:
      - .offset:         0
        .size:           4
        .value_kind:     by_value
      - .offset:         4
        .size:           4
        .value_kind:     by_value
      - .offset:         8
        .size:           8
        .value_kind:     by_value
      - .actual_access:  read_only
        .address_space:  global
        .offset:         16
        .size:           8
        .value_kind:     global_buffer
      - .actual_access:  read_only
        .address_space:  global
        .offset:         24
        .size:           8
        .value_kind:     global_buffer
      - .actual_access:  read_only
        .address_space:  global
        .offset:         32
        .size:           8
        .value_kind:     global_buffer
      - .actual_access:  read_only
        .address_space:  global
        .offset:         40
        .size:           8
        .value_kind:     global_buffer
      - .offset:         48
        .size:           8
        .value_kind:     by_value
      - .address_space:  global
        .offset:         56
        .size:           8
        .value_kind:     global_buffer
      - .offset:         64
        .size:           4
        .value_kind:     by_value
      - .offset:         68
        .size:           1
        .value_kind:     by_value
    .group_segment_fixed_size: 0
    .kernarg_segment_align: 8
    .kernarg_segment_size: 72
    .language:       OpenCL C
    .language_version:
      - 2
      - 0
    .max_flat_workgroup_size: 128
    .name:           _ZN9rocsparseL19gebsrmvn_2xn_kernelILj128ELj15ELj16EfEEvi20rocsparse_direction_NS_24const_host_device_scalarIT2_EEPKiS6_PKS3_S8_S4_PS3_21rocsparse_index_base_b
    .private_segment_fixed_size: 0
    .sgpr_count:     22
    .sgpr_spill_count: 0
    .symbol:         _ZN9rocsparseL19gebsrmvn_2xn_kernelILj128ELj15ELj16EfEEvi20rocsparse_direction_NS_24const_host_device_scalarIT2_EEPKiS6_PKS3_S8_S4_PS3_21rocsparse_index_base_b.kd
    .uniform_work_group_size: 1
    .uses_dynamic_stack: false
    .vgpr_count:     60
    .vgpr_spill_count: 0
    .wavefront_size: 32
    .workgroup_processor_mode: 1
  - .args:
      - .offset:         0
        .size:           4
        .value_kind:     by_value
      - .offset:         4
        .size:           4
        .value_kind:     by_value
      - .offset:         8
        .size:           8
        .value_kind:     by_value
      - .actual_access:  read_only
        .address_space:  global
        .offset:         16
        .size:           8
        .value_kind:     global_buffer
      - .actual_access:  read_only
        .address_space:  global
        .offset:         24
        .size:           8
        .value_kind:     global_buffer
      - .actual_access:  read_only
        .address_space:  global
        .offset:         32
        .size:           8
        .value_kind:     global_buffer
      - .actual_access:  read_only
        .address_space:  global
        .offset:         40
        .size:           8
        .value_kind:     global_buffer
      - .offset:         48
        .size:           8
        .value_kind:     by_value
      - .address_space:  global
        .offset:         56
        .size:           8
        .value_kind:     global_buffer
      - .offset:         64
        .size:           4
        .value_kind:     by_value
      - .offset:         68
        .size:           1
        .value_kind:     by_value
    .group_segment_fixed_size: 0
    .kernarg_segment_align: 8
    .kernarg_segment_size: 72
    .language:       OpenCL C
    .language_version:
      - 2
      - 0
    .max_flat_workgroup_size: 128
    .name:           _ZN9rocsparseL19gebsrmvn_2xn_kernelILj128ELj15ELj32EfEEvi20rocsparse_direction_NS_24const_host_device_scalarIT2_EEPKiS6_PKS3_S8_S4_PS3_21rocsparse_index_base_b
    .private_segment_fixed_size: 0
    .sgpr_count:     22
    .sgpr_spill_count: 0
    .symbol:         _ZN9rocsparseL19gebsrmvn_2xn_kernelILj128ELj15ELj32EfEEvi20rocsparse_direction_NS_24const_host_device_scalarIT2_EEPKiS6_PKS3_S8_S4_PS3_21rocsparse_index_base_b.kd
    .uniform_work_group_size: 1
    .uses_dynamic_stack: false
    .vgpr_count:     60
    .vgpr_spill_count: 0
    .wavefront_size: 32
    .workgroup_processor_mode: 1
  - .args:
      - .offset:         0
        .size:           4
        .value_kind:     by_value
      - .offset:         4
        .size:           4
        .value_kind:     by_value
      - .offset:         8
        .size:           8
        .value_kind:     by_value
      - .actual_access:  read_only
        .address_space:  global
        .offset:         16
        .size:           8
        .value_kind:     global_buffer
      - .actual_access:  read_only
        .address_space:  global
        .offset:         24
        .size:           8
        .value_kind:     global_buffer
      - .actual_access:  read_only
        .address_space:  global
        .offset:         32
        .size:           8
        .value_kind:     global_buffer
      - .actual_access:  read_only
        .address_space:  global
        .offset:         40
        .size:           8
        .value_kind:     global_buffer
      - .offset:         48
        .size:           8
        .value_kind:     by_value
      - .address_space:  global
        .offset:         56
        .size:           8
        .value_kind:     global_buffer
      - .offset:         64
        .size:           4
        .value_kind:     by_value
      - .offset:         68
        .size:           1
        .value_kind:     by_value
    .group_segment_fixed_size: 0
    .kernarg_segment_align: 8
    .kernarg_segment_size: 72
    .language:       OpenCL C
    .language_version:
      - 2
      - 0
    .max_flat_workgroup_size: 128
    .name:           _ZN9rocsparseL19gebsrmvn_2xn_kernelILj128ELj15ELj64EfEEvi20rocsparse_direction_NS_24const_host_device_scalarIT2_EEPKiS6_PKS3_S8_S4_PS3_21rocsparse_index_base_b
    .private_segment_fixed_size: 0
    .sgpr_count:     22
    .sgpr_spill_count: 0
    .symbol:         _ZN9rocsparseL19gebsrmvn_2xn_kernelILj128ELj15ELj64EfEEvi20rocsparse_direction_NS_24const_host_device_scalarIT2_EEPKiS6_PKS3_S8_S4_PS3_21rocsparse_index_base_b.kd
    .uniform_work_group_size: 1
    .uses_dynamic_stack: false
    .vgpr_count:     60
    .vgpr_spill_count: 0
    .wavefront_size: 32
    .workgroup_processor_mode: 1
  - .args:
      - .offset:         0
        .size:           4
        .value_kind:     by_value
      - .offset:         4
        .size:           4
        .value_kind:     by_value
      - .offset:         8
        .size:           8
        .value_kind:     by_value
      - .actual_access:  read_only
        .address_space:  global
        .offset:         16
        .size:           8
        .value_kind:     global_buffer
      - .actual_access:  read_only
        .address_space:  global
        .offset:         24
        .size:           8
        .value_kind:     global_buffer
      - .actual_access:  read_only
        .address_space:  global
        .offset:         32
        .size:           8
        .value_kind:     global_buffer
      - .actual_access:  read_only
        .address_space:  global
        .offset:         40
        .size:           8
        .value_kind:     global_buffer
      - .offset:         48
        .size:           8
        .value_kind:     by_value
      - .address_space:  global
        .offset:         56
        .size:           8
        .value_kind:     global_buffer
      - .offset:         64
        .size:           4
        .value_kind:     by_value
      - .offset:         68
        .size:           1
        .value_kind:     by_value
    .group_segment_fixed_size: 0
    .kernarg_segment_align: 8
    .kernarg_segment_size: 72
    .language:       OpenCL C
    .language_version:
      - 2
      - 0
    .max_flat_workgroup_size: 128
    .name:           _ZN9rocsparseL19gebsrmvn_2xn_kernelILj128ELj16ELj4EfEEvi20rocsparse_direction_NS_24const_host_device_scalarIT2_EEPKiS6_PKS3_S8_S4_PS3_21rocsparse_index_base_b
    .private_segment_fixed_size: 0
    .sgpr_count:     22
    .sgpr_spill_count: 0
    .symbol:         _ZN9rocsparseL19gebsrmvn_2xn_kernelILj128ELj16ELj4EfEEvi20rocsparse_direction_NS_24const_host_device_scalarIT2_EEPKiS6_PKS3_S8_S4_PS3_21rocsparse_index_base_b.kd
    .uniform_work_group_size: 1
    .uses_dynamic_stack: false
    .vgpr_count:     58
    .vgpr_spill_count: 0
    .wavefront_size: 32
    .workgroup_processor_mode: 1
  - .args:
      - .offset:         0
        .size:           4
        .value_kind:     by_value
      - .offset:         4
        .size:           4
        .value_kind:     by_value
      - .offset:         8
        .size:           8
        .value_kind:     by_value
      - .actual_access:  read_only
        .address_space:  global
        .offset:         16
        .size:           8
        .value_kind:     global_buffer
      - .actual_access:  read_only
        .address_space:  global
        .offset:         24
        .size:           8
        .value_kind:     global_buffer
      - .actual_access:  read_only
        .address_space:  global
        .offset:         32
        .size:           8
        .value_kind:     global_buffer
      - .actual_access:  read_only
        .address_space:  global
        .offset:         40
        .size:           8
        .value_kind:     global_buffer
      - .offset:         48
        .size:           8
        .value_kind:     by_value
      - .address_space:  global
        .offset:         56
        .size:           8
        .value_kind:     global_buffer
      - .offset:         64
        .size:           4
        .value_kind:     by_value
      - .offset:         68
        .size:           1
        .value_kind:     by_value
    .group_segment_fixed_size: 0
    .kernarg_segment_align: 8
    .kernarg_segment_size: 72
    .language:       OpenCL C
    .language_version:
      - 2
      - 0
    .max_flat_workgroup_size: 128
    .name:           _ZN9rocsparseL19gebsrmvn_2xn_kernelILj128ELj16ELj8EfEEvi20rocsparse_direction_NS_24const_host_device_scalarIT2_EEPKiS6_PKS3_S8_S4_PS3_21rocsparse_index_base_b
    .private_segment_fixed_size: 0
    .sgpr_count:     22
    .sgpr_spill_count: 0
    .symbol:         _ZN9rocsparseL19gebsrmvn_2xn_kernelILj128ELj16ELj8EfEEvi20rocsparse_direction_NS_24const_host_device_scalarIT2_EEPKiS6_PKS3_S8_S4_PS3_21rocsparse_index_base_b.kd
    .uniform_work_group_size: 1
    .uses_dynamic_stack: false
    .vgpr_count:     58
    .vgpr_spill_count: 0
    .wavefront_size: 32
    .workgroup_processor_mode: 1
  - .args:
      - .offset:         0
        .size:           4
        .value_kind:     by_value
      - .offset:         4
        .size:           4
        .value_kind:     by_value
      - .offset:         8
        .size:           8
        .value_kind:     by_value
      - .actual_access:  read_only
        .address_space:  global
        .offset:         16
        .size:           8
        .value_kind:     global_buffer
      - .actual_access:  read_only
        .address_space:  global
        .offset:         24
        .size:           8
        .value_kind:     global_buffer
      - .actual_access:  read_only
        .address_space:  global
        .offset:         32
        .size:           8
        .value_kind:     global_buffer
      - .actual_access:  read_only
        .address_space:  global
        .offset:         40
        .size:           8
        .value_kind:     global_buffer
      - .offset:         48
        .size:           8
        .value_kind:     by_value
      - .address_space:  global
        .offset:         56
        .size:           8
        .value_kind:     global_buffer
      - .offset:         64
        .size:           4
        .value_kind:     by_value
      - .offset:         68
        .size:           1
        .value_kind:     by_value
    .group_segment_fixed_size: 0
    .kernarg_segment_align: 8
    .kernarg_segment_size: 72
    .language:       OpenCL C
    .language_version:
      - 2
      - 0
    .max_flat_workgroup_size: 128
    .name:           _ZN9rocsparseL19gebsrmvn_2xn_kernelILj128ELj16ELj16EfEEvi20rocsparse_direction_NS_24const_host_device_scalarIT2_EEPKiS6_PKS3_S8_S4_PS3_21rocsparse_index_base_b
    .private_segment_fixed_size: 0
    .sgpr_count:     22
    .sgpr_spill_count: 0
    .symbol:         _ZN9rocsparseL19gebsrmvn_2xn_kernelILj128ELj16ELj16EfEEvi20rocsparse_direction_NS_24const_host_device_scalarIT2_EEPKiS6_PKS3_S8_S4_PS3_21rocsparse_index_base_b.kd
    .uniform_work_group_size: 1
    .uses_dynamic_stack: false
    .vgpr_count:     58
    .vgpr_spill_count: 0
    .wavefront_size: 32
    .workgroup_processor_mode: 1
  - .args:
      - .offset:         0
        .size:           4
        .value_kind:     by_value
      - .offset:         4
        .size:           4
        .value_kind:     by_value
      - .offset:         8
        .size:           8
        .value_kind:     by_value
      - .actual_access:  read_only
        .address_space:  global
        .offset:         16
        .size:           8
        .value_kind:     global_buffer
      - .actual_access:  read_only
        .address_space:  global
        .offset:         24
        .size:           8
        .value_kind:     global_buffer
      - .actual_access:  read_only
        .address_space:  global
        .offset:         32
        .size:           8
        .value_kind:     global_buffer
      - .actual_access:  read_only
        .address_space:  global
        .offset:         40
        .size:           8
        .value_kind:     global_buffer
      - .offset:         48
        .size:           8
        .value_kind:     by_value
      - .address_space:  global
        .offset:         56
        .size:           8
        .value_kind:     global_buffer
      - .offset:         64
        .size:           4
        .value_kind:     by_value
      - .offset:         68
        .size:           1
        .value_kind:     by_value
    .group_segment_fixed_size: 0
    .kernarg_segment_align: 8
    .kernarg_segment_size: 72
    .language:       OpenCL C
    .language_version:
      - 2
      - 0
    .max_flat_workgroup_size: 128
    .name:           _ZN9rocsparseL19gebsrmvn_2xn_kernelILj128ELj16ELj32EfEEvi20rocsparse_direction_NS_24const_host_device_scalarIT2_EEPKiS6_PKS3_S8_S4_PS3_21rocsparse_index_base_b
    .private_segment_fixed_size: 0
    .sgpr_count:     22
    .sgpr_spill_count: 0
    .symbol:         _ZN9rocsparseL19gebsrmvn_2xn_kernelILj128ELj16ELj32EfEEvi20rocsparse_direction_NS_24const_host_device_scalarIT2_EEPKiS6_PKS3_S8_S4_PS3_21rocsparse_index_base_b.kd
    .uniform_work_group_size: 1
    .uses_dynamic_stack: false
    .vgpr_count:     58
    .vgpr_spill_count: 0
    .wavefront_size: 32
    .workgroup_processor_mode: 1
  - .args:
      - .offset:         0
        .size:           4
        .value_kind:     by_value
      - .offset:         4
        .size:           4
        .value_kind:     by_value
      - .offset:         8
        .size:           8
        .value_kind:     by_value
      - .actual_access:  read_only
        .address_space:  global
        .offset:         16
        .size:           8
        .value_kind:     global_buffer
      - .actual_access:  read_only
        .address_space:  global
        .offset:         24
        .size:           8
        .value_kind:     global_buffer
      - .actual_access:  read_only
        .address_space:  global
        .offset:         32
        .size:           8
        .value_kind:     global_buffer
      - .actual_access:  read_only
        .address_space:  global
        .offset:         40
        .size:           8
        .value_kind:     global_buffer
      - .offset:         48
        .size:           8
        .value_kind:     by_value
      - .address_space:  global
        .offset:         56
        .size:           8
        .value_kind:     global_buffer
      - .offset:         64
        .size:           4
        .value_kind:     by_value
      - .offset:         68
        .size:           1
        .value_kind:     by_value
    .group_segment_fixed_size: 0
    .kernarg_segment_align: 8
    .kernarg_segment_size: 72
    .language:       OpenCL C
    .language_version:
      - 2
      - 0
    .max_flat_workgroup_size: 128
    .name:           _ZN9rocsparseL19gebsrmvn_2xn_kernelILj128ELj16ELj64EfEEvi20rocsparse_direction_NS_24const_host_device_scalarIT2_EEPKiS6_PKS3_S8_S4_PS3_21rocsparse_index_base_b
    .private_segment_fixed_size: 0
    .sgpr_count:     22
    .sgpr_spill_count: 0
    .symbol:         _ZN9rocsparseL19gebsrmvn_2xn_kernelILj128ELj16ELj64EfEEvi20rocsparse_direction_NS_24const_host_device_scalarIT2_EEPKiS6_PKS3_S8_S4_PS3_21rocsparse_index_base_b.kd
    .uniform_work_group_size: 1
    .uses_dynamic_stack: false
    .vgpr_count:     58
    .vgpr_spill_count: 0
    .wavefront_size: 32
    .workgroup_processor_mode: 1
  - .args:
      - .offset:         0
        .size:           4
        .value_kind:     by_value
      - .offset:         4
        .size:           4
        .value_kind:     by_value
      - .offset:         8
        .size:           8
        .value_kind:     by_value
      - .actual_access:  read_only
        .address_space:  global
        .offset:         16
        .size:           8
        .value_kind:     global_buffer
      - .actual_access:  read_only
        .address_space:  global
        .offset:         24
        .size:           8
        .value_kind:     global_buffer
      - .actual_access:  read_only
        .address_space:  global
        .offset:         32
        .size:           8
        .value_kind:     global_buffer
      - .offset:         40
        .size:           4
        .value_kind:     by_value
      - .offset:         44
        .size:           4
        .value_kind:     by_value
      - .actual_access:  read_only
        .address_space:  global
        .offset:         48
        .size:           8
        .value_kind:     global_buffer
      - .offset:         56
        .size:           8
        .value_kind:     by_value
      - .address_space:  global
        .offset:         64
        .size:           8
        .value_kind:     global_buffer
      - .offset:         72
        .size:           4
        .value_kind:     by_value
      - .offset:         76
        .size:           1
        .value_kind:     by_value
    .group_segment_fixed_size: 0
    .kernarg_segment_align: 8
    .kernarg_segment_size: 80
    .language:       OpenCL C
    .language_version:
      - 2
      - 0
    .max_flat_workgroup_size: 32
    .name:           _ZN9rocsparseL23gebsrmvn_general_kernelILj32ELj32EfEEvi20rocsparse_direction_NS_24const_host_device_scalarIT1_EEPKiS6_PKS3_iiS8_S4_PS3_21rocsparse_index_base_b
    .private_segment_fixed_size: 0
    .sgpr_count:     30
    .sgpr_spill_count: 0
    .symbol:         _ZN9rocsparseL23gebsrmvn_general_kernelILj32ELj32EfEEvi20rocsparse_direction_NS_24const_host_device_scalarIT1_EEPKiS6_PKS3_iiS8_S4_PS3_21rocsparse_index_base_b.kd
    .uniform_work_group_size: 1
    .uses_dynamic_stack: false
    .vgpr_count:     15
    .vgpr_spill_count: 0
    .wavefront_size: 32
    .workgroup_processor_mode: 1
  - .args:
      - .offset:         0
        .size:           4
        .value_kind:     by_value
      - .offset:         4
        .size:           4
        .value_kind:     by_value
      - .offset:         8
        .size:           8
        .value_kind:     by_value
      - .actual_access:  read_only
        .address_space:  global
        .offset:         16
        .size:           8
        .value_kind:     global_buffer
      - .actual_access:  read_only
        .address_space:  global
        .offset:         24
        .size:           8
        .value_kind:     global_buffer
      - .actual_access:  read_only
        .address_space:  global
        .offset:         32
        .size:           8
        .value_kind:     global_buffer
      - .actual_access:  read_only
        .address_space:  global
        .offset:         40
        .size:           8
        .value_kind:     global_buffer
      - .offset:         48
        .size:           8
        .value_kind:     by_value
      - .address_space:  global
        .offset:         56
        .size:           8
        .value_kind:     global_buffer
      - .offset:         64
        .size:           4
        .value_kind:     by_value
      - .offset:         68
        .size:           1
        .value_kind:     by_value
    .group_segment_fixed_size: 0
    .kernarg_segment_align: 8
    .kernarg_segment_size: 72
    .language:       OpenCL C
    .language_version:
      - 2
      - 0
    .max_flat_workgroup_size: 128
    .name:           _ZN9rocsparseL19gebsrmvn_2xn_kernelILj128ELj1ELj4EdEEvi20rocsparse_direction_NS_24const_host_device_scalarIT2_EEPKiS6_PKS3_S8_S4_PS3_21rocsparse_index_base_b
    .private_segment_fixed_size: 0
    .sgpr_count:     18
    .sgpr_spill_count: 0
    .symbol:         _ZN9rocsparseL19gebsrmvn_2xn_kernelILj128ELj1ELj4EdEEvi20rocsparse_direction_NS_24const_host_device_scalarIT2_EEPKiS6_PKS3_S8_S4_PS3_21rocsparse_index_base_b.kd
    .uniform_work_group_size: 1
    .uses_dynamic_stack: false
    .vgpr_count:     22
    .vgpr_spill_count: 0
    .wavefront_size: 32
    .workgroup_processor_mode: 1
  - .args:
      - .offset:         0
        .size:           4
        .value_kind:     by_value
      - .offset:         4
        .size:           4
        .value_kind:     by_value
      - .offset:         8
        .size:           8
        .value_kind:     by_value
      - .actual_access:  read_only
        .address_space:  global
        .offset:         16
        .size:           8
        .value_kind:     global_buffer
      - .actual_access:  read_only
        .address_space:  global
        .offset:         24
        .size:           8
        .value_kind:     global_buffer
      - .actual_access:  read_only
        .address_space:  global
        .offset:         32
        .size:           8
        .value_kind:     global_buffer
      - .actual_access:  read_only
        .address_space:  global
        .offset:         40
        .size:           8
        .value_kind:     global_buffer
      - .offset:         48
        .size:           8
        .value_kind:     by_value
      - .address_space:  global
        .offset:         56
        .size:           8
        .value_kind:     global_buffer
      - .offset:         64
        .size:           4
        .value_kind:     by_value
      - .offset:         68
        .size:           1
        .value_kind:     by_value
    .group_segment_fixed_size: 0
    .kernarg_segment_align: 8
    .kernarg_segment_size: 72
    .language:       OpenCL C
    .language_version:
      - 2
      - 0
    .max_flat_workgroup_size: 128
    .name:           _ZN9rocsparseL19gebsrmvn_2xn_kernelILj128ELj1ELj8EdEEvi20rocsparse_direction_NS_24const_host_device_scalarIT2_EEPKiS6_PKS3_S8_S4_PS3_21rocsparse_index_base_b
    .private_segment_fixed_size: 0
    .sgpr_count:     18
    .sgpr_spill_count: 0
    .symbol:         _ZN9rocsparseL19gebsrmvn_2xn_kernelILj128ELj1ELj8EdEEvi20rocsparse_direction_NS_24const_host_device_scalarIT2_EEPKiS6_PKS3_S8_S4_PS3_21rocsparse_index_base_b.kd
    .uniform_work_group_size: 1
    .uses_dynamic_stack: false
    .vgpr_count:     22
    .vgpr_spill_count: 0
    .wavefront_size: 32
    .workgroup_processor_mode: 1
  - .args:
      - .offset:         0
        .size:           4
        .value_kind:     by_value
      - .offset:         4
        .size:           4
        .value_kind:     by_value
      - .offset:         8
        .size:           8
        .value_kind:     by_value
      - .actual_access:  read_only
        .address_space:  global
        .offset:         16
        .size:           8
        .value_kind:     global_buffer
      - .actual_access:  read_only
        .address_space:  global
        .offset:         24
        .size:           8
        .value_kind:     global_buffer
      - .actual_access:  read_only
        .address_space:  global
        .offset:         32
        .size:           8
        .value_kind:     global_buffer
      - .actual_access:  read_only
        .address_space:  global
        .offset:         40
        .size:           8
        .value_kind:     global_buffer
      - .offset:         48
        .size:           8
        .value_kind:     by_value
      - .address_space:  global
        .offset:         56
        .size:           8
        .value_kind:     global_buffer
      - .offset:         64
        .size:           4
        .value_kind:     by_value
      - .offset:         68
        .size:           1
        .value_kind:     by_value
    .group_segment_fixed_size: 0
    .kernarg_segment_align: 8
    .kernarg_segment_size: 72
    .language:       OpenCL C
    .language_version:
      - 2
      - 0
    .max_flat_workgroup_size: 128
    .name:           _ZN9rocsparseL19gebsrmvn_2xn_kernelILj128ELj1ELj16EdEEvi20rocsparse_direction_NS_24const_host_device_scalarIT2_EEPKiS6_PKS3_S8_S4_PS3_21rocsparse_index_base_b
    .private_segment_fixed_size: 0
    .sgpr_count:     18
    .sgpr_spill_count: 0
    .symbol:         _ZN9rocsparseL19gebsrmvn_2xn_kernelILj128ELj1ELj16EdEEvi20rocsparse_direction_NS_24const_host_device_scalarIT2_EEPKiS6_PKS3_S8_S4_PS3_21rocsparse_index_base_b.kd
    .uniform_work_group_size: 1
    .uses_dynamic_stack: false
    .vgpr_count:     22
    .vgpr_spill_count: 0
    .wavefront_size: 32
    .workgroup_processor_mode: 1
  - .args:
      - .offset:         0
        .size:           4
        .value_kind:     by_value
      - .offset:         4
        .size:           4
        .value_kind:     by_value
      - .offset:         8
        .size:           8
        .value_kind:     by_value
      - .actual_access:  read_only
        .address_space:  global
        .offset:         16
        .size:           8
        .value_kind:     global_buffer
      - .actual_access:  read_only
        .address_space:  global
        .offset:         24
        .size:           8
        .value_kind:     global_buffer
      - .actual_access:  read_only
        .address_space:  global
        .offset:         32
        .size:           8
        .value_kind:     global_buffer
      - .actual_access:  read_only
        .address_space:  global
        .offset:         40
        .size:           8
        .value_kind:     global_buffer
      - .offset:         48
        .size:           8
        .value_kind:     by_value
      - .address_space:  global
        .offset:         56
        .size:           8
        .value_kind:     global_buffer
      - .offset:         64
        .size:           4
        .value_kind:     by_value
      - .offset:         68
        .size:           1
        .value_kind:     by_value
    .group_segment_fixed_size: 0
    .kernarg_segment_align: 8
    .kernarg_segment_size: 72
    .language:       OpenCL C
    .language_version:
      - 2
      - 0
    .max_flat_workgroup_size: 128
    .name:           _ZN9rocsparseL19gebsrmvn_2xn_kernelILj128ELj1ELj32EdEEvi20rocsparse_direction_NS_24const_host_device_scalarIT2_EEPKiS6_PKS3_S8_S4_PS3_21rocsparse_index_base_b
    .private_segment_fixed_size: 0
    .sgpr_count:     18
    .sgpr_spill_count: 0
    .symbol:         _ZN9rocsparseL19gebsrmvn_2xn_kernelILj128ELj1ELj32EdEEvi20rocsparse_direction_NS_24const_host_device_scalarIT2_EEPKiS6_PKS3_S8_S4_PS3_21rocsparse_index_base_b.kd
    .uniform_work_group_size: 1
    .uses_dynamic_stack: false
    .vgpr_count:     22
    .vgpr_spill_count: 0
    .wavefront_size: 32
    .workgroup_processor_mode: 1
  - .args:
      - .offset:         0
        .size:           4
        .value_kind:     by_value
      - .offset:         4
        .size:           4
        .value_kind:     by_value
      - .offset:         8
        .size:           8
        .value_kind:     by_value
      - .actual_access:  read_only
        .address_space:  global
        .offset:         16
        .size:           8
        .value_kind:     global_buffer
      - .actual_access:  read_only
        .address_space:  global
        .offset:         24
        .size:           8
        .value_kind:     global_buffer
      - .actual_access:  read_only
        .address_space:  global
        .offset:         32
        .size:           8
        .value_kind:     global_buffer
      - .actual_access:  read_only
        .address_space:  global
        .offset:         40
        .size:           8
        .value_kind:     global_buffer
      - .offset:         48
        .size:           8
        .value_kind:     by_value
      - .address_space:  global
        .offset:         56
        .size:           8
        .value_kind:     global_buffer
      - .offset:         64
        .size:           4
        .value_kind:     by_value
      - .offset:         68
        .size:           1
        .value_kind:     by_value
    .group_segment_fixed_size: 0
    .kernarg_segment_align: 8
    .kernarg_segment_size: 72
    .language:       OpenCL C
    .language_version:
      - 2
      - 0
    .max_flat_workgroup_size: 128
    .name:           _ZN9rocsparseL19gebsrmvn_2xn_kernelILj128ELj1ELj64EdEEvi20rocsparse_direction_NS_24const_host_device_scalarIT2_EEPKiS6_PKS3_S8_S4_PS3_21rocsparse_index_base_b
    .private_segment_fixed_size: 0
    .sgpr_count:     18
    .sgpr_spill_count: 0
    .symbol:         _ZN9rocsparseL19gebsrmvn_2xn_kernelILj128ELj1ELj64EdEEvi20rocsparse_direction_NS_24const_host_device_scalarIT2_EEPKiS6_PKS3_S8_S4_PS3_21rocsparse_index_base_b.kd
    .uniform_work_group_size: 1
    .uses_dynamic_stack: false
    .vgpr_count:     22
    .vgpr_spill_count: 0
    .wavefront_size: 32
    .workgroup_processor_mode: 1
  - .args:
      - .offset:         0
        .size:           4
        .value_kind:     by_value
      - .offset:         4
        .size:           4
        .value_kind:     by_value
      - .offset:         8
        .size:           8
        .value_kind:     by_value
      - .actual_access:  read_only
        .address_space:  global
        .offset:         16
        .size:           8
        .value_kind:     global_buffer
      - .actual_access:  read_only
        .address_space:  global
        .offset:         24
        .size:           8
        .value_kind:     global_buffer
      - .actual_access:  read_only
        .address_space:  global
        .offset:         32
        .size:           8
        .value_kind:     global_buffer
      - .actual_access:  read_only
        .address_space:  global
        .offset:         40
        .size:           8
        .value_kind:     global_buffer
      - .offset:         48
        .size:           8
        .value_kind:     by_value
      - .address_space:  global
        .offset:         56
        .size:           8
        .value_kind:     global_buffer
      - .offset:         64
        .size:           4
        .value_kind:     by_value
      - .offset:         68
        .size:           1
        .value_kind:     by_value
    .group_segment_fixed_size: 0
    .kernarg_segment_align: 8
    .kernarg_segment_size: 72
    .language:       OpenCL C
    .language_version:
      - 2
      - 0
    .max_flat_workgroup_size: 128
    .name:           _ZN9rocsparseL19gebsrmvn_2xn_kernelILj128ELj3ELj4EdEEvi20rocsparse_direction_NS_24const_host_device_scalarIT2_EEPKiS6_PKS3_S8_S4_PS3_21rocsparse_index_base_b
    .private_segment_fixed_size: 0
    .sgpr_count:     18
    .sgpr_spill_count: 0
    .symbol:         _ZN9rocsparseL19gebsrmvn_2xn_kernelILj128ELj3ELj4EdEEvi20rocsparse_direction_NS_24const_host_device_scalarIT2_EEPKiS6_PKS3_S8_S4_PS3_21rocsparse_index_base_b.kd
    .uniform_work_group_size: 1
    .uses_dynamic_stack: false
    .vgpr_count:     36
    .vgpr_spill_count: 0
    .wavefront_size: 32
    .workgroup_processor_mode: 1
  - .args:
      - .offset:         0
        .size:           4
        .value_kind:     by_value
      - .offset:         4
        .size:           4
        .value_kind:     by_value
      - .offset:         8
        .size:           8
        .value_kind:     by_value
      - .actual_access:  read_only
        .address_space:  global
        .offset:         16
        .size:           8
        .value_kind:     global_buffer
      - .actual_access:  read_only
        .address_space:  global
        .offset:         24
        .size:           8
        .value_kind:     global_buffer
      - .actual_access:  read_only
        .address_space:  global
        .offset:         32
        .size:           8
        .value_kind:     global_buffer
      - .actual_access:  read_only
        .address_space:  global
        .offset:         40
        .size:           8
        .value_kind:     global_buffer
      - .offset:         48
        .size:           8
        .value_kind:     by_value
      - .address_space:  global
        .offset:         56
        .size:           8
        .value_kind:     global_buffer
      - .offset:         64
        .size:           4
        .value_kind:     by_value
      - .offset:         68
        .size:           1
        .value_kind:     by_value
    .group_segment_fixed_size: 0
    .kernarg_segment_align: 8
    .kernarg_segment_size: 72
    .language:       OpenCL C
    .language_version:
      - 2
      - 0
    .max_flat_workgroup_size: 128
    .name:           _ZN9rocsparseL19gebsrmvn_2xn_kernelILj128ELj3ELj8EdEEvi20rocsparse_direction_NS_24const_host_device_scalarIT2_EEPKiS6_PKS3_S8_S4_PS3_21rocsparse_index_base_b
    .private_segment_fixed_size: 0
    .sgpr_count:     18
    .sgpr_spill_count: 0
    .symbol:         _ZN9rocsparseL19gebsrmvn_2xn_kernelILj128ELj3ELj8EdEEvi20rocsparse_direction_NS_24const_host_device_scalarIT2_EEPKiS6_PKS3_S8_S4_PS3_21rocsparse_index_base_b.kd
    .uniform_work_group_size: 1
    .uses_dynamic_stack: false
    .vgpr_count:     35
    .vgpr_spill_count: 0
    .wavefront_size: 32
    .workgroup_processor_mode: 1
  - .args:
      - .offset:         0
        .size:           4
        .value_kind:     by_value
      - .offset:         4
        .size:           4
        .value_kind:     by_value
      - .offset:         8
        .size:           8
        .value_kind:     by_value
      - .actual_access:  read_only
        .address_space:  global
        .offset:         16
        .size:           8
        .value_kind:     global_buffer
      - .actual_access:  read_only
        .address_space:  global
        .offset:         24
        .size:           8
        .value_kind:     global_buffer
      - .actual_access:  read_only
        .address_space:  global
        .offset:         32
        .size:           8
        .value_kind:     global_buffer
      - .actual_access:  read_only
        .address_space:  global
        .offset:         40
        .size:           8
        .value_kind:     global_buffer
      - .offset:         48
        .size:           8
        .value_kind:     by_value
      - .address_space:  global
        .offset:         56
        .size:           8
        .value_kind:     global_buffer
      - .offset:         64
        .size:           4
        .value_kind:     by_value
      - .offset:         68
        .size:           1
        .value_kind:     by_value
    .group_segment_fixed_size: 0
    .kernarg_segment_align: 8
    .kernarg_segment_size: 72
    .language:       OpenCL C
    .language_version:
      - 2
      - 0
    .max_flat_workgroup_size: 128
    .name:           _ZN9rocsparseL19gebsrmvn_2xn_kernelILj128ELj3ELj16EdEEvi20rocsparse_direction_NS_24const_host_device_scalarIT2_EEPKiS6_PKS3_S8_S4_PS3_21rocsparse_index_base_b
    .private_segment_fixed_size: 0
    .sgpr_count:     18
    .sgpr_spill_count: 0
    .symbol:         _ZN9rocsparseL19gebsrmvn_2xn_kernelILj128ELj3ELj16EdEEvi20rocsparse_direction_NS_24const_host_device_scalarIT2_EEPKiS6_PKS3_S8_S4_PS3_21rocsparse_index_base_b.kd
    .uniform_work_group_size: 1
    .uses_dynamic_stack: false
    .vgpr_count:     35
    .vgpr_spill_count: 0
    .wavefront_size: 32
    .workgroup_processor_mode: 1
  - .args:
      - .offset:         0
        .size:           4
        .value_kind:     by_value
      - .offset:         4
        .size:           4
        .value_kind:     by_value
      - .offset:         8
        .size:           8
        .value_kind:     by_value
      - .actual_access:  read_only
        .address_space:  global
        .offset:         16
        .size:           8
        .value_kind:     global_buffer
      - .actual_access:  read_only
        .address_space:  global
        .offset:         24
        .size:           8
        .value_kind:     global_buffer
      - .actual_access:  read_only
        .address_space:  global
        .offset:         32
        .size:           8
        .value_kind:     global_buffer
      - .actual_access:  read_only
        .address_space:  global
        .offset:         40
        .size:           8
        .value_kind:     global_buffer
      - .offset:         48
        .size:           8
        .value_kind:     by_value
      - .address_space:  global
        .offset:         56
        .size:           8
        .value_kind:     global_buffer
      - .offset:         64
        .size:           4
        .value_kind:     by_value
      - .offset:         68
        .size:           1
        .value_kind:     by_value
    .group_segment_fixed_size: 0
    .kernarg_segment_align: 8
    .kernarg_segment_size: 72
    .language:       OpenCL C
    .language_version:
      - 2
      - 0
    .max_flat_workgroup_size: 128
    .name:           _ZN9rocsparseL19gebsrmvn_2xn_kernelILj128ELj3ELj32EdEEvi20rocsparse_direction_NS_24const_host_device_scalarIT2_EEPKiS6_PKS3_S8_S4_PS3_21rocsparse_index_base_b
    .private_segment_fixed_size: 0
    .sgpr_count:     18
    .sgpr_spill_count: 0
    .symbol:         _ZN9rocsparseL19gebsrmvn_2xn_kernelILj128ELj3ELj32EdEEvi20rocsparse_direction_NS_24const_host_device_scalarIT2_EEPKiS6_PKS3_S8_S4_PS3_21rocsparse_index_base_b.kd
    .uniform_work_group_size: 1
    .uses_dynamic_stack: false
    .vgpr_count:     35
    .vgpr_spill_count: 0
    .wavefront_size: 32
    .workgroup_processor_mode: 1
  - .args:
      - .offset:         0
        .size:           4
        .value_kind:     by_value
      - .offset:         4
        .size:           4
        .value_kind:     by_value
      - .offset:         8
        .size:           8
        .value_kind:     by_value
      - .actual_access:  read_only
        .address_space:  global
        .offset:         16
        .size:           8
        .value_kind:     global_buffer
      - .actual_access:  read_only
        .address_space:  global
        .offset:         24
        .size:           8
        .value_kind:     global_buffer
      - .actual_access:  read_only
        .address_space:  global
        .offset:         32
        .size:           8
        .value_kind:     global_buffer
      - .actual_access:  read_only
        .address_space:  global
        .offset:         40
        .size:           8
        .value_kind:     global_buffer
      - .offset:         48
        .size:           8
        .value_kind:     by_value
      - .address_space:  global
        .offset:         56
        .size:           8
        .value_kind:     global_buffer
      - .offset:         64
        .size:           4
        .value_kind:     by_value
      - .offset:         68
        .size:           1
        .value_kind:     by_value
    .group_segment_fixed_size: 0
    .kernarg_segment_align: 8
    .kernarg_segment_size: 72
    .language:       OpenCL C
    .language_version:
      - 2
      - 0
    .max_flat_workgroup_size: 128
    .name:           _ZN9rocsparseL19gebsrmvn_2xn_kernelILj128ELj3ELj64EdEEvi20rocsparse_direction_NS_24const_host_device_scalarIT2_EEPKiS6_PKS3_S8_S4_PS3_21rocsparse_index_base_b
    .private_segment_fixed_size: 0
    .sgpr_count:     18
    .sgpr_spill_count: 0
    .symbol:         _ZN9rocsparseL19gebsrmvn_2xn_kernelILj128ELj3ELj64EdEEvi20rocsparse_direction_NS_24const_host_device_scalarIT2_EEPKiS6_PKS3_S8_S4_PS3_21rocsparse_index_base_b.kd
    .uniform_work_group_size: 1
    .uses_dynamic_stack: false
    .vgpr_count:     35
    .vgpr_spill_count: 0
    .wavefront_size: 32
    .workgroup_processor_mode: 1
  - .args:
      - .offset:         0
        .size:           4
        .value_kind:     by_value
      - .offset:         4
        .size:           4
        .value_kind:     by_value
      - .offset:         8
        .size:           8
        .value_kind:     by_value
      - .actual_access:  read_only
        .address_space:  global
        .offset:         16
        .size:           8
        .value_kind:     global_buffer
      - .actual_access:  read_only
        .address_space:  global
        .offset:         24
        .size:           8
        .value_kind:     global_buffer
      - .actual_access:  read_only
        .address_space:  global
        .offset:         32
        .size:           8
        .value_kind:     global_buffer
      - .actual_access:  read_only
        .address_space:  global
        .offset:         40
        .size:           8
        .value_kind:     global_buffer
      - .offset:         48
        .size:           8
        .value_kind:     by_value
      - .address_space:  global
        .offset:         56
        .size:           8
        .value_kind:     global_buffer
      - .offset:         64
        .size:           4
        .value_kind:     by_value
      - .offset:         68
        .size:           1
        .value_kind:     by_value
    .group_segment_fixed_size: 0
    .kernarg_segment_align: 8
    .kernarg_segment_size: 72
    .language:       OpenCL C
    .language_version:
      - 2
      - 0
    .max_flat_workgroup_size: 128
    .name:           _ZN9rocsparseL19gebsrmvn_2xn_kernelILj128ELj4ELj4EdEEvi20rocsparse_direction_NS_24const_host_device_scalarIT2_EEPKiS6_PKS3_S8_S4_PS3_21rocsparse_index_base_b
    .private_segment_fixed_size: 0
    .sgpr_count:     18
    .sgpr_spill_count: 0
    .symbol:         _ZN9rocsparseL19gebsrmvn_2xn_kernelILj128ELj4ELj4EdEEvi20rocsparse_direction_NS_24const_host_device_scalarIT2_EEPKiS6_PKS3_S8_S4_PS3_21rocsparse_index_base_b.kd
    .uniform_work_group_size: 1
    .uses_dynamic_stack: false
    .vgpr_count:     41
    .vgpr_spill_count: 0
    .wavefront_size: 32
    .workgroup_processor_mode: 1
  - .args:
      - .offset:         0
        .size:           4
        .value_kind:     by_value
      - .offset:         4
        .size:           4
        .value_kind:     by_value
      - .offset:         8
        .size:           8
        .value_kind:     by_value
      - .actual_access:  read_only
        .address_space:  global
        .offset:         16
        .size:           8
        .value_kind:     global_buffer
      - .actual_access:  read_only
        .address_space:  global
        .offset:         24
        .size:           8
        .value_kind:     global_buffer
      - .actual_access:  read_only
        .address_space:  global
        .offset:         32
        .size:           8
        .value_kind:     global_buffer
      - .actual_access:  read_only
        .address_space:  global
        .offset:         40
        .size:           8
        .value_kind:     global_buffer
      - .offset:         48
        .size:           8
        .value_kind:     by_value
      - .address_space:  global
        .offset:         56
        .size:           8
        .value_kind:     global_buffer
      - .offset:         64
        .size:           4
        .value_kind:     by_value
      - .offset:         68
        .size:           1
        .value_kind:     by_value
    .group_segment_fixed_size: 0
    .kernarg_segment_align: 8
    .kernarg_segment_size: 72
    .language:       OpenCL C
    .language_version:
      - 2
      - 0
    .max_flat_workgroup_size: 128
    .name:           _ZN9rocsparseL19gebsrmvn_2xn_kernelILj128ELj4ELj8EdEEvi20rocsparse_direction_NS_24const_host_device_scalarIT2_EEPKiS6_PKS3_S8_S4_PS3_21rocsparse_index_base_b
    .private_segment_fixed_size: 0
    .sgpr_count:     18
    .sgpr_spill_count: 0
    .symbol:         _ZN9rocsparseL19gebsrmvn_2xn_kernelILj128ELj4ELj8EdEEvi20rocsparse_direction_NS_24const_host_device_scalarIT2_EEPKiS6_PKS3_S8_S4_PS3_21rocsparse_index_base_b.kd
    .uniform_work_group_size: 1
    .uses_dynamic_stack: false
    .vgpr_count:     40
    .vgpr_spill_count: 0
    .wavefront_size: 32
    .workgroup_processor_mode: 1
  - .args:
      - .offset:         0
        .size:           4
        .value_kind:     by_value
      - .offset:         4
        .size:           4
        .value_kind:     by_value
      - .offset:         8
        .size:           8
        .value_kind:     by_value
      - .actual_access:  read_only
        .address_space:  global
        .offset:         16
        .size:           8
        .value_kind:     global_buffer
      - .actual_access:  read_only
        .address_space:  global
        .offset:         24
        .size:           8
        .value_kind:     global_buffer
      - .actual_access:  read_only
        .address_space:  global
        .offset:         32
        .size:           8
        .value_kind:     global_buffer
      - .actual_access:  read_only
        .address_space:  global
        .offset:         40
        .size:           8
        .value_kind:     global_buffer
      - .offset:         48
        .size:           8
        .value_kind:     by_value
      - .address_space:  global
        .offset:         56
        .size:           8
        .value_kind:     global_buffer
      - .offset:         64
        .size:           4
        .value_kind:     by_value
      - .offset:         68
        .size:           1
        .value_kind:     by_value
    .group_segment_fixed_size: 0
    .kernarg_segment_align: 8
    .kernarg_segment_size: 72
    .language:       OpenCL C
    .language_version:
      - 2
      - 0
    .max_flat_workgroup_size: 128
    .name:           _ZN9rocsparseL19gebsrmvn_2xn_kernelILj128ELj4ELj16EdEEvi20rocsparse_direction_NS_24const_host_device_scalarIT2_EEPKiS6_PKS3_S8_S4_PS3_21rocsparse_index_base_b
    .private_segment_fixed_size: 0
    .sgpr_count:     18
    .sgpr_spill_count: 0
    .symbol:         _ZN9rocsparseL19gebsrmvn_2xn_kernelILj128ELj4ELj16EdEEvi20rocsparse_direction_NS_24const_host_device_scalarIT2_EEPKiS6_PKS3_S8_S4_PS3_21rocsparse_index_base_b.kd
    .uniform_work_group_size: 1
    .uses_dynamic_stack: false
    .vgpr_count:     40
    .vgpr_spill_count: 0
    .wavefront_size: 32
    .workgroup_processor_mode: 1
  - .args:
      - .offset:         0
        .size:           4
        .value_kind:     by_value
      - .offset:         4
        .size:           4
        .value_kind:     by_value
      - .offset:         8
        .size:           8
        .value_kind:     by_value
      - .actual_access:  read_only
        .address_space:  global
        .offset:         16
        .size:           8
        .value_kind:     global_buffer
      - .actual_access:  read_only
        .address_space:  global
        .offset:         24
        .size:           8
        .value_kind:     global_buffer
      - .actual_access:  read_only
        .address_space:  global
        .offset:         32
        .size:           8
        .value_kind:     global_buffer
      - .actual_access:  read_only
        .address_space:  global
        .offset:         40
        .size:           8
        .value_kind:     global_buffer
      - .offset:         48
        .size:           8
        .value_kind:     by_value
      - .address_space:  global
        .offset:         56
        .size:           8
        .value_kind:     global_buffer
      - .offset:         64
        .size:           4
        .value_kind:     by_value
      - .offset:         68
        .size:           1
        .value_kind:     by_value
    .group_segment_fixed_size: 0
    .kernarg_segment_align: 8
    .kernarg_segment_size: 72
    .language:       OpenCL C
    .language_version:
      - 2
      - 0
    .max_flat_workgroup_size: 128
    .name:           _ZN9rocsparseL19gebsrmvn_2xn_kernelILj128ELj4ELj32EdEEvi20rocsparse_direction_NS_24const_host_device_scalarIT2_EEPKiS6_PKS3_S8_S4_PS3_21rocsparse_index_base_b
    .private_segment_fixed_size: 0
    .sgpr_count:     18
    .sgpr_spill_count: 0
    .symbol:         _ZN9rocsparseL19gebsrmvn_2xn_kernelILj128ELj4ELj32EdEEvi20rocsparse_direction_NS_24const_host_device_scalarIT2_EEPKiS6_PKS3_S8_S4_PS3_21rocsparse_index_base_b.kd
    .uniform_work_group_size: 1
    .uses_dynamic_stack: false
    .vgpr_count:     40
    .vgpr_spill_count: 0
    .wavefront_size: 32
    .workgroup_processor_mode: 1
  - .args:
      - .offset:         0
        .size:           4
        .value_kind:     by_value
      - .offset:         4
        .size:           4
        .value_kind:     by_value
      - .offset:         8
        .size:           8
        .value_kind:     by_value
      - .actual_access:  read_only
        .address_space:  global
        .offset:         16
        .size:           8
        .value_kind:     global_buffer
      - .actual_access:  read_only
        .address_space:  global
        .offset:         24
        .size:           8
        .value_kind:     global_buffer
      - .actual_access:  read_only
        .address_space:  global
        .offset:         32
        .size:           8
        .value_kind:     global_buffer
      - .actual_access:  read_only
        .address_space:  global
        .offset:         40
        .size:           8
        .value_kind:     global_buffer
      - .offset:         48
        .size:           8
        .value_kind:     by_value
      - .address_space:  global
        .offset:         56
        .size:           8
        .value_kind:     global_buffer
      - .offset:         64
        .size:           4
        .value_kind:     by_value
      - .offset:         68
        .size:           1
        .value_kind:     by_value
    .group_segment_fixed_size: 0
    .kernarg_segment_align: 8
    .kernarg_segment_size: 72
    .language:       OpenCL C
    .language_version:
      - 2
      - 0
    .max_flat_workgroup_size: 128
    .name:           _ZN9rocsparseL19gebsrmvn_2xn_kernelILj128ELj4ELj64EdEEvi20rocsparse_direction_NS_24const_host_device_scalarIT2_EEPKiS6_PKS3_S8_S4_PS3_21rocsparse_index_base_b
    .private_segment_fixed_size: 0
    .sgpr_count:     18
    .sgpr_spill_count: 0
    .symbol:         _ZN9rocsparseL19gebsrmvn_2xn_kernelILj128ELj4ELj64EdEEvi20rocsparse_direction_NS_24const_host_device_scalarIT2_EEPKiS6_PKS3_S8_S4_PS3_21rocsparse_index_base_b.kd
    .uniform_work_group_size: 1
    .uses_dynamic_stack: false
    .vgpr_count:     40
    .vgpr_spill_count: 0
    .wavefront_size: 32
    .workgroup_processor_mode: 1
  - .args:
      - .offset:         0
        .size:           4
        .value_kind:     by_value
      - .offset:         4
        .size:           4
        .value_kind:     by_value
      - .offset:         8
        .size:           8
        .value_kind:     by_value
      - .actual_access:  read_only
        .address_space:  global
        .offset:         16
        .size:           8
        .value_kind:     global_buffer
      - .actual_access:  read_only
        .address_space:  global
        .offset:         24
        .size:           8
        .value_kind:     global_buffer
      - .actual_access:  read_only
        .address_space:  global
        .offset:         32
        .size:           8
        .value_kind:     global_buffer
      - .actual_access:  read_only
        .address_space:  global
        .offset:         40
        .size:           8
        .value_kind:     global_buffer
      - .offset:         48
        .size:           8
        .value_kind:     by_value
      - .address_space:  global
        .offset:         56
        .size:           8
        .value_kind:     global_buffer
      - .offset:         64
        .size:           4
        .value_kind:     by_value
      - .offset:         68
        .size:           1
        .value_kind:     by_value
    .group_segment_fixed_size: 0
    .kernarg_segment_align: 8
    .kernarg_segment_size: 72
    .language:       OpenCL C
    .language_version:
      - 2
      - 0
    .max_flat_workgroup_size: 128
    .name:           _ZN9rocsparseL19gebsrmvn_2xn_kernelILj128ELj5ELj4EdEEvi20rocsparse_direction_NS_24const_host_device_scalarIT2_EEPKiS6_PKS3_S8_S4_PS3_21rocsparse_index_base_b
    .private_segment_fixed_size: 0
    .sgpr_count:     18
    .sgpr_spill_count: 0
    .symbol:         _ZN9rocsparseL19gebsrmvn_2xn_kernelILj128ELj5ELj4EdEEvi20rocsparse_direction_NS_24const_host_device_scalarIT2_EEPKiS6_PKS3_S8_S4_PS3_21rocsparse_index_base_b.kd
    .uniform_work_group_size: 1
    .uses_dynamic_stack: false
    .vgpr_count:     48
    .vgpr_spill_count: 0
    .wavefront_size: 32
    .workgroup_processor_mode: 1
  - .args:
      - .offset:         0
        .size:           4
        .value_kind:     by_value
      - .offset:         4
        .size:           4
        .value_kind:     by_value
      - .offset:         8
        .size:           8
        .value_kind:     by_value
      - .actual_access:  read_only
        .address_space:  global
        .offset:         16
        .size:           8
        .value_kind:     global_buffer
      - .actual_access:  read_only
        .address_space:  global
        .offset:         24
        .size:           8
        .value_kind:     global_buffer
      - .actual_access:  read_only
        .address_space:  global
        .offset:         32
        .size:           8
        .value_kind:     global_buffer
      - .actual_access:  read_only
        .address_space:  global
        .offset:         40
        .size:           8
        .value_kind:     global_buffer
      - .offset:         48
        .size:           8
        .value_kind:     by_value
      - .address_space:  global
        .offset:         56
        .size:           8
        .value_kind:     global_buffer
      - .offset:         64
        .size:           4
        .value_kind:     by_value
      - .offset:         68
        .size:           1
        .value_kind:     by_value
    .group_segment_fixed_size: 0
    .kernarg_segment_align: 8
    .kernarg_segment_size: 72
    .language:       OpenCL C
    .language_version:
      - 2
      - 0
    .max_flat_workgroup_size: 128
    .name:           _ZN9rocsparseL19gebsrmvn_2xn_kernelILj128ELj5ELj8EdEEvi20rocsparse_direction_NS_24const_host_device_scalarIT2_EEPKiS6_PKS3_S8_S4_PS3_21rocsparse_index_base_b
    .private_segment_fixed_size: 0
    .sgpr_count:     18
    .sgpr_spill_count: 0
    .symbol:         _ZN9rocsparseL19gebsrmvn_2xn_kernelILj128ELj5ELj8EdEEvi20rocsparse_direction_NS_24const_host_device_scalarIT2_EEPKiS6_PKS3_S8_S4_PS3_21rocsparse_index_base_b.kd
    .uniform_work_group_size: 1
    .uses_dynamic_stack: false
    .vgpr_count:     48
    .vgpr_spill_count: 0
    .wavefront_size: 32
    .workgroup_processor_mode: 1
  - .args:
      - .offset:         0
        .size:           4
        .value_kind:     by_value
      - .offset:         4
        .size:           4
        .value_kind:     by_value
      - .offset:         8
        .size:           8
        .value_kind:     by_value
      - .actual_access:  read_only
        .address_space:  global
        .offset:         16
        .size:           8
        .value_kind:     global_buffer
      - .actual_access:  read_only
        .address_space:  global
        .offset:         24
        .size:           8
        .value_kind:     global_buffer
      - .actual_access:  read_only
        .address_space:  global
        .offset:         32
        .size:           8
        .value_kind:     global_buffer
      - .actual_access:  read_only
        .address_space:  global
        .offset:         40
        .size:           8
        .value_kind:     global_buffer
      - .offset:         48
        .size:           8
        .value_kind:     by_value
      - .address_space:  global
        .offset:         56
        .size:           8
        .value_kind:     global_buffer
      - .offset:         64
        .size:           4
        .value_kind:     by_value
      - .offset:         68
        .size:           1
        .value_kind:     by_value
    .group_segment_fixed_size: 0
    .kernarg_segment_align: 8
    .kernarg_segment_size: 72
    .language:       OpenCL C
    .language_version:
      - 2
      - 0
    .max_flat_workgroup_size: 128
    .name:           _ZN9rocsparseL19gebsrmvn_2xn_kernelILj128ELj5ELj16EdEEvi20rocsparse_direction_NS_24const_host_device_scalarIT2_EEPKiS6_PKS3_S8_S4_PS3_21rocsparse_index_base_b
    .private_segment_fixed_size: 0
    .sgpr_count:     18
    .sgpr_spill_count: 0
    .symbol:         _ZN9rocsparseL19gebsrmvn_2xn_kernelILj128ELj5ELj16EdEEvi20rocsparse_direction_NS_24const_host_device_scalarIT2_EEPKiS6_PKS3_S8_S4_PS3_21rocsparse_index_base_b.kd
    .uniform_work_group_size: 1
    .uses_dynamic_stack: false
    .vgpr_count:     47
    .vgpr_spill_count: 0
    .wavefront_size: 32
    .workgroup_processor_mode: 1
  - .args:
      - .offset:         0
        .size:           4
        .value_kind:     by_value
      - .offset:         4
        .size:           4
        .value_kind:     by_value
      - .offset:         8
        .size:           8
        .value_kind:     by_value
      - .actual_access:  read_only
        .address_space:  global
        .offset:         16
        .size:           8
        .value_kind:     global_buffer
      - .actual_access:  read_only
        .address_space:  global
        .offset:         24
        .size:           8
        .value_kind:     global_buffer
      - .actual_access:  read_only
        .address_space:  global
        .offset:         32
        .size:           8
        .value_kind:     global_buffer
      - .actual_access:  read_only
        .address_space:  global
        .offset:         40
        .size:           8
        .value_kind:     global_buffer
      - .offset:         48
        .size:           8
        .value_kind:     by_value
      - .address_space:  global
        .offset:         56
        .size:           8
        .value_kind:     global_buffer
      - .offset:         64
        .size:           4
        .value_kind:     by_value
      - .offset:         68
        .size:           1
        .value_kind:     by_value
    .group_segment_fixed_size: 0
    .kernarg_segment_align: 8
    .kernarg_segment_size: 72
    .language:       OpenCL C
    .language_version:
      - 2
      - 0
    .max_flat_workgroup_size: 128
    .name:           _ZN9rocsparseL19gebsrmvn_2xn_kernelILj128ELj5ELj32EdEEvi20rocsparse_direction_NS_24const_host_device_scalarIT2_EEPKiS6_PKS3_S8_S4_PS3_21rocsparse_index_base_b
    .private_segment_fixed_size: 0
    .sgpr_count:     18
    .sgpr_spill_count: 0
    .symbol:         _ZN9rocsparseL19gebsrmvn_2xn_kernelILj128ELj5ELj32EdEEvi20rocsparse_direction_NS_24const_host_device_scalarIT2_EEPKiS6_PKS3_S8_S4_PS3_21rocsparse_index_base_b.kd
    .uniform_work_group_size: 1
    .uses_dynamic_stack: false
    .vgpr_count:     47
    .vgpr_spill_count: 0
    .wavefront_size: 32
    .workgroup_processor_mode: 1
  - .args:
      - .offset:         0
        .size:           4
        .value_kind:     by_value
      - .offset:         4
        .size:           4
        .value_kind:     by_value
      - .offset:         8
        .size:           8
        .value_kind:     by_value
      - .actual_access:  read_only
        .address_space:  global
        .offset:         16
        .size:           8
        .value_kind:     global_buffer
      - .actual_access:  read_only
        .address_space:  global
        .offset:         24
        .size:           8
        .value_kind:     global_buffer
      - .actual_access:  read_only
        .address_space:  global
        .offset:         32
        .size:           8
        .value_kind:     global_buffer
      - .actual_access:  read_only
        .address_space:  global
        .offset:         40
        .size:           8
        .value_kind:     global_buffer
      - .offset:         48
        .size:           8
        .value_kind:     by_value
      - .address_space:  global
        .offset:         56
        .size:           8
        .value_kind:     global_buffer
      - .offset:         64
        .size:           4
        .value_kind:     by_value
      - .offset:         68
        .size:           1
        .value_kind:     by_value
    .group_segment_fixed_size: 0
    .kernarg_segment_align: 8
    .kernarg_segment_size: 72
    .language:       OpenCL C
    .language_version:
      - 2
      - 0
    .max_flat_workgroup_size: 128
    .name:           _ZN9rocsparseL19gebsrmvn_2xn_kernelILj128ELj5ELj64EdEEvi20rocsparse_direction_NS_24const_host_device_scalarIT2_EEPKiS6_PKS3_S8_S4_PS3_21rocsparse_index_base_b
    .private_segment_fixed_size: 0
    .sgpr_count:     18
    .sgpr_spill_count: 0
    .symbol:         _ZN9rocsparseL19gebsrmvn_2xn_kernelILj128ELj5ELj64EdEEvi20rocsparse_direction_NS_24const_host_device_scalarIT2_EEPKiS6_PKS3_S8_S4_PS3_21rocsparse_index_base_b.kd
    .uniform_work_group_size: 1
    .uses_dynamic_stack: false
    .vgpr_count:     47
    .vgpr_spill_count: 0
    .wavefront_size: 32
    .workgroup_processor_mode: 1
  - .args:
      - .offset:         0
        .size:           4
        .value_kind:     by_value
      - .offset:         4
        .size:           4
        .value_kind:     by_value
      - .offset:         8
        .size:           8
        .value_kind:     by_value
      - .actual_access:  read_only
        .address_space:  global
        .offset:         16
        .size:           8
        .value_kind:     global_buffer
      - .actual_access:  read_only
        .address_space:  global
        .offset:         24
        .size:           8
        .value_kind:     global_buffer
      - .actual_access:  read_only
        .address_space:  global
        .offset:         32
        .size:           8
        .value_kind:     global_buffer
      - .actual_access:  read_only
        .address_space:  global
        .offset:         40
        .size:           8
        .value_kind:     global_buffer
      - .offset:         48
        .size:           8
        .value_kind:     by_value
      - .address_space:  global
        .offset:         56
        .size:           8
        .value_kind:     global_buffer
      - .offset:         64
        .size:           4
        .value_kind:     by_value
      - .offset:         68
        .size:           1
        .value_kind:     by_value
    .group_segment_fixed_size: 0
    .kernarg_segment_align: 8
    .kernarg_segment_size: 72
    .language:       OpenCL C
    .language_version:
      - 2
      - 0
    .max_flat_workgroup_size: 128
    .name:           _ZN9rocsparseL19gebsrmvn_2xn_kernelILj128ELj6ELj4EdEEvi20rocsparse_direction_NS_24const_host_device_scalarIT2_EEPKiS6_PKS3_S8_S4_PS3_21rocsparse_index_base_b
    .private_segment_fixed_size: 0
    .sgpr_count:     18
    .sgpr_spill_count: 0
    .symbol:         _ZN9rocsparseL19gebsrmvn_2xn_kernelILj128ELj6ELj4EdEEvi20rocsparse_direction_NS_24const_host_device_scalarIT2_EEPKiS6_PKS3_S8_S4_PS3_21rocsparse_index_base_b.kd
    .uniform_work_group_size: 1
    .uses_dynamic_stack: false
    .vgpr_count:     54
    .vgpr_spill_count: 0
    .wavefront_size: 32
    .workgroup_processor_mode: 1
  - .args:
      - .offset:         0
        .size:           4
        .value_kind:     by_value
      - .offset:         4
        .size:           4
        .value_kind:     by_value
      - .offset:         8
        .size:           8
        .value_kind:     by_value
      - .actual_access:  read_only
        .address_space:  global
        .offset:         16
        .size:           8
        .value_kind:     global_buffer
      - .actual_access:  read_only
        .address_space:  global
        .offset:         24
        .size:           8
        .value_kind:     global_buffer
      - .actual_access:  read_only
        .address_space:  global
        .offset:         32
        .size:           8
        .value_kind:     global_buffer
      - .actual_access:  read_only
        .address_space:  global
        .offset:         40
        .size:           8
        .value_kind:     global_buffer
      - .offset:         48
        .size:           8
        .value_kind:     by_value
      - .address_space:  global
        .offset:         56
        .size:           8
        .value_kind:     global_buffer
      - .offset:         64
        .size:           4
        .value_kind:     by_value
      - .offset:         68
        .size:           1
        .value_kind:     by_value
    .group_segment_fixed_size: 0
    .kernarg_segment_align: 8
    .kernarg_segment_size: 72
    .language:       OpenCL C
    .language_version:
      - 2
      - 0
    .max_flat_workgroup_size: 128
    .name:           _ZN9rocsparseL19gebsrmvn_2xn_kernelILj128ELj6ELj8EdEEvi20rocsparse_direction_NS_24const_host_device_scalarIT2_EEPKiS6_PKS3_S8_S4_PS3_21rocsparse_index_base_b
    .private_segment_fixed_size: 0
    .sgpr_count:     18
    .sgpr_spill_count: 0
    .symbol:         _ZN9rocsparseL19gebsrmvn_2xn_kernelILj128ELj6ELj8EdEEvi20rocsparse_direction_NS_24const_host_device_scalarIT2_EEPKiS6_PKS3_S8_S4_PS3_21rocsparse_index_base_b.kd
    .uniform_work_group_size: 1
    .uses_dynamic_stack: false
    .vgpr_count:     54
    .vgpr_spill_count: 0
    .wavefront_size: 32
    .workgroup_processor_mode: 1
  - .args:
      - .offset:         0
        .size:           4
        .value_kind:     by_value
      - .offset:         4
        .size:           4
        .value_kind:     by_value
      - .offset:         8
        .size:           8
        .value_kind:     by_value
      - .actual_access:  read_only
        .address_space:  global
        .offset:         16
        .size:           8
        .value_kind:     global_buffer
      - .actual_access:  read_only
        .address_space:  global
        .offset:         24
        .size:           8
        .value_kind:     global_buffer
      - .actual_access:  read_only
        .address_space:  global
        .offset:         32
        .size:           8
        .value_kind:     global_buffer
      - .actual_access:  read_only
        .address_space:  global
        .offset:         40
        .size:           8
        .value_kind:     global_buffer
      - .offset:         48
        .size:           8
        .value_kind:     by_value
      - .address_space:  global
        .offset:         56
        .size:           8
        .value_kind:     global_buffer
      - .offset:         64
        .size:           4
        .value_kind:     by_value
      - .offset:         68
        .size:           1
        .value_kind:     by_value
    .group_segment_fixed_size: 0
    .kernarg_segment_align: 8
    .kernarg_segment_size: 72
    .language:       OpenCL C
    .language_version:
      - 2
      - 0
    .max_flat_workgroup_size: 128
    .name:           _ZN9rocsparseL19gebsrmvn_2xn_kernelILj128ELj6ELj16EdEEvi20rocsparse_direction_NS_24const_host_device_scalarIT2_EEPKiS6_PKS3_S8_S4_PS3_21rocsparse_index_base_b
    .private_segment_fixed_size: 0
    .sgpr_count:     18
    .sgpr_spill_count: 0
    .symbol:         _ZN9rocsparseL19gebsrmvn_2xn_kernelILj128ELj6ELj16EdEEvi20rocsparse_direction_NS_24const_host_device_scalarIT2_EEPKiS6_PKS3_S8_S4_PS3_21rocsparse_index_base_b.kd
    .uniform_work_group_size: 1
    .uses_dynamic_stack: false
    .vgpr_count:     54
    .vgpr_spill_count: 0
    .wavefront_size: 32
    .workgroup_processor_mode: 1
  - .args:
      - .offset:         0
        .size:           4
        .value_kind:     by_value
      - .offset:         4
        .size:           4
        .value_kind:     by_value
      - .offset:         8
        .size:           8
        .value_kind:     by_value
      - .actual_access:  read_only
        .address_space:  global
        .offset:         16
        .size:           8
        .value_kind:     global_buffer
      - .actual_access:  read_only
        .address_space:  global
        .offset:         24
        .size:           8
        .value_kind:     global_buffer
      - .actual_access:  read_only
        .address_space:  global
        .offset:         32
        .size:           8
        .value_kind:     global_buffer
      - .actual_access:  read_only
        .address_space:  global
        .offset:         40
        .size:           8
        .value_kind:     global_buffer
      - .offset:         48
        .size:           8
        .value_kind:     by_value
      - .address_space:  global
        .offset:         56
        .size:           8
        .value_kind:     global_buffer
      - .offset:         64
        .size:           4
        .value_kind:     by_value
      - .offset:         68
        .size:           1
        .value_kind:     by_value
    .group_segment_fixed_size: 0
    .kernarg_segment_align: 8
    .kernarg_segment_size: 72
    .language:       OpenCL C
    .language_version:
      - 2
      - 0
    .max_flat_workgroup_size: 128
    .name:           _ZN9rocsparseL19gebsrmvn_2xn_kernelILj128ELj6ELj32EdEEvi20rocsparse_direction_NS_24const_host_device_scalarIT2_EEPKiS6_PKS3_S8_S4_PS3_21rocsparse_index_base_b
    .private_segment_fixed_size: 0
    .sgpr_count:     18
    .sgpr_spill_count: 0
    .symbol:         _ZN9rocsparseL19gebsrmvn_2xn_kernelILj128ELj6ELj32EdEEvi20rocsparse_direction_NS_24const_host_device_scalarIT2_EEPKiS6_PKS3_S8_S4_PS3_21rocsparse_index_base_b.kd
    .uniform_work_group_size: 1
    .uses_dynamic_stack: false
    .vgpr_count:     53
    .vgpr_spill_count: 0
    .wavefront_size: 32
    .workgroup_processor_mode: 1
  - .args:
      - .offset:         0
        .size:           4
        .value_kind:     by_value
      - .offset:         4
        .size:           4
        .value_kind:     by_value
      - .offset:         8
        .size:           8
        .value_kind:     by_value
      - .actual_access:  read_only
        .address_space:  global
        .offset:         16
        .size:           8
        .value_kind:     global_buffer
      - .actual_access:  read_only
        .address_space:  global
        .offset:         24
        .size:           8
        .value_kind:     global_buffer
      - .actual_access:  read_only
        .address_space:  global
        .offset:         32
        .size:           8
        .value_kind:     global_buffer
      - .actual_access:  read_only
        .address_space:  global
        .offset:         40
        .size:           8
        .value_kind:     global_buffer
      - .offset:         48
        .size:           8
        .value_kind:     by_value
      - .address_space:  global
        .offset:         56
        .size:           8
        .value_kind:     global_buffer
      - .offset:         64
        .size:           4
        .value_kind:     by_value
      - .offset:         68
        .size:           1
        .value_kind:     by_value
    .group_segment_fixed_size: 0
    .kernarg_segment_align: 8
    .kernarg_segment_size: 72
    .language:       OpenCL C
    .language_version:
      - 2
      - 0
    .max_flat_workgroup_size: 128
    .name:           _ZN9rocsparseL19gebsrmvn_2xn_kernelILj128ELj6ELj64EdEEvi20rocsparse_direction_NS_24const_host_device_scalarIT2_EEPKiS6_PKS3_S8_S4_PS3_21rocsparse_index_base_b
    .private_segment_fixed_size: 0
    .sgpr_count:     18
    .sgpr_spill_count: 0
    .symbol:         _ZN9rocsparseL19gebsrmvn_2xn_kernelILj128ELj6ELj64EdEEvi20rocsparse_direction_NS_24const_host_device_scalarIT2_EEPKiS6_PKS3_S8_S4_PS3_21rocsparse_index_base_b.kd
    .uniform_work_group_size: 1
    .uses_dynamic_stack: false
    .vgpr_count:     53
    .vgpr_spill_count: 0
    .wavefront_size: 32
    .workgroup_processor_mode: 1
  - .args:
      - .offset:         0
        .size:           4
        .value_kind:     by_value
      - .offset:         4
        .size:           4
        .value_kind:     by_value
      - .offset:         8
        .size:           8
        .value_kind:     by_value
      - .actual_access:  read_only
        .address_space:  global
        .offset:         16
        .size:           8
        .value_kind:     global_buffer
      - .actual_access:  read_only
        .address_space:  global
        .offset:         24
        .size:           8
        .value_kind:     global_buffer
      - .actual_access:  read_only
        .address_space:  global
        .offset:         32
        .size:           8
        .value_kind:     global_buffer
      - .actual_access:  read_only
        .address_space:  global
        .offset:         40
        .size:           8
        .value_kind:     global_buffer
      - .offset:         48
        .size:           8
        .value_kind:     by_value
      - .address_space:  global
        .offset:         56
        .size:           8
        .value_kind:     global_buffer
      - .offset:         64
        .size:           4
        .value_kind:     by_value
      - .offset:         68
        .size:           1
        .value_kind:     by_value
    .group_segment_fixed_size: 0
    .kernarg_segment_align: 8
    .kernarg_segment_size: 72
    .language:       OpenCL C
    .language_version:
      - 2
      - 0
    .max_flat_workgroup_size: 128
    .name:           _ZN9rocsparseL19gebsrmvn_2xn_kernelILj128ELj7ELj4EdEEvi20rocsparse_direction_NS_24const_host_device_scalarIT2_EEPKiS6_PKS3_S8_S4_PS3_21rocsparse_index_base_b
    .private_segment_fixed_size: 0
    .sgpr_count:     18
    .sgpr_spill_count: 0
    .symbol:         _ZN9rocsparseL19gebsrmvn_2xn_kernelILj128ELj7ELj4EdEEvi20rocsparse_direction_NS_24const_host_device_scalarIT2_EEPKiS6_PKS3_S8_S4_PS3_21rocsparse_index_base_b.kd
    .uniform_work_group_size: 1
    .uses_dynamic_stack: false
    .vgpr_count:     60
    .vgpr_spill_count: 0
    .wavefront_size: 32
    .workgroup_processor_mode: 1
  - .args:
      - .offset:         0
        .size:           4
        .value_kind:     by_value
      - .offset:         4
        .size:           4
        .value_kind:     by_value
      - .offset:         8
        .size:           8
        .value_kind:     by_value
      - .actual_access:  read_only
        .address_space:  global
        .offset:         16
        .size:           8
        .value_kind:     global_buffer
      - .actual_access:  read_only
        .address_space:  global
        .offset:         24
        .size:           8
        .value_kind:     global_buffer
      - .actual_access:  read_only
        .address_space:  global
        .offset:         32
        .size:           8
        .value_kind:     global_buffer
      - .actual_access:  read_only
        .address_space:  global
        .offset:         40
        .size:           8
        .value_kind:     global_buffer
      - .offset:         48
        .size:           8
        .value_kind:     by_value
      - .address_space:  global
        .offset:         56
        .size:           8
        .value_kind:     global_buffer
      - .offset:         64
        .size:           4
        .value_kind:     by_value
      - .offset:         68
        .size:           1
        .value_kind:     by_value
    .group_segment_fixed_size: 0
    .kernarg_segment_align: 8
    .kernarg_segment_size: 72
    .language:       OpenCL C
    .language_version:
      - 2
      - 0
    .max_flat_workgroup_size: 128
    .name:           _ZN9rocsparseL19gebsrmvn_2xn_kernelILj128ELj7ELj8EdEEvi20rocsparse_direction_NS_24const_host_device_scalarIT2_EEPKiS6_PKS3_S8_S4_PS3_21rocsparse_index_base_b
    .private_segment_fixed_size: 0
    .sgpr_count:     18
    .sgpr_spill_count: 0
    .symbol:         _ZN9rocsparseL19gebsrmvn_2xn_kernelILj128ELj7ELj8EdEEvi20rocsparse_direction_NS_24const_host_device_scalarIT2_EEPKiS6_PKS3_S8_S4_PS3_21rocsparse_index_base_b.kd
    .uniform_work_group_size: 1
    .uses_dynamic_stack: false
    .vgpr_count:     60
    .vgpr_spill_count: 0
    .wavefront_size: 32
    .workgroup_processor_mode: 1
  - .args:
      - .offset:         0
        .size:           4
        .value_kind:     by_value
      - .offset:         4
        .size:           4
        .value_kind:     by_value
      - .offset:         8
        .size:           8
        .value_kind:     by_value
      - .actual_access:  read_only
        .address_space:  global
        .offset:         16
        .size:           8
        .value_kind:     global_buffer
      - .actual_access:  read_only
        .address_space:  global
        .offset:         24
        .size:           8
        .value_kind:     global_buffer
      - .actual_access:  read_only
        .address_space:  global
        .offset:         32
        .size:           8
        .value_kind:     global_buffer
      - .actual_access:  read_only
        .address_space:  global
        .offset:         40
        .size:           8
        .value_kind:     global_buffer
      - .offset:         48
        .size:           8
        .value_kind:     by_value
      - .address_space:  global
        .offset:         56
        .size:           8
        .value_kind:     global_buffer
      - .offset:         64
        .size:           4
        .value_kind:     by_value
      - .offset:         68
        .size:           1
        .value_kind:     by_value
    .group_segment_fixed_size: 0
    .kernarg_segment_align: 8
    .kernarg_segment_size: 72
    .language:       OpenCL C
    .language_version:
      - 2
      - 0
    .max_flat_workgroup_size: 128
    .name:           _ZN9rocsparseL19gebsrmvn_2xn_kernelILj128ELj7ELj16EdEEvi20rocsparse_direction_NS_24const_host_device_scalarIT2_EEPKiS6_PKS3_S8_S4_PS3_21rocsparse_index_base_b
    .private_segment_fixed_size: 0
    .sgpr_count:     18
    .sgpr_spill_count: 0
    .symbol:         _ZN9rocsparseL19gebsrmvn_2xn_kernelILj128ELj7ELj16EdEEvi20rocsparse_direction_NS_24const_host_device_scalarIT2_EEPKiS6_PKS3_S8_S4_PS3_21rocsparse_index_base_b.kd
    .uniform_work_group_size: 1
    .uses_dynamic_stack: false
    .vgpr_count:     60
    .vgpr_spill_count: 0
    .wavefront_size: 32
    .workgroup_processor_mode: 1
  - .args:
      - .offset:         0
        .size:           4
        .value_kind:     by_value
      - .offset:         4
        .size:           4
        .value_kind:     by_value
      - .offset:         8
        .size:           8
        .value_kind:     by_value
      - .actual_access:  read_only
        .address_space:  global
        .offset:         16
        .size:           8
        .value_kind:     global_buffer
      - .actual_access:  read_only
        .address_space:  global
        .offset:         24
        .size:           8
        .value_kind:     global_buffer
      - .actual_access:  read_only
        .address_space:  global
        .offset:         32
        .size:           8
        .value_kind:     global_buffer
      - .actual_access:  read_only
        .address_space:  global
        .offset:         40
        .size:           8
        .value_kind:     global_buffer
      - .offset:         48
        .size:           8
        .value_kind:     by_value
      - .address_space:  global
        .offset:         56
        .size:           8
        .value_kind:     global_buffer
      - .offset:         64
        .size:           4
        .value_kind:     by_value
      - .offset:         68
        .size:           1
        .value_kind:     by_value
    .group_segment_fixed_size: 0
    .kernarg_segment_align: 8
    .kernarg_segment_size: 72
    .language:       OpenCL C
    .language_version:
      - 2
      - 0
    .max_flat_workgroup_size: 128
    .name:           _ZN9rocsparseL19gebsrmvn_2xn_kernelILj128ELj7ELj32EdEEvi20rocsparse_direction_NS_24const_host_device_scalarIT2_EEPKiS6_PKS3_S8_S4_PS3_21rocsparse_index_base_b
    .private_segment_fixed_size: 0
    .sgpr_count:     18
    .sgpr_spill_count: 0
    .symbol:         _ZN9rocsparseL19gebsrmvn_2xn_kernelILj128ELj7ELj32EdEEvi20rocsparse_direction_NS_24const_host_device_scalarIT2_EEPKiS6_PKS3_S8_S4_PS3_21rocsparse_index_base_b.kd
    .uniform_work_group_size: 1
    .uses_dynamic_stack: false
    .vgpr_count:     59
    .vgpr_spill_count: 0
    .wavefront_size: 32
    .workgroup_processor_mode: 1
  - .args:
      - .offset:         0
        .size:           4
        .value_kind:     by_value
      - .offset:         4
        .size:           4
        .value_kind:     by_value
      - .offset:         8
        .size:           8
        .value_kind:     by_value
      - .actual_access:  read_only
        .address_space:  global
        .offset:         16
        .size:           8
        .value_kind:     global_buffer
      - .actual_access:  read_only
        .address_space:  global
        .offset:         24
        .size:           8
        .value_kind:     global_buffer
      - .actual_access:  read_only
        .address_space:  global
        .offset:         32
        .size:           8
        .value_kind:     global_buffer
      - .actual_access:  read_only
        .address_space:  global
        .offset:         40
        .size:           8
        .value_kind:     global_buffer
      - .offset:         48
        .size:           8
        .value_kind:     by_value
      - .address_space:  global
        .offset:         56
        .size:           8
        .value_kind:     global_buffer
      - .offset:         64
        .size:           4
        .value_kind:     by_value
      - .offset:         68
        .size:           1
        .value_kind:     by_value
    .group_segment_fixed_size: 0
    .kernarg_segment_align: 8
    .kernarg_segment_size: 72
    .language:       OpenCL C
    .language_version:
      - 2
      - 0
    .max_flat_workgroup_size: 128
    .name:           _ZN9rocsparseL19gebsrmvn_2xn_kernelILj128ELj7ELj64EdEEvi20rocsparse_direction_NS_24const_host_device_scalarIT2_EEPKiS6_PKS3_S8_S4_PS3_21rocsparse_index_base_b
    .private_segment_fixed_size: 0
    .sgpr_count:     18
    .sgpr_spill_count: 0
    .symbol:         _ZN9rocsparseL19gebsrmvn_2xn_kernelILj128ELj7ELj64EdEEvi20rocsparse_direction_NS_24const_host_device_scalarIT2_EEPKiS6_PKS3_S8_S4_PS3_21rocsparse_index_base_b.kd
    .uniform_work_group_size: 1
    .uses_dynamic_stack: false
    .vgpr_count:     59
    .vgpr_spill_count: 0
    .wavefront_size: 32
    .workgroup_processor_mode: 1
  - .args:
      - .offset:         0
        .size:           4
        .value_kind:     by_value
      - .offset:         4
        .size:           4
        .value_kind:     by_value
      - .offset:         8
        .size:           8
        .value_kind:     by_value
      - .actual_access:  read_only
        .address_space:  global
        .offset:         16
        .size:           8
        .value_kind:     global_buffer
      - .actual_access:  read_only
        .address_space:  global
        .offset:         24
        .size:           8
        .value_kind:     global_buffer
      - .actual_access:  read_only
        .address_space:  global
        .offset:         32
        .size:           8
        .value_kind:     global_buffer
      - .actual_access:  read_only
        .address_space:  global
        .offset:         40
        .size:           8
        .value_kind:     global_buffer
      - .offset:         48
        .size:           8
        .value_kind:     by_value
      - .address_space:  global
        .offset:         56
        .size:           8
        .value_kind:     global_buffer
      - .offset:         64
        .size:           4
        .value_kind:     by_value
      - .offset:         68
        .size:           1
        .value_kind:     by_value
    .group_segment_fixed_size: 0
    .kernarg_segment_align: 8
    .kernarg_segment_size: 72
    .language:       OpenCL C
    .language_version:
      - 2
      - 0
    .max_flat_workgroup_size: 128
    .name:           _ZN9rocsparseL19gebsrmvn_2xn_kernelILj128ELj8ELj4EdEEvi20rocsparse_direction_NS_24const_host_device_scalarIT2_EEPKiS6_PKS3_S8_S4_PS3_21rocsparse_index_base_b
    .private_segment_fixed_size: 0
    .sgpr_count:     18
    .sgpr_spill_count: 0
    .symbol:         _ZN9rocsparseL19gebsrmvn_2xn_kernelILj128ELj8ELj4EdEEvi20rocsparse_direction_NS_24const_host_device_scalarIT2_EEPKiS6_PKS3_S8_S4_PS3_21rocsparse_index_base_b.kd
    .uniform_work_group_size: 1
    .uses_dynamic_stack: false
    .vgpr_count:     65
    .vgpr_spill_count: 0
    .wavefront_size: 32
    .workgroup_processor_mode: 1
  - .args:
      - .offset:         0
        .size:           4
        .value_kind:     by_value
      - .offset:         4
        .size:           4
        .value_kind:     by_value
      - .offset:         8
        .size:           8
        .value_kind:     by_value
      - .actual_access:  read_only
        .address_space:  global
        .offset:         16
        .size:           8
        .value_kind:     global_buffer
      - .actual_access:  read_only
        .address_space:  global
        .offset:         24
        .size:           8
        .value_kind:     global_buffer
      - .actual_access:  read_only
        .address_space:  global
        .offset:         32
        .size:           8
        .value_kind:     global_buffer
      - .actual_access:  read_only
        .address_space:  global
        .offset:         40
        .size:           8
        .value_kind:     global_buffer
      - .offset:         48
        .size:           8
        .value_kind:     by_value
      - .address_space:  global
        .offset:         56
        .size:           8
        .value_kind:     global_buffer
      - .offset:         64
        .size:           4
        .value_kind:     by_value
      - .offset:         68
        .size:           1
        .value_kind:     by_value
    .group_segment_fixed_size: 0
    .kernarg_segment_align: 8
    .kernarg_segment_size: 72
    .language:       OpenCL C
    .language_version:
      - 2
      - 0
    .max_flat_workgroup_size: 128
    .name:           _ZN9rocsparseL19gebsrmvn_2xn_kernelILj128ELj8ELj8EdEEvi20rocsparse_direction_NS_24const_host_device_scalarIT2_EEPKiS6_PKS3_S8_S4_PS3_21rocsparse_index_base_b
    .private_segment_fixed_size: 0
    .sgpr_count:     18
    .sgpr_spill_count: 0
    .symbol:         _ZN9rocsparseL19gebsrmvn_2xn_kernelILj128ELj8ELj8EdEEvi20rocsparse_direction_NS_24const_host_device_scalarIT2_EEPKiS6_PKS3_S8_S4_PS3_21rocsparse_index_base_b.kd
    .uniform_work_group_size: 1
    .uses_dynamic_stack: false
    .vgpr_count:     65
    .vgpr_spill_count: 0
    .wavefront_size: 32
    .workgroup_processor_mode: 1
  - .args:
      - .offset:         0
        .size:           4
        .value_kind:     by_value
      - .offset:         4
        .size:           4
        .value_kind:     by_value
      - .offset:         8
        .size:           8
        .value_kind:     by_value
      - .actual_access:  read_only
        .address_space:  global
        .offset:         16
        .size:           8
        .value_kind:     global_buffer
      - .actual_access:  read_only
        .address_space:  global
        .offset:         24
        .size:           8
        .value_kind:     global_buffer
      - .actual_access:  read_only
        .address_space:  global
        .offset:         32
        .size:           8
        .value_kind:     global_buffer
      - .actual_access:  read_only
        .address_space:  global
        .offset:         40
        .size:           8
        .value_kind:     global_buffer
      - .offset:         48
        .size:           8
        .value_kind:     by_value
      - .address_space:  global
        .offset:         56
        .size:           8
        .value_kind:     global_buffer
      - .offset:         64
        .size:           4
        .value_kind:     by_value
      - .offset:         68
        .size:           1
        .value_kind:     by_value
    .group_segment_fixed_size: 0
    .kernarg_segment_align: 8
    .kernarg_segment_size: 72
    .language:       OpenCL C
    .language_version:
      - 2
      - 0
    .max_flat_workgroup_size: 128
    .name:           _ZN9rocsparseL19gebsrmvn_2xn_kernelILj128ELj8ELj16EdEEvi20rocsparse_direction_NS_24const_host_device_scalarIT2_EEPKiS6_PKS3_S8_S4_PS3_21rocsparse_index_base_b
    .private_segment_fixed_size: 0
    .sgpr_count:     18
    .sgpr_spill_count: 0
    .symbol:         _ZN9rocsparseL19gebsrmvn_2xn_kernelILj128ELj8ELj16EdEEvi20rocsparse_direction_NS_24const_host_device_scalarIT2_EEPKiS6_PKS3_S8_S4_PS3_21rocsparse_index_base_b.kd
    .uniform_work_group_size: 1
    .uses_dynamic_stack: false
    .vgpr_count:     65
    .vgpr_spill_count: 0
    .wavefront_size: 32
    .workgroup_processor_mode: 1
  - .args:
      - .offset:         0
        .size:           4
        .value_kind:     by_value
      - .offset:         4
        .size:           4
        .value_kind:     by_value
      - .offset:         8
        .size:           8
        .value_kind:     by_value
      - .actual_access:  read_only
        .address_space:  global
        .offset:         16
        .size:           8
        .value_kind:     global_buffer
      - .actual_access:  read_only
        .address_space:  global
        .offset:         24
        .size:           8
        .value_kind:     global_buffer
      - .actual_access:  read_only
        .address_space:  global
        .offset:         32
        .size:           8
        .value_kind:     global_buffer
      - .actual_access:  read_only
        .address_space:  global
        .offset:         40
        .size:           8
        .value_kind:     global_buffer
      - .offset:         48
        .size:           8
        .value_kind:     by_value
      - .address_space:  global
        .offset:         56
        .size:           8
        .value_kind:     global_buffer
      - .offset:         64
        .size:           4
        .value_kind:     by_value
      - .offset:         68
        .size:           1
        .value_kind:     by_value
    .group_segment_fixed_size: 0
    .kernarg_segment_align: 8
    .kernarg_segment_size: 72
    .language:       OpenCL C
    .language_version:
      - 2
      - 0
    .max_flat_workgroup_size: 128
    .name:           _ZN9rocsparseL19gebsrmvn_2xn_kernelILj128ELj8ELj32EdEEvi20rocsparse_direction_NS_24const_host_device_scalarIT2_EEPKiS6_PKS3_S8_S4_PS3_21rocsparse_index_base_b
    .private_segment_fixed_size: 0
    .sgpr_count:     18
    .sgpr_spill_count: 0
    .symbol:         _ZN9rocsparseL19gebsrmvn_2xn_kernelILj128ELj8ELj32EdEEvi20rocsparse_direction_NS_24const_host_device_scalarIT2_EEPKiS6_PKS3_S8_S4_PS3_21rocsparse_index_base_b.kd
    .uniform_work_group_size: 1
    .uses_dynamic_stack: false
    .vgpr_count:     65
    .vgpr_spill_count: 0
    .wavefront_size: 32
    .workgroup_processor_mode: 1
  - .args:
      - .offset:         0
        .size:           4
        .value_kind:     by_value
      - .offset:         4
        .size:           4
        .value_kind:     by_value
      - .offset:         8
        .size:           8
        .value_kind:     by_value
      - .actual_access:  read_only
        .address_space:  global
        .offset:         16
        .size:           8
        .value_kind:     global_buffer
      - .actual_access:  read_only
        .address_space:  global
        .offset:         24
        .size:           8
        .value_kind:     global_buffer
      - .actual_access:  read_only
        .address_space:  global
        .offset:         32
        .size:           8
        .value_kind:     global_buffer
      - .actual_access:  read_only
        .address_space:  global
        .offset:         40
        .size:           8
        .value_kind:     global_buffer
      - .offset:         48
        .size:           8
        .value_kind:     by_value
      - .address_space:  global
        .offset:         56
        .size:           8
        .value_kind:     global_buffer
      - .offset:         64
        .size:           4
        .value_kind:     by_value
      - .offset:         68
        .size:           1
        .value_kind:     by_value
    .group_segment_fixed_size: 0
    .kernarg_segment_align: 8
    .kernarg_segment_size: 72
    .language:       OpenCL C
    .language_version:
      - 2
      - 0
    .max_flat_workgroup_size: 128
    .name:           _ZN9rocsparseL19gebsrmvn_2xn_kernelILj128ELj8ELj64EdEEvi20rocsparse_direction_NS_24const_host_device_scalarIT2_EEPKiS6_PKS3_S8_S4_PS3_21rocsparse_index_base_b
    .private_segment_fixed_size: 0
    .sgpr_count:     18
    .sgpr_spill_count: 0
    .symbol:         _ZN9rocsparseL19gebsrmvn_2xn_kernelILj128ELj8ELj64EdEEvi20rocsparse_direction_NS_24const_host_device_scalarIT2_EEPKiS6_PKS3_S8_S4_PS3_21rocsparse_index_base_b.kd
    .uniform_work_group_size: 1
    .uses_dynamic_stack: false
    .vgpr_count:     65
    .vgpr_spill_count: 0
    .wavefront_size: 32
    .workgroup_processor_mode: 1
  - .args:
      - .offset:         0
        .size:           4
        .value_kind:     by_value
      - .offset:         4
        .size:           4
        .value_kind:     by_value
      - .offset:         8
        .size:           8
        .value_kind:     by_value
      - .actual_access:  read_only
        .address_space:  global
        .offset:         16
        .size:           8
        .value_kind:     global_buffer
      - .actual_access:  read_only
        .address_space:  global
        .offset:         24
        .size:           8
        .value_kind:     global_buffer
      - .actual_access:  read_only
        .address_space:  global
        .offset:         32
        .size:           8
        .value_kind:     global_buffer
      - .actual_access:  read_only
        .address_space:  global
        .offset:         40
        .size:           8
        .value_kind:     global_buffer
      - .offset:         48
        .size:           8
        .value_kind:     by_value
      - .address_space:  global
        .offset:         56
        .size:           8
        .value_kind:     global_buffer
      - .offset:         64
        .size:           4
        .value_kind:     by_value
      - .offset:         68
        .size:           1
        .value_kind:     by_value
    .group_segment_fixed_size: 0
    .kernarg_segment_align: 8
    .kernarg_segment_size: 72
    .language:       OpenCL C
    .language_version:
      - 2
      - 0
    .max_flat_workgroup_size: 128
    .name:           _ZN9rocsparseL19gebsrmvn_2xn_kernelILj128ELj9ELj4EdEEvi20rocsparse_direction_NS_24const_host_device_scalarIT2_EEPKiS6_PKS3_S8_S4_PS3_21rocsparse_index_base_b
    .private_segment_fixed_size: 0
    .sgpr_count:     18
    .sgpr_spill_count: 0
    .symbol:         _ZN9rocsparseL19gebsrmvn_2xn_kernelILj128ELj9ELj4EdEEvi20rocsparse_direction_NS_24const_host_device_scalarIT2_EEPKiS6_PKS3_S8_S4_PS3_21rocsparse_index_base_b.kd
    .uniform_work_group_size: 1
    .uses_dynamic_stack: false
    .vgpr_count:     72
    .vgpr_spill_count: 0
    .wavefront_size: 32
    .workgroup_processor_mode: 1
  - .args:
      - .offset:         0
        .size:           4
        .value_kind:     by_value
      - .offset:         4
        .size:           4
        .value_kind:     by_value
      - .offset:         8
        .size:           8
        .value_kind:     by_value
      - .actual_access:  read_only
        .address_space:  global
        .offset:         16
        .size:           8
        .value_kind:     global_buffer
      - .actual_access:  read_only
        .address_space:  global
        .offset:         24
        .size:           8
        .value_kind:     global_buffer
      - .actual_access:  read_only
        .address_space:  global
        .offset:         32
        .size:           8
        .value_kind:     global_buffer
      - .actual_access:  read_only
        .address_space:  global
        .offset:         40
        .size:           8
        .value_kind:     global_buffer
      - .offset:         48
        .size:           8
        .value_kind:     by_value
      - .address_space:  global
        .offset:         56
        .size:           8
        .value_kind:     global_buffer
      - .offset:         64
        .size:           4
        .value_kind:     by_value
      - .offset:         68
        .size:           1
        .value_kind:     by_value
    .group_segment_fixed_size: 0
    .kernarg_segment_align: 8
    .kernarg_segment_size: 72
    .language:       OpenCL C
    .language_version:
      - 2
      - 0
    .max_flat_workgroup_size: 128
    .name:           _ZN9rocsparseL19gebsrmvn_2xn_kernelILj128ELj9ELj8EdEEvi20rocsparse_direction_NS_24const_host_device_scalarIT2_EEPKiS6_PKS3_S8_S4_PS3_21rocsparse_index_base_b
    .private_segment_fixed_size: 0
    .sgpr_count:     18
    .sgpr_spill_count: 0
    .symbol:         _ZN9rocsparseL19gebsrmvn_2xn_kernelILj128ELj9ELj8EdEEvi20rocsparse_direction_NS_24const_host_device_scalarIT2_EEPKiS6_PKS3_S8_S4_PS3_21rocsparse_index_base_b.kd
    .uniform_work_group_size: 1
    .uses_dynamic_stack: false
    .vgpr_count:     72
    .vgpr_spill_count: 0
    .wavefront_size: 32
    .workgroup_processor_mode: 1
  - .args:
      - .offset:         0
        .size:           4
        .value_kind:     by_value
      - .offset:         4
        .size:           4
        .value_kind:     by_value
      - .offset:         8
        .size:           8
        .value_kind:     by_value
      - .actual_access:  read_only
        .address_space:  global
        .offset:         16
        .size:           8
        .value_kind:     global_buffer
      - .actual_access:  read_only
        .address_space:  global
        .offset:         24
        .size:           8
        .value_kind:     global_buffer
      - .actual_access:  read_only
        .address_space:  global
        .offset:         32
        .size:           8
        .value_kind:     global_buffer
      - .actual_access:  read_only
        .address_space:  global
        .offset:         40
        .size:           8
        .value_kind:     global_buffer
      - .offset:         48
        .size:           8
        .value_kind:     by_value
      - .address_space:  global
        .offset:         56
        .size:           8
        .value_kind:     global_buffer
      - .offset:         64
        .size:           4
        .value_kind:     by_value
      - .offset:         68
        .size:           1
        .value_kind:     by_value
    .group_segment_fixed_size: 0
    .kernarg_segment_align: 8
    .kernarg_segment_size: 72
    .language:       OpenCL C
    .language_version:
      - 2
      - 0
    .max_flat_workgroup_size: 128
    .name:           _ZN9rocsparseL19gebsrmvn_2xn_kernelILj128ELj9ELj16EdEEvi20rocsparse_direction_NS_24const_host_device_scalarIT2_EEPKiS6_PKS3_S8_S4_PS3_21rocsparse_index_base_b
    .private_segment_fixed_size: 0
    .sgpr_count:     18
    .sgpr_spill_count: 0
    .symbol:         _ZN9rocsparseL19gebsrmvn_2xn_kernelILj128ELj9ELj16EdEEvi20rocsparse_direction_NS_24const_host_device_scalarIT2_EEPKiS6_PKS3_S8_S4_PS3_21rocsparse_index_base_b.kd
    .uniform_work_group_size: 1
    .uses_dynamic_stack: false
    .vgpr_count:     72
    .vgpr_spill_count: 0
    .wavefront_size: 32
    .workgroup_processor_mode: 1
  - .args:
      - .offset:         0
        .size:           4
        .value_kind:     by_value
      - .offset:         4
        .size:           4
        .value_kind:     by_value
      - .offset:         8
        .size:           8
        .value_kind:     by_value
      - .actual_access:  read_only
        .address_space:  global
        .offset:         16
        .size:           8
        .value_kind:     global_buffer
      - .actual_access:  read_only
        .address_space:  global
        .offset:         24
        .size:           8
        .value_kind:     global_buffer
      - .actual_access:  read_only
        .address_space:  global
        .offset:         32
        .size:           8
        .value_kind:     global_buffer
      - .actual_access:  read_only
        .address_space:  global
        .offset:         40
        .size:           8
        .value_kind:     global_buffer
      - .offset:         48
        .size:           8
        .value_kind:     by_value
      - .address_space:  global
        .offset:         56
        .size:           8
        .value_kind:     global_buffer
      - .offset:         64
        .size:           4
        .value_kind:     by_value
      - .offset:         68
        .size:           1
        .value_kind:     by_value
    .group_segment_fixed_size: 0
    .kernarg_segment_align: 8
    .kernarg_segment_size: 72
    .language:       OpenCL C
    .language_version:
      - 2
      - 0
    .max_flat_workgroup_size: 128
    .name:           _ZN9rocsparseL19gebsrmvn_2xn_kernelILj128ELj9ELj32EdEEvi20rocsparse_direction_NS_24const_host_device_scalarIT2_EEPKiS6_PKS3_S8_S4_PS3_21rocsparse_index_base_b
    .private_segment_fixed_size: 0
    .sgpr_count:     18
    .sgpr_spill_count: 0
    .symbol:         _ZN9rocsparseL19gebsrmvn_2xn_kernelILj128ELj9ELj32EdEEvi20rocsparse_direction_NS_24const_host_device_scalarIT2_EEPKiS6_PKS3_S8_S4_PS3_21rocsparse_index_base_b.kd
    .uniform_work_group_size: 1
    .uses_dynamic_stack: false
    .vgpr_count:     72
    .vgpr_spill_count: 0
    .wavefront_size: 32
    .workgroup_processor_mode: 1
  - .args:
      - .offset:         0
        .size:           4
        .value_kind:     by_value
      - .offset:         4
        .size:           4
        .value_kind:     by_value
      - .offset:         8
        .size:           8
        .value_kind:     by_value
      - .actual_access:  read_only
        .address_space:  global
        .offset:         16
        .size:           8
        .value_kind:     global_buffer
      - .actual_access:  read_only
        .address_space:  global
        .offset:         24
        .size:           8
        .value_kind:     global_buffer
      - .actual_access:  read_only
        .address_space:  global
        .offset:         32
        .size:           8
        .value_kind:     global_buffer
      - .actual_access:  read_only
        .address_space:  global
        .offset:         40
        .size:           8
        .value_kind:     global_buffer
      - .offset:         48
        .size:           8
        .value_kind:     by_value
      - .address_space:  global
        .offset:         56
        .size:           8
        .value_kind:     global_buffer
      - .offset:         64
        .size:           4
        .value_kind:     by_value
      - .offset:         68
        .size:           1
        .value_kind:     by_value
    .group_segment_fixed_size: 0
    .kernarg_segment_align: 8
    .kernarg_segment_size: 72
    .language:       OpenCL C
    .language_version:
      - 2
      - 0
    .max_flat_workgroup_size: 128
    .name:           _ZN9rocsparseL19gebsrmvn_2xn_kernelILj128ELj9ELj64EdEEvi20rocsparse_direction_NS_24const_host_device_scalarIT2_EEPKiS6_PKS3_S8_S4_PS3_21rocsparse_index_base_b
    .private_segment_fixed_size: 0
    .sgpr_count:     18
    .sgpr_spill_count: 0
    .symbol:         _ZN9rocsparseL19gebsrmvn_2xn_kernelILj128ELj9ELj64EdEEvi20rocsparse_direction_NS_24const_host_device_scalarIT2_EEPKiS6_PKS3_S8_S4_PS3_21rocsparse_index_base_b.kd
    .uniform_work_group_size: 1
    .uses_dynamic_stack: false
    .vgpr_count:     72
    .vgpr_spill_count: 0
    .wavefront_size: 32
    .workgroup_processor_mode: 1
  - .args:
      - .offset:         0
        .size:           4
        .value_kind:     by_value
      - .offset:         4
        .size:           4
        .value_kind:     by_value
      - .offset:         8
        .size:           8
        .value_kind:     by_value
      - .actual_access:  read_only
        .address_space:  global
        .offset:         16
        .size:           8
        .value_kind:     global_buffer
      - .actual_access:  read_only
        .address_space:  global
        .offset:         24
        .size:           8
        .value_kind:     global_buffer
      - .actual_access:  read_only
        .address_space:  global
        .offset:         32
        .size:           8
        .value_kind:     global_buffer
      - .actual_access:  read_only
        .address_space:  global
        .offset:         40
        .size:           8
        .value_kind:     global_buffer
      - .offset:         48
        .size:           8
        .value_kind:     by_value
      - .address_space:  global
        .offset:         56
        .size:           8
        .value_kind:     global_buffer
      - .offset:         64
        .size:           4
        .value_kind:     by_value
      - .offset:         68
        .size:           1
        .value_kind:     by_value
    .group_segment_fixed_size: 0
    .kernarg_segment_align: 8
    .kernarg_segment_size: 72
    .language:       OpenCL C
    .language_version:
      - 2
      - 0
    .max_flat_workgroup_size: 128
    .name:           _ZN9rocsparseL19gebsrmvn_2xn_kernelILj128ELj10ELj4EdEEvi20rocsparse_direction_NS_24const_host_device_scalarIT2_EEPKiS6_PKS3_S8_S4_PS3_21rocsparse_index_base_b
    .private_segment_fixed_size: 0
    .sgpr_count:     18
    .sgpr_spill_count: 0
    .symbol:         _ZN9rocsparseL19gebsrmvn_2xn_kernelILj128ELj10ELj4EdEEvi20rocsparse_direction_NS_24const_host_device_scalarIT2_EEPKiS6_PKS3_S8_S4_PS3_21rocsparse_index_base_b.kd
    .uniform_work_group_size: 1
    .uses_dynamic_stack: false
    .vgpr_count:     78
    .vgpr_spill_count: 0
    .wavefront_size: 32
    .workgroup_processor_mode: 1
  - .args:
      - .offset:         0
        .size:           4
        .value_kind:     by_value
      - .offset:         4
        .size:           4
        .value_kind:     by_value
      - .offset:         8
        .size:           8
        .value_kind:     by_value
      - .actual_access:  read_only
        .address_space:  global
        .offset:         16
        .size:           8
        .value_kind:     global_buffer
      - .actual_access:  read_only
        .address_space:  global
        .offset:         24
        .size:           8
        .value_kind:     global_buffer
      - .actual_access:  read_only
        .address_space:  global
        .offset:         32
        .size:           8
        .value_kind:     global_buffer
      - .actual_access:  read_only
        .address_space:  global
        .offset:         40
        .size:           8
        .value_kind:     global_buffer
      - .offset:         48
        .size:           8
        .value_kind:     by_value
      - .address_space:  global
        .offset:         56
        .size:           8
        .value_kind:     global_buffer
      - .offset:         64
        .size:           4
        .value_kind:     by_value
      - .offset:         68
        .size:           1
        .value_kind:     by_value
    .group_segment_fixed_size: 0
    .kernarg_segment_align: 8
    .kernarg_segment_size: 72
    .language:       OpenCL C
    .language_version:
      - 2
      - 0
    .max_flat_workgroup_size: 128
    .name:           _ZN9rocsparseL19gebsrmvn_2xn_kernelILj128ELj10ELj8EdEEvi20rocsparse_direction_NS_24const_host_device_scalarIT2_EEPKiS6_PKS3_S8_S4_PS3_21rocsparse_index_base_b
    .private_segment_fixed_size: 0
    .sgpr_count:     18
    .sgpr_spill_count: 0
    .symbol:         _ZN9rocsparseL19gebsrmvn_2xn_kernelILj128ELj10ELj8EdEEvi20rocsparse_direction_NS_24const_host_device_scalarIT2_EEPKiS6_PKS3_S8_S4_PS3_21rocsparse_index_base_b.kd
    .uniform_work_group_size: 1
    .uses_dynamic_stack: false
    .vgpr_count:     78
    .vgpr_spill_count: 0
    .wavefront_size: 32
    .workgroup_processor_mode: 1
  - .args:
      - .offset:         0
        .size:           4
        .value_kind:     by_value
      - .offset:         4
        .size:           4
        .value_kind:     by_value
      - .offset:         8
        .size:           8
        .value_kind:     by_value
      - .actual_access:  read_only
        .address_space:  global
        .offset:         16
        .size:           8
        .value_kind:     global_buffer
      - .actual_access:  read_only
        .address_space:  global
        .offset:         24
        .size:           8
        .value_kind:     global_buffer
      - .actual_access:  read_only
        .address_space:  global
        .offset:         32
        .size:           8
        .value_kind:     global_buffer
      - .actual_access:  read_only
        .address_space:  global
        .offset:         40
        .size:           8
        .value_kind:     global_buffer
      - .offset:         48
        .size:           8
        .value_kind:     by_value
      - .address_space:  global
        .offset:         56
        .size:           8
        .value_kind:     global_buffer
      - .offset:         64
        .size:           4
        .value_kind:     by_value
      - .offset:         68
        .size:           1
        .value_kind:     by_value
    .group_segment_fixed_size: 0
    .kernarg_segment_align: 8
    .kernarg_segment_size: 72
    .language:       OpenCL C
    .language_version:
      - 2
      - 0
    .max_flat_workgroup_size: 128
    .name:           _ZN9rocsparseL19gebsrmvn_2xn_kernelILj128ELj10ELj16EdEEvi20rocsparse_direction_NS_24const_host_device_scalarIT2_EEPKiS6_PKS3_S8_S4_PS3_21rocsparse_index_base_b
    .private_segment_fixed_size: 0
    .sgpr_count:     18
    .sgpr_spill_count: 0
    .symbol:         _ZN9rocsparseL19gebsrmvn_2xn_kernelILj128ELj10ELj16EdEEvi20rocsparse_direction_NS_24const_host_device_scalarIT2_EEPKiS6_PKS3_S8_S4_PS3_21rocsparse_index_base_b.kd
    .uniform_work_group_size: 1
    .uses_dynamic_stack: false
    .vgpr_count:     78
    .vgpr_spill_count: 0
    .wavefront_size: 32
    .workgroup_processor_mode: 1
  - .args:
      - .offset:         0
        .size:           4
        .value_kind:     by_value
      - .offset:         4
        .size:           4
        .value_kind:     by_value
      - .offset:         8
        .size:           8
        .value_kind:     by_value
      - .actual_access:  read_only
        .address_space:  global
        .offset:         16
        .size:           8
        .value_kind:     global_buffer
      - .actual_access:  read_only
        .address_space:  global
        .offset:         24
        .size:           8
        .value_kind:     global_buffer
      - .actual_access:  read_only
        .address_space:  global
        .offset:         32
        .size:           8
        .value_kind:     global_buffer
      - .actual_access:  read_only
        .address_space:  global
        .offset:         40
        .size:           8
        .value_kind:     global_buffer
      - .offset:         48
        .size:           8
        .value_kind:     by_value
      - .address_space:  global
        .offset:         56
        .size:           8
        .value_kind:     global_buffer
      - .offset:         64
        .size:           4
        .value_kind:     by_value
      - .offset:         68
        .size:           1
        .value_kind:     by_value
    .group_segment_fixed_size: 0
    .kernarg_segment_align: 8
    .kernarg_segment_size: 72
    .language:       OpenCL C
    .language_version:
      - 2
      - 0
    .max_flat_workgroup_size: 128
    .name:           _ZN9rocsparseL19gebsrmvn_2xn_kernelILj128ELj10ELj32EdEEvi20rocsparse_direction_NS_24const_host_device_scalarIT2_EEPKiS6_PKS3_S8_S4_PS3_21rocsparse_index_base_b
    .private_segment_fixed_size: 0
    .sgpr_count:     18
    .sgpr_spill_count: 0
    .symbol:         _ZN9rocsparseL19gebsrmvn_2xn_kernelILj128ELj10ELj32EdEEvi20rocsparse_direction_NS_24const_host_device_scalarIT2_EEPKiS6_PKS3_S8_S4_PS3_21rocsparse_index_base_b.kd
    .uniform_work_group_size: 1
    .uses_dynamic_stack: false
    .vgpr_count:     78
    .vgpr_spill_count: 0
    .wavefront_size: 32
    .workgroup_processor_mode: 1
  - .args:
      - .offset:         0
        .size:           4
        .value_kind:     by_value
      - .offset:         4
        .size:           4
        .value_kind:     by_value
      - .offset:         8
        .size:           8
        .value_kind:     by_value
      - .actual_access:  read_only
        .address_space:  global
        .offset:         16
        .size:           8
        .value_kind:     global_buffer
      - .actual_access:  read_only
        .address_space:  global
        .offset:         24
        .size:           8
        .value_kind:     global_buffer
      - .actual_access:  read_only
        .address_space:  global
        .offset:         32
        .size:           8
        .value_kind:     global_buffer
      - .actual_access:  read_only
        .address_space:  global
        .offset:         40
        .size:           8
        .value_kind:     global_buffer
      - .offset:         48
        .size:           8
        .value_kind:     by_value
      - .address_space:  global
        .offset:         56
        .size:           8
        .value_kind:     global_buffer
      - .offset:         64
        .size:           4
        .value_kind:     by_value
      - .offset:         68
        .size:           1
        .value_kind:     by_value
    .group_segment_fixed_size: 0
    .kernarg_segment_align: 8
    .kernarg_segment_size: 72
    .language:       OpenCL C
    .language_version:
      - 2
      - 0
    .max_flat_workgroup_size: 128
    .name:           _ZN9rocsparseL19gebsrmvn_2xn_kernelILj128ELj10ELj64EdEEvi20rocsparse_direction_NS_24const_host_device_scalarIT2_EEPKiS6_PKS3_S8_S4_PS3_21rocsparse_index_base_b
    .private_segment_fixed_size: 0
    .sgpr_count:     18
    .sgpr_spill_count: 0
    .symbol:         _ZN9rocsparseL19gebsrmvn_2xn_kernelILj128ELj10ELj64EdEEvi20rocsparse_direction_NS_24const_host_device_scalarIT2_EEPKiS6_PKS3_S8_S4_PS3_21rocsparse_index_base_b.kd
    .uniform_work_group_size: 1
    .uses_dynamic_stack: false
    .vgpr_count:     78
    .vgpr_spill_count: 0
    .wavefront_size: 32
    .workgroup_processor_mode: 1
  - .args:
      - .offset:         0
        .size:           4
        .value_kind:     by_value
      - .offset:         4
        .size:           4
        .value_kind:     by_value
      - .offset:         8
        .size:           8
        .value_kind:     by_value
      - .actual_access:  read_only
        .address_space:  global
        .offset:         16
        .size:           8
        .value_kind:     global_buffer
      - .actual_access:  read_only
        .address_space:  global
        .offset:         24
        .size:           8
        .value_kind:     global_buffer
      - .actual_access:  read_only
        .address_space:  global
        .offset:         32
        .size:           8
        .value_kind:     global_buffer
      - .actual_access:  read_only
        .address_space:  global
        .offset:         40
        .size:           8
        .value_kind:     global_buffer
      - .offset:         48
        .size:           8
        .value_kind:     by_value
      - .address_space:  global
        .offset:         56
        .size:           8
        .value_kind:     global_buffer
      - .offset:         64
        .size:           4
        .value_kind:     by_value
      - .offset:         68
        .size:           1
        .value_kind:     by_value
    .group_segment_fixed_size: 0
    .kernarg_segment_align: 8
    .kernarg_segment_size: 72
    .language:       OpenCL C
    .language_version:
      - 2
      - 0
    .max_flat_workgroup_size: 128
    .name:           _ZN9rocsparseL19gebsrmvn_2xn_kernelILj128ELj11ELj4EdEEvi20rocsparse_direction_NS_24const_host_device_scalarIT2_EEPKiS6_PKS3_S8_S4_PS3_21rocsparse_index_base_b
    .private_segment_fixed_size: 0
    .sgpr_count:     18
    .sgpr_spill_count: 0
    .symbol:         _ZN9rocsparseL19gebsrmvn_2xn_kernelILj128ELj11ELj4EdEEvi20rocsparse_direction_NS_24const_host_device_scalarIT2_EEPKiS6_PKS3_S8_S4_PS3_21rocsparse_index_base_b.kd
    .uniform_work_group_size: 1
    .uses_dynamic_stack: false
    .vgpr_count:     67
    .vgpr_spill_count: 0
    .wavefront_size: 32
    .workgroup_processor_mode: 1
  - .args:
      - .offset:         0
        .size:           4
        .value_kind:     by_value
      - .offset:         4
        .size:           4
        .value_kind:     by_value
      - .offset:         8
        .size:           8
        .value_kind:     by_value
      - .actual_access:  read_only
        .address_space:  global
        .offset:         16
        .size:           8
        .value_kind:     global_buffer
      - .actual_access:  read_only
        .address_space:  global
        .offset:         24
        .size:           8
        .value_kind:     global_buffer
      - .actual_access:  read_only
        .address_space:  global
        .offset:         32
        .size:           8
        .value_kind:     global_buffer
      - .actual_access:  read_only
        .address_space:  global
        .offset:         40
        .size:           8
        .value_kind:     global_buffer
      - .offset:         48
        .size:           8
        .value_kind:     by_value
      - .address_space:  global
        .offset:         56
        .size:           8
        .value_kind:     global_buffer
      - .offset:         64
        .size:           4
        .value_kind:     by_value
      - .offset:         68
        .size:           1
        .value_kind:     by_value
    .group_segment_fixed_size: 0
    .kernarg_segment_align: 8
    .kernarg_segment_size: 72
    .language:       OpenCL C
    .language_version:
      - 2
      - 0
    .max_flat_workgroup_size: 128
    .name:           _ZN9rocsparseL19gebsrmvn_2xn_kernelILj128ELj11ELj8EdEEvi20rocsparse_direction_NS_24const_host_device_scalarIT2_EEPKiS6_PKS3_S8_S4_PS3_21rocsparse_index_base_b
    .private_segment_fixed_size: 0
    .sgpr_count:     18
    .sgpr_spill_count: 0
    .symbol:         _ZN9rocsparseL19gebsrmvn_2xn_kernelILj128ELj11ELj8EdEEvi20rocsparse_direction_NS_24const_host_device_scalarIT2_EEPKiS6_PKS3_S8_S4_PS3_21rocsparse_index_base_b.kd
    .uniform_work_group_size: 1
    .uses_dynamic_stack: false
    .vgpr_count:     67
    .vgpr_spill_count: 0
    .wavefront_size: 32
    .workgroup_processor_mode: 1
  - .args:
      - .offset:         0
        .size:           4
        .value_kind:     by_value
      - .offset:         4
        .size:           4
        .value_kind:     by_value
      - .offset:         8
        .size:           8
        .value_kind:     by_value
      - .actual_access:  read_only
        .address_space:  global
        .offset:         16
        .size:           8
        .value_kind:     global_buffer
      - .actual_access:  read_only
        .address_space:  global
        .offset:         24
        .size:           8
        .value_kind:     global_buffer
      - .actual_access:  read_only
        .address_space:  global
        .offset:         32
        .size:           8
        .value_kind:     global_buffer
      - .actual_access:  read_only
        .address_space:  global
        .offset:         40
        .size:           8
        .value_kind:     global_buffer
      - .offset:         48
        .size:           8
        .value_kind:     by_value
      - .address_space:  global
        .offset:         56
        .size:           8
        .value_kind:     global_buffer
      - .offset:         64
        .size:           4
        .value_kind:     by_value
      - .offset:         68
        .size:           1
        .value_kind:     by_value
    .group_segment_fixed_size: 0
    .kernarg_segment_align: 8
    .kernarg_segment_size: 72
    .language:       OpenCL C
    .language_version:
      - 2
      - 0
    .max_flat_workgroup_size: 128
    .name:           _ZN9rocsparseL19gebsrmvn_2xn_kernelILj128ELj11ELj16EdEEvi20rocsparse_direction_NS_24const_host_device_scalarIT2_EEPKiS6_PKS3_S8_S4_PS3_21rocsparse_index_base_b
    .private_segment_fixed_size: 0
    .sgpr_count:     18
    .sgpr_spill_count: 0
    .symbol:         _ZN9rocsparseL19gebsrmvn_2xn_kernelILj128ELj11ELj16EdEEvi20rocsparse_direction_NS_24const_host_device_scalarIT2_EEPKiS6_PKS3_S8_S4_PS3_21rocsparse_index_base_b.kd
    .uniform_work_group_size: 1
    .uses_dynamic_stack: false
    .vgpr_count:     67
    .vgpr_spill_count: 0
    .wavefront_size: 32
    .workgroup_processor_mode: 1
  - .args:
      - .offset:         0
        .size:           4
        .value_kind:     by_value
      - .offset:         4
        .size:           4
        .value_kind:     by_value
      - .offset:         8
        .size:           8
        .value_kind:     by_value
      - .actual_access:  read_only
        .address_space:  global
        .offset:         16
        .size:           8
        .value_kind:     global_buffer
      - .actual_access:  read_only
        .address_space:  global
        .offset:         24
        .size:           8
        .value_kind:     global_buffer
      - .actual_access:  read_only
        .address_space:  global
        .offset:         32
        .size:           8
        .value_kind:     global_buffer
      - .actual_access:  read_only
        .address_space:  global
        .offset:         40
        .size:           8
        .value_kind:     global_buffer
      - .offset:         48
        .size:           8
        .value_kind:     by_value
      - .address_space:  global
        .offset:         56
        .size:           8
        .value_kind:     global_buffer
      - .offset:         64
        .size:           4
        .value_kind:     by_value
      - .offset:         68
        .size:           1
        .value_kind:     by_value
    .group_segment_fixed_size: 0
    .kernarg_segment_align: 8
    .kernarg_segment_size: 72
    .language:       OpenCL C
    .language_version:
      - 2
      - 0
    .max_flat_workgroup_size: 128
    .name:           _ZN9rocsparseL19gebsrmvn_2xn_kernelILj128ELj11ELj32EdEEvi20rocsparse_direction_NS_24const_host_device_scalarIT2_EEPKiS6_PKS3_S8_S4_PS3_21rocsparse_index_base_b
    .private_segment_fixed_size: 0
    .sgpr_count:     18
    .sgpr_spill_count: 0
    .symbol:         _ZN9rocsparseL19gebsrmvn_2xn_kernelILj128ELj11ELj32EdEEvi20rocsparse_direction_NS_24const_host_device_scalarIT2_EEPKiS6_PKS3_S8_S4_PS3_21rocsparse_index_base_b.kd
    .uniform_work_group_size: 1
    .uses_dynamic_stack: false
    .vgpr_count:     67
    .vgpr_spill_count: 0
    .wavefront_size: 32
    .workgroup_processor_mode: 1
  - .args:
      - .offset:         0
        .size:           4
        .value_kind:     by_value
      - .offset:         4
        .size:           4
        .value_kind:     by_value
      - .offset:         8
        .size:           8
        .value_kind:     by_value
      - .actual_access:  read_only
        .address_space:  global
        .offset:         16
        .size:           8
        .value_kind:     global_buffer
      - .actual_access:  read_only
        .address_space:  global
        .offset:         24
        .size:           8
        .value_kind:     global_buffer
      - .actual_access:  read_only
        .address_space:  global
        .offset:         32
        .size:           8
        .value_kind:     global_buffer
      - .actual_access:  read_only
        .address_space:  global
        .offset:         40
        .size:           8
        .value_kind:     global_buffer
      - .offset:         48
        .size:           8
        .value_kind:     by_value
      - .address_space:  global
        .offset:         56
        .size:           8
        .value_kind:     global_buffer
      - .offset:         64
        .size:           4
        .value_kind:     by_value
      - .offset:         68
        .size:           1
        .value_kind:     by_value
    .group_segment_fixed_size: 0
    .kernarg_segment_align: 8
    .kernarg_segment_size: 72
    .language:       OpenCL C
    .language_version:
      - 2
      - 0
    .max_flat_workgroup_size: 128
    .name:           _ZN9rocsparseL19gebsrmvn_2xn_kernelILj128ELj11ELj64EdEEvi20rocsparse_direction_NS_24const_host_device_scalarIT2_EEPKiS6_PKS3_S8_S4_PS3_21rocsparse_index_base_b
    .private_segment_fixed_size: 0
    .sgpr_count:     18
    .sgpr_spill_count: 0
    .symbol:         _ZN9rocsparseL19gebsrmvn_2xn_kernelILj128ELj11ELj64EdEEvi20rocsparse_direction_NS_24const_host_device_scalarIT2_EEPKiS6_PKS3_S8_S4_PS3_21rocsparse_index_base_b.kd
    .uniform_work_group_size: 1
    .uses_dynamic_stack: false
    .vgpr_count:     67
    .vgpr_spill_count: 0
    .wavefront_size: 32
    .workgroup_processor_mode: 1
  - .args:
      - .offset:         0
        .size:           4
        .value_kind:     by_value
      - .offset:         4
        .size:           4
        .value_kind:     by_value
      - .offset:         8
        .size:           8
        .value_kind:     by_value
      - .actual_access:  read_only
        .address_space:  global
        .offset:         16
        .size:           8
        .value_kind:     global_buffer
      - .actual_access:  read_only
        .address_space:  global
        .offset:         24
        .size:           8
        .value_kind:     global_buffer
      - .actual_access:  read_only
        .address_space:  global
        .offset:         32
        .size:           8
        .value_kind:     global_buffer
      - .actual_access:  read_only
        .address_space:  global
        .offset:         40
        .size:           8
        .value_kind:     global_buffer
      - .offset:         48
        .size:           8
        .value_kind:     by_value
      - .address_space:  global
        .offset:         56
        .size:           8
        .value_kind:     global_buffer
      - .offset:         64
        .size:           4
        .value_kind:     by_value
      - .offset:         68
        .size:           1
        .value_kind:     by_value
    .group_segment_fixed_size: 0
    .kernarg_segment_align: 8
    .kernarg_segment_size: 72
    .language:       OpenCL C
    .language_version:
      - 2
      - 0
    .max_flat_workgroup_size: 128
    .name:           _ZN9rocsparseL19gebsrmvn_2xn_kernelILj128ELj12ELj4EdEEvi20rocsparse_direction_NS_24const_host_device_scalarIT2_EEPKiS6_PKS3_S8_S4_PS3_21rocsparse_index_base_b
    .private_segment_fixed_size: 0
    .sgpr_count:     18
    .sgpr_spill_count: 0
    .symbol:         _ZN9rocsparseL19gebsrmvn_2xn_kernelILj128ELj12ELj4EdEEvi20rocsparse_direction_NS_24const_host_device_scalarIT2_EEPKiS6_PKS3_S8_S4_PS3_21rocsparse_index_base_b.kd
    .uniform_work_group_size: 1
    .uses_dynamic_stack: false
    .vgpr_count:     90
    .vgpr_spill_count: 0
    .wavefront_size: 32
    .workgroup_processor_mode: 1
  - .args:
      - .offset:         0
        .size:           4
        .value_kind:     by_value
      - .offset:         4
        .size:           4
        .value_kind:     by_value
      - .offset:         8
        .size:           8
        .value_kind:     by_value
      - .actual_access:  read_only
        .address_space:  global
        .offset:         16
        .size:           8
        .value_kind:     global_buffer
      - .actual_access:  read_only
        .address_space:  global
        .offset:         24
        .size:           8
        .value_kind:     global_buffer
      - .actual_access:  read_only
        .address_space:  global
        .offset:         32
        .size:           8
        .value_kind:     global_buffer
      - .actual_access:  read_only
        .address_space:  global
        .offset:         40
        .size:           8
        .value_kind:     global_buffer
      - .offset:         48
        .size:           8
        .value_kind:     by_value
      - .address_space:  global
        .offset:         56
        .size:           8
        .value_kind:     global_buffer
      - .offset:         64
        .size:           4
        .value_kind:     by_value
      - .offset:         68
        .size:           1
        .value_kind:     by_value
    .group_segment_fixed_size: 0
    .kernarg_segment_align: 8
    .kernarg_segment_size: 72
    .language:       OpenCL C
    .language_version:
      - 2
      - 0
    .max_flat_workgroup_size: 128
    .name:           _ZN9rocsparseL19gebsrmvn_2xn_kernelILj128ELj12ELj8EdEEvi20rocsparse_direction_NS_24const_host_device_scalarIT2_EEPKiS6_PKS3_S8_S4_PS3_21rocsparse_index_base_b
    .private_segment_fixed_size: 0
    .sgpr_count:     18
    .sgpr_spill_count: 0
    .symbol:         _ZN9rocsparseL19gebsrmvn_2xn_kernelILj128ELj12ELj8EdEEvi20rocsparse_direction_NS_24const_host_device_scalarIT2_EEPKiS6_PKS3_S8_S4_PS3_21rocsparse_index_base_b.kd
    .uniform_work_group_size: 1
    .uses_dynamic_stack: false
    .vgpr_count:     90
    .vgpr_spill_count: 0
    .wavefront_size: 32
    .workgroup_processor_mode: 1
  - .args:
      - .offset:         0
        .size:           4
        .value_kind:     by_value
      - .offset:         4
        .size:           4
        .value_kind:     by_value
      - .offset:         8
        .size:           8
        .value_kind:     by_value
      - .actual_access:  read_only
        .address_space:  global
        .offset:         16
        .size:           8
        .value_kind:     global_buffer
      - .actual_access:  read_only
        .address_space:  global
        .offset:         24
        .size:           8
        .value_kind:     global_buffer
      - .actual_access:  read_only
        .address_space:  global
        .offset:         32
        .size:           8
        .value_kind:     global_buffer
      - .actual_access:  read_only
        .address_space:  global
        .offset:         40
        .size:           8
        .value_kind:     global_buffer
      - .offset:         48
        .size:           8
        .value_kind:     by_value
      - .address_space:  global
        .offset:         56
        .size:           8
        .value_kind:     global_buffer
      - .offset:         64
        .size:           4
        .value_kind:     by_value
      - .offset:         68
        .size:           1
        .value_kind:     by_value
    .group_segment_fixed_size: 0
    .kernarg_segment_align: 8
    .kernarg_segment_size: 72
    .language:       OpenCL C
    .language_version:
      - 2
      - 0
    .max_flat_workgroup_size: 128
    .name:           _ZN9rocsparseL19gebsrmvn_2xn_kernelILj128ELj12ELj16EdEEvi20rocsparse_direction_NS_24const_host_device_scalarIT2_EEPKiS6_PKS3_S8_S4_PS3_21rocsparse_index_base_b
    .private_segment_fixed_size: 0
    .sgpr_count:     18
    .sgpr_spill_count: 0
    .symbol:         _ZN9rocsparseL19gebsrmvn_2xn_kernelILj128ELj12ELj16EdEEvi20rocsparse_direction_NS_24const_host_device_scalarIT2_EEPKiS6_PKS3_S8_S4_PS3_21rocsparse_index_base_b.kd
    .uniform_work_group_size: 1
    .uses_dynamic_stack: false
    .vgpr_count:     90
    .vgpr_spill_count: 0
    .wavefront_size: 32
    .workgroup_processor_mode: 1
  - .args:
      - .offset:         0
        .size:           4
        .value_kind:     by_value
      - .offset:         4
        .size:           4
        .value_kind:     by_value
      - .offset:         8
        .size:           8
        .value_kind:     by_value
      - .actual_access:  read_only
        .address_space:  global
        .offset:         16
        .size:           8
        .value_kind:     global_buffer
      - .actual_access:  read_only
        .address_space:  global
        .offset:         24
        .size:           8
        .value_kind:     global_buffer
      - .actual_access:  read_only
        .address_space:  global
        .offset:         32
        .size:           8
        .value_kind:     global_buffer
      - .actual_access:  read_only
        .address_space:  global
        .offset:         40
        .size:           8
        .value_kind:     global_buffer
      - .offset:         48
        .size:           8
        .value_kind:     by_value
      - .address_space:  global
        .offset:         56
        .size:           8
        .value_kind:     global_buffer
      - .offset:         64
        .size:           4
        .value_kind:     by_value
      - .offset:         68
        .size:           1
        .value_kind:     by_value
    .group_segment_fixed_size: 0
    .kernarg_segment_align: 8
    .kernarg_segment_size: 72
    .language:       OpenCL C
    .language_version:
      - 2
      - 0
    .max_flat_workgroup_size: 128
    .name:           _ZN9rocsparseL19gebsrmvn_2xn_kernelILj128ELj12ELj32EdEEvi20rocsparse_direction_NS_24const_host_device_scalarIT2_EEPKiS6_PKS3_S8_S4_PS3_21rocsparse_index_base_b
    .private_segment_fixed_size: 0
    .sgpr_count:     18
    .sgpr_spill_count: 0
    .symbol:         _ZN9rocsparseL19gebsrmvn_2xn_kernelILj128ELj12ELj32EdEEvi20rocsparse_direction_NS_24const_host_device_scalarIT2_EEPKiS6_PKS3_S8_S4_PS3_21rocsparse_index_base_b.kd
    .uniform_work_group_size: 1
    .uses_dynamic_stack: false
    .vgpr_count:     90
    .vgpr_spill_count: 0
    .wavefront_size: 32
    .workgroup_processor_mode: 1
  - .args:
      - .offset:         0
        .size:           4
        .value_kind:     by_value
      - .offset:         4
        .size:           4
        .value_kind:     by_value
      - .offset:         8
        .size:           8
        .value_kind:     by_value
      - .actual_access:  read_only
        .address_space:  global
        .offset:         16
        .size:           8
        .value_kind:     global_buffer
      - .actual_access:  read_only
        .address_space:  global
        .offset:         24
        .size:           8
        .value_kind:     global_buffer
      - .actual_access:  read_only
        .address_space:  global
        .offset:         32
        .size:           8
        .value_kind:     global_buffer
      - .actual_access:  read_only
        .address_space:  global
        .offset:         40
        .size:           8
        .value_kind:     global_buffer
      - .offset:         48
        .size:           8
        .value_kind:     by_value
      - .address_space:  global
        .offset:         56
        .size:           8
        .value_kind:     global_buffer
      - .offset:         64
        .size:           4
        .value_kind:     by_value
      - .offset:         68
        .size:           1
        .value_kind:     by_value
    .group_segment_fixed_size: 0
    .kernarg_segment_align: 8
    .kernarg_segment_size: 72
    .language:       OpenCL C
    .language_version:
      - 2
      - 0
    .max_flat_workgroup_size: 128
    .name:           _ZN9rocsparseL19gebsrmvn_2xn_kernelILj128ELj12ELj64EdEEvi20rocsparse_direction_NS_24const_host_device_scalarIT2_EEPKiS6_PKS3_S8_S4_PS3_21rocsparse_index_base_b
    .private_segment_fixed_size: 0
    .sgpr_count:     18
    .sgpr_spill_count: 0
    .symbol:         _ZN9rocsparseL19gebsrmvn_2xn_kernelILj128ELj12ELj64EdEEvi20rocsparse_direction_NS_24const_host_device_scalarIT2_EEPKiS6_PKS3_S8_S4_PS3_21rocsparse_index_base_b.kd
    .uniform_work_group_size: 1
    .uses_dynamic_stack: false
    .vgpr_count:     90
    .vgpr_spill_count: 0
    .wavefront_size: 32
    .workgroup_processor_mode: 1
  - .args:
      - .offset:         0
        .size:           4
        .value_kind:     by_value
      - .offset:         4
        .size:           4
        .value_kind:     by_value
      - .offset:         8
        .size:           8
        .value_kind:     by_value
      - .actual_access:  read_only
        .address_space:  global
        .offset:         16
        .size:           8
        .value_kind:     global_buffer
      - .actual_access:  read_only
        .address_space:  global
        .offset:         24
        .size:           8
        .value_kind:     global_buffer
      - .actual_access:  read_only
        .address_space:  global
        .offset:         32
        .size:           8
        .value_kind:     global_buffer
      - .actual_access:  read_only
        .address_space:  global
        .offset:         40
        .size:           8
        .value_kind:     global_buffer
      - .offset:         48
        .size:           8
        .value_kind:     by_value
      - .address_space:  global
        .offset:         56
        .size:           8
        .value_kind:     global_buffer
      - .offset:         64
        .size:           4
        .value_kind:     by_value
      - .offset:         68
        .size:           1
        .value_kind:     by_value
    .group_segment_fixed_size: 0
    .kernarg_segment_align: 8
    .kernarg_segment_size: 72
    .language:       OpenCL C
    .language_version:
      - 2
      - 0
    .max_flat_workgroup_size: 128
    .name:           _ZN9rocsparseL19gebsrmvn_2xn_kernelILj128ELj13ELj4EdEEvi20rocsparse_direction_NS_24const_host_device_scalarIT2_EEPKiS6_PKS3_S8_S4_PS3_21rocsparse_index_base_b
    .private_segment_fixed_size: 0
    .sgpr_count:     18
    .sgpr_spill_count: 0
    .symbol:         _ZN9rocsparseL19gebsrmvn_2xn_kernelILj128ELj13ELj4EdEEvi20rocsparse_direction_NS_24const_host_device_scalarIT2_EEPKiS6_PKS3_S8_S4_PS3_21rocsparse_index_base_b.kd
    .uniform_work_group_size: 1
    .uses_dynamic_stack: false
    .vgpr_count:     67
    .vgpr_spill_count: 0
    .wavefront_size: 32
    .workgroup_processor_mode: 1
  - .args:
      - .offset:         0
        .size:           4
        .value_kind:     by_value
      - .offset:         4
        .size:           4
        .value_kind:     by_value
      - .offset:         8
        .size:           8
        .value_kind:     by_value
      - .actual_access:  read_only
        .address_space:  global
        .offset:         16
        .size:           8
        .value_kind:     global_buffer
      - .actual_access:  read_only
        .address_space:  global
        .offset:         24
        .size:           8
        .value_kind:     global_buffer
      - .actual_access:  read_only
        .address_space:  global
        .offset:         32
        .size:           8
        .value_kind:     global_buffer
      - .actual_access:  read_only
        .address_space:  global
        .offset:         40
        .size:           8
        .value_kind:     global_buffer
      - .offset:         48
        .size:           8
        .value_kind:     by_value
      - .address_space:  global
        .offset:         56
        .size:           8
        .value_kind:     global_buffer
      - .offset:         64
        .size:           4
        .value_kind:     by_value
      - .offset:         68
        .size:           1
        .value_kind:     by_value
    .group_segment_fixed_size: 0
    .kernarg_segment_align: 8
    .kernarg_segment_size: 72
    .language:       OpenCL C
    .language_version:
      - 2
      - 0
    .max_flat_workgroup_size: 128
    .name:           _ZN9rocsparseL19gebsrmvn_2xn_kernelILj128ELj13ELj8EdEEvi20rocsparse_direction_NS_24const_host_device_scalarIT2_EEPKiS6_PKS3_S8_S4_PS3_21rocsparse_index_base_b
    .private_segment_fixed_size: 0
    .sgpr_count:     18
    .sgpr_spill_count: 0
    .symbol:         _ZN9rocsparseL19gebsrmvn_2xn_kernelILj128ELj13ELj8EdEEvi20rocsparse_direction_NS_24const_host_device_scalarIT2_EEPKiS6_PKS3_S8_S4_PS3_21rocsparse_index_base_b.kd
    .uniform_work_group_size: 1
    .uses_dynamic_stack: false
    .vgpr_count:     67
    .vgpr_spill_count: 0
    .wavefront_size: 32
    .workgroup_processor_mode: 1
  - .args:
      - .offset:         0
        .size:           4
        .value_kind:     by_value
      - .offset:         4
        .size:           4
        .value_kind:     by_value
      - .offset:         8
        .size:           8
        .value_kind:     by_value
      - .actual_access:  read_only
        .address_space:  global
        .offset:         16
        .size:           8
        .value_kind:     global_buffer
      - .actual_access:  read_only
        .address_space:  global
        .offset:         24
        .size:           8
        .value_kind:     global_buffer
      - .actual_access:  read_only
        .address_space:  global
        .offset:         32
        .size:           8
        .value_kind:     global_buffer
      - .actual_access:  read_only
        .address_space:  global
        .offset:         40
        .size:           8
        .value_kind:     global_buffer
      - .offset:         48
        .size:           8
        .value_kind:     by_value
      - .address_space:  global
        .offset:         56
        .size:           8
        .value_kind:     global_buffer
      - .offset:         64
        .size:           4
        .value_kind:     by_value
      - .offset:         68
        .size:           1
        .value_kind:     by_value
    .group_segment_fixed_size: 0
    .kernarg_segment_align: 8
    .kernarg_segment_size: 72
    .language:       OpenCL C
    .language_version:
      - 2
      - 0
    .max_flat_workgroup_size: 128
    .name:           _ZN9rocsparseL19gebsrmvn_2xn_kernelILj128ELj13ELj16EdEEvi20rocsparse_direction_NS_24const_host_device_scalarIT2_EEPKiS6_PKS3_S8_S4_PS3_21rocsparse_index_base_b
    .private_segment_fixed_size: 0
    .sgpr_count:     18
    .sgpr_spill_count: 0
    .symbol:         _ZN9rocsparseL19gebsrmvn_2xn_kernelILj128ELj13ELj16EdEEvi20rocsparse_direction_NS_24const_host_device_scalarIT2_EEPKiS6_PKS3_S8_S4_PS3_21rocsparse_index_base_b.kd
    .uniform_work_group_size: 1
    .uses_dynamic_stack: false
    .vgpr_count:     67
    .vgpr_spill_count: 0
    .wavefront_size: 32
    .workgroup_processor_mode: 1
  - .args:
      - .offset:         0
        .size:           4
        .value_kind:     by_value
      - .offset:         4
        .size:           4
        .value_kind:     by_value
      - .offset:         8
        .size:           8
        .value_kind:     by_value
      - .actual_access:  read_only
        .address_space:  global
        .offset:         16
        .size:           8
        .value_kind:     global_buffer
      - .actual_access:  read_only
        .address_space:  global
        .offset:         24
        .size:           8
        .value_kind:     global_buffer
      - .actual_access:  read_only
        .address_space:  global
        .offset:         32
        .size:           8
        .value_kind:     global_buffer
      - .actual_access:  read_only
        .address_space:  global
        .offset:         40
        .size:           8
        .value_kind:     global_buffer
      - .offset:         48
        .size:           8
        .value_kind:     by_value
      - .address_space:  global
        .offset:         56
        .size:           8
        .value_kind:     global_buffer
      - .offset:         64
        .size:           4
        .value_kind:     by_value
      - .offset:         68
        .size:           1
        .value_kind:     by_value
    .group_segment_fixed_size: 0
    .kernarg_segment_align: 8
    .kernarg_segment_size: 72
    .language:       OpenCL C
    .language_version:
      - 2
      - 0
    .max_flat_workgroup_size: 128
    .name:           _ZN9rocsparseL19gebsrmvn_2xn_kernelILj128ELj13ELj32EdEEvi20rocsparse_direction_NS_24const_host_device_scalarIT2_EEPKiS6_PKS3_S8_S4_PS3_21rocsparse_index_base_b
    .private_segment_fixed_size: 0
    .sgpr_count:     18
    .sgpr_spill_count: 0
    .symbol:         _ZN9rocsparseL19gebsrmvn_2xn_kernelILj128ELj13ELj32EdEEvi20rocsparse_direction_NS_24const_host_device_scalarIT2_EEPKiS6_PKS3_S8_S4_PS3_21rocsparse_index_base_b.kd
    .uniform_work_group_size: 1
    .uses_dynamic_stack: false
    .vgpr_count:     67
    .vgpr_spill_count: 0
    .wavefront_size: 32
    .workgroup_processor_mode: 1
  - .args:
      - .offset:         0
        .size:           4
        .value_kind:     by_value
      - .offset:         4
        .size:           4
        .value_kind:     by_value
      - .offset:         8
        .size:           8
        .value_kind:     by_value
      - .actual_access:  read_only
        .address_space:  global
        .offset:         16
        .size:           8
        .value_kind:     global_buffer
      - .actual_access:  read_only
        .address_space:  global
        .offset:         24
        .size:           8
        .value_kind:     global_buffer
      - .actual_access:  read_only
        .address_space:  global
        .offset:         32
        .size:           8
        .value_kind:     global_buffer
      - .actual_access:  read_only
        .address_space:  global
        .offset:         40
        .size:           8
        .value_kind:     global_buffer
      - .offset:         48
        .size:           8
        .value_kind:     by_value
      - .address_space:  global
        .offset:         56
        .size:           8
        .value_kind:     global_buffer
      - .offset:         64
        .size:           4
        .value_kind:     by_value
      - .offset:         68
        .size:           1
        .value_kind:     by_value
    .group_segment_fixed_size: 0
    .kernarg_segment_align: 8
    .kernarg_segment_size: 72
    .language:       OpenCL C
    .language_version:
      - 2
      - 0
    .max_flat_workgroup_size: 128
    .name:           _ZN9rocsparseL19gebsrmvn_2xn_kernelILj128ELj13ELj64EdEEvi20rocsparse_direction_NS_24const_host_device_scalarIT2_EEPKiS6_PKS3_S8_S4_PS3_21rocsparse_index_base_b
    .private_segment_fixed_size: 0
    .sgpr_count:     18
    .sgpr_spill_count: 0
    .symbol:         _ZN9rocsparseL19gebsrmvn_2xn_kernelILj128ELj13ELj64EdEEvi20rocsparse_direction_NS_24const_host_device_scalarIT2_EEPKiS6_PKS3_S8_S4_PS3_21rocsparse_index_base_b.kd
    .uniform_work_group_size: 1
    .uses_dynamic_stack: false
    .vgpr_count:     67
    .vgpr_spill_count: 0
    .wavefront_size: 32
    .workgroup_processor_mode: 1
  - .args:
      - .offset:         0
        .size:           4
        .value_kind:     by_value
      - .offset:         4
        .size:           4
        .value_kind:     by_value
      - .offset:         8
        .size:           8
        .value_kind:     by_value
      - .actual_access:  read_only
        .address_space:  global
        .offset:         16
        .size:           8
        .value_kind:     global_buffer
      - .actual_access:  read_only
        .address_space:  global
        .offset:         24
        .size:           8
        .value_kind:     global_buffer
      - .actual_access:  read_only
        .address_space:  global
        .offset:         32
        .size:           8
        .value_kind:     global_buffer
      - .actual_access:  read_only
        .address_space:  global
        .offset:         40
        .size:           8
        .value_kind:     global_buffer
      - .offset:         48
        .size:           8
        .value_kind:     by_value
      - .address_space:  global
        .offset:         56
        .size:           8
        .value_kind:     global_buffer
      - .offset:         64
        .size:           4
        .value_kind:     by_value
      - .offset:         68
        .size:           1
        .value_kind:     by_value
    .group_segment_fixed_size: 0
    .kernarg_segment_align: 8
    .kernarg_segment_size: 72
    .language:       OpenCL C
    .language_version:
      - 2
      - 0
    .max_flat_workgroup_size: 128
    .name:           _ZN9rocsparseL19gebsrmvn_2xn_kernelILj128ELj14ELj4EdEEvi20rocsparse_direction_NS_24const_host_device_scalarIT2_EEPKiS6_PKS3_S8_S4_PS3_21rocsparse_index_base_b
    .private_segment_fixed_size: 0
    .sgpr_count:     18
    .sgpr_spill_count: 0
    .symbol:         _ZN9rocsparseL19gebsrmvn_2xn_kernelILj128ELj14ELj4EdEEvi20rocsparse_direction_NS_24const_host_device_scalarIT2_EEPKiS6_PKS3_S8_S4_PS3_21rocsparse_index_base_b.kd
    .uniform_work_group_size: 1
    .uses_dynamic_stack: false
    .vgpr_count:     98
    .vgpr_spill_count: 0
    .wavefront_size: 32
    .workgroup_processor_mode: 1
  - .args:
      - .offset:         0
        .size:           4
        .value_kind:     by_value
      - .offset:         4
        .size:           4
        .value_kind:     by_value
      - .offset:         8
        .size:           8
        .value_kind:     by_value
      - .actual_access:  read_only
        .address_space:  global
        .offset:         16
        .size:           8
        .value_kind:     global_buffer
      - .actual_access:  read_only
        .address_space:  global
        .offset:         24
        .size:           8
        .value_kind:     global_buffer
      - .actual_access:  read_only
        .address_space:  global
        .offset:         32
        .size:           8
        .value_kind:     global_buffer
      - .actual_access:  read_only
        .address_space:  global
        .offset:         40
        .size:           8
        .value_kind:     global_buffer
      - .offset:         48
        .size:           8
        .value_kind:     by_value
      - .address_space:  global
        .offset:         56
        .size:           8
        .value_kind:     global_buffer
      - .offset:         64
        .size:           4
        .value_kind:     by_value
      - .offset:         68
        .size:           1
        .value_kind:     by_value
    .group_segment_fixed_size: 0
    .kernarg_segment_align: 8
    .kernarg_segment_size: 72
    .language:       OpenCL C
    .language_version:
      - 2
      - 0
    .max_flat_workgroup_size: 128
    .name:           _ZN9rocsparseL19gebsrmvn_2xn_kernelILj128ELj14ELj8EdEEvi20rocsparse_direction_NS_24const_host_device_scalarIT2_EEPKiS6_PKS3_S8_S4_PS3_21rocsparse_index_base_b
    .private_segment_fixed_size: 0
    .sgpr_count:     18
    .sgpr_spill_count: 0
    .symbol:         _ZN9rocsparseL19gebsrmvn_2xn_kernelILj128ELj14ELj8EdEEvi20rocsparse_direction_NS_24const_host_device_scalarIT2_EEPKiS6_PKS3_S8_S4_PS3_21rocsparse_index_base_b.kd
    .uniform_work_group_size: 1
    .uses_dynamic_stack: false
    .vgpr_count:     98
    .vgpr_spill_count: 0
    .wavefront_size: 32
    .workgroup_processor_mode: 1
  - .args:
      - .offset:         0
        .size:           4
        .value_kind:     by_value
      - .offset:         4
        .size:           4
        .value_kind:     by_value
      - .offset:         8
        .size:           8
        .value_kind:     by_value
      - .actual_access:  read_only
        .address_space:  global
        .offset:         16
        .size:           8
        .value_kind:     global_buffer
      - .actual_access:  read_only
        .address_space:  global
        .offset:         24
        .size:           8
        .value_kind:     global_buffer
      - .actual_access:  read_only
        .address_space:  global
        .offset:         32
        .size:           8
        .value_kind:     global_buffer
      - .actual_access:  read_only
        .address_space:  global
        .offset:         40
        .size:           8
        .value_kind:     global_buffer
      - .offset:         48
        .size:           8
        .value_kind:     by_value
      - .address_space:  global
        .offset:         56
        .size:           8
        .value_kind:     global_buffer
      - .offset:         64
        .size:           4
        .value_kind:     by_value
      - .offset:         68
        .size:           1
        .value_kind:     by_value
    .group_segment_fixed_size: 0
    .kernarg_segment_align: 8
    .kernarg_segment_size: 72
    .language:       OpenCL C
    .language_version:
      - 2
      - 0
    .max_flat_workgroup_size: 128
    .name:           _ZN9rocsparseL19gebsrmvn_2xn_kernelILj128ELj14ELj16EdEEvi20rocsparse_direction_NS_24const_host_device_scalarIT2_EEPKiS6_PKS3_S8_S4_PS3_21rocsparse_index_base_b
    .private_segment_fixed_size: 0
    .sgpr_count:     18
    .sgpr_spill_count: 0
    .symbol:         _ZN9rocsparseL19gebsrmvn_2xn_kernelILj128ELj14ELj16EdEEvi20rocsparse_direction_NS_24const_host_device_scalarIT2_EEPKiS6_PKS3_S8_S4_PS3_21rocsparse_index_base_b.kd
    .uniform_work_group_size: 1
    .uses_dynamic_stack: false
    .vgpr_count:     98
    .vgpr_spill_count: 0
    .wavefront_size: 32
    .workgroup_processor_mode: 1
  - .args:
      - .offset:         0
        .size:           4
        .value_kind:     by_value
      - .offset:         4
        .size:           4
        .value_kind:     by_value
      - .offset:         8
        .size:           8
        .value_kind:     by_value
      - .actual_access:  read_only
        .address_space:  global
        .offset:         16
        .size:           8
        .value_kind:     global_buffer
      - .actual_access:  read_only
        .address_space:  global
        .offset:         24
        .size:           8
        .value_kind:     global_buffer
      - .actual_access:  read_only
        .address_space:  global
        .offset:         32
        .size:           8
        .value_kind:     global_buffer
      - .actual_access:  read_only
        .address_space:  global
        .offset:         40
        .size:           8
        .value_kind:     global_buffer
      - .offset:         48
        .size:           8
        .value_kind:     by_value
      - .address_space:  global
        .offset:         56
        .size:           8
        .value_kind:     global_buffer
      - .offset:         64
        .size:           4
        .value_kind:     by_value
      - .offset:         68
        .size:           1
        .value_kind:     by_value
    .group_segment_fixed_size: 0
    .kernarg_segment_align: 8
    .kernarg_segment_size: 72
    .language:       OpenCL C
    .language_version:
      - 2
      - 0
    .max_flat_workgroup_size: 128
    .name:           _ZN9rocsparseL19gebsrmvn_2xn_kernelILj128ELj14ELj32EdEEvi20rocsparse_direction_NS_24const_host_device_scalarIT2_EEPKiS6_PKS3_S8_S4_PS3_21rocsparse_index_base_b
    .private_segment_fixed_size: 0
    .sgpr_count:     18
    .sgpr_spill_count: 0
    .symbol:         _ZN9rocsparseL19gebsrmvn_2xn_kernelILj128ELj14ELj32EdEEvi20rocsparse_direction_NS_24const_host_device_scalarIT2_EEPKiS6_PKS3_S8_S4_PS3_21rocsparse_index_base_b.kd
    .uniform_work_group_size: 1
    .uses_dynamic_stack: false
    .vgpr_count:     98
    .vgpr_spill_count: 0
    .wavefront_size: 32
    .workgroup_processor_mode: 1
  - .args:
      - .offset:         0
        .size:           4
        .value_kind:     by_value
      - .offset:         4
        .size:           4
        .value_kind:     by_value
      - .offset:         8
        .size:           8
        .value_kind:     by_value
      - .actual_access:  read_only
        .address_space:  global
        .offset:         16
        .size:           8
        .value_kind:     global_buffer
      - .actual_access:  read_only
        .address_space:  global
        .offset:         24
        .size:           8
        .value_kind:     global_buffer
      - .actual_access:  read_only
        .address_space:  global
        .offset:         32
        .size:           8
        .value_kind:     global_buffer
      - .actual_access:  read_only
        .address_space:  global
        .offset:         40
        .size:           8
        .value_kind:     global_buffer
      - .offset:         48
        .size:           8
        .value_kind:     by_value
      - .address_space:  global
        .offset:         56
        .size:           8
        .value_kind:     global_buffer
      - .offset:         64
        .size:           4
        .value_kind:     by_value
      - .offset:         68
        .size:           1
        .value_kind:     by_value
    .group_segment_fixed_size: 0
    .kernarg_segment_align: 8
    .kernarg_segment_size: 72
    .language:       OpenCL C
    .language_version:
      - 2
      - 0
    .max_flat_workgroup_size: 128
    .name:           _ZN9rocsparseL19gebsrmvn_2xn_kernelILj128ELj14ELj64EdEEvi20rocsparse_direction_NS_24const_host_device_scalarIT2_EEPKiS6_PKS3_S8_S4_PS3_21rocsparse_index_base_b
    .private_segment_fixed_size: 0
    .sgpr_count:     18
    .sgpr_spill_count: 0
    .symbol:         _ZN9rocsparseL19gebsrmvn_2xn_kernelILj128ELj14ELj64EdEEvi20rocsparse_direction_NS_24const_host_device_scalarIT2_EEPKiS6_PKS3_S8_S4_PS3_21rocsparse_index_base_b.kd
    .uniform_work_group_size: 1
    .uses_dynamic_stack: false
    .vgpr_count:     98
    .vgpr_spill_count: 0
    .wavefront_size: 32
    .workgroup_processor_mode: 1
  - .args:
      - .offset:         0
        .size:           4
        .value_kind:     by_value
      - .offset:         4
        .size:           4
        .value_kind:     by_value
      - .offset:         8
        .size:           8
        .value_kind:     by_value
      - .actual_access:  read_only
        .address_space:  global
        .offset:         16
        .size:           8
        .value_kind:     global_buffer
      - .actual_access:  read_only
        .address_space:  global
        .offset:         24
        .size:           8
        .value_kind:     global_buffer
      - .actual_access:  read_only
        .address_space:  global
        .offset:         32
        .size:           8
        .value_kind:     global_buffer
      - .actual_access:  read_only
        .address_space:  global
        .offset:         40
        .size:           8
        .value_kind:     global_buffer
      - .offset:         48
        .size:           8
        .value_kind:     by_value
      - .address_space:  global
        .offset:         56
        .size:           8
        .value_kind:     global_buffer
      - .offset:         64
        .size:           4
        .value_kind:     by_value
      - .offset:         68
        .size:           1
        .value_kind:     by_value
    .group_segment_fixed_size: 0
    .kernarg_segment_align: 8
    .kernarg_segment_size: 72
    .language:       OpenCL C
    .language_version:
      - 2
      - 0
    .max_flat_workgroup_size: 128
    .name:           _ZN9rocsparseL19gebsrmvn_2xn_kernelILj128ELj15ELj4EdEEvi20rocsparse_direction_NS_24const_host_device_scalarIT2_EEPKiS6_PKS3_S8_S4_PS3_21rocsparse_index_base_b
    .private_segment_fixed_size: 0
    .sgpr_count:     18
    .sgpr_spill_count: 0
    .symbol:         _ZN9rocsparseL19gebsrmvn_2xn_kernelILj128ELj15ELj4EdEEvi20rocsparse_direction_NS_24const_host_device_scalarIT2_EEPKiS6_PKS3_S8_S4_PS3_21rocsparse_index_base_b.kd
    .uniform_work_group_size: 1
    .uses_dynamic_stack: false
    .vgpr_count:     67
    .vgpr_spill_count: 0
    .wavefront_size: 32
    .workgroup_processor_mode: 1
  - .args:
      - .offset:         0
        .size:           4
        .value_kind:     by_value
      - .offset:         4
        .size:           4
        .value_kind:     by_value
      - .offset:         8
        .size:           8
        .value_kind:     by_value
      - .actual_access:  read_only
        .address_space:  global
        .offset:         16
        .size:           8
        .value_kind:     global_buffer
      - .actual_access:  read_only
        .address_space:  global
        .offset:         24
        .size:           8
        .value_kind:     global_buffer
      - .actual_access:  read_only
        .address_space:  global
        .offset:         32
        .size:           8
        .value_kind:     global_buffer
      - .actual_access:  read_only
        .address_space:  global
        .offset:         40
        .size:           8
        .value_kind:     global_buffer
      - .offset:         48
        .size:           8
        .value_kind:     by_value
      - .address_space:  global
        .offset:         56
        .size:           8
        .value_kind:     global_buffer
      - .offset:         64
        .size:           4
        .value_kind:     by_value
      - .offset:         68
        .size:           1
        .value_kind:     by_value
    .group_segment_fixed_size: 0
    .kernarg_segment_align: 8
    .kernarg_segment_size: 72
    .language:       OpenCL C
    .language_version:
      - 2
      - 0
    .max_flat_workgroup_size: 128
    .name:           _ZN9rocsparseL19gebsrmvn_2xn_kernelILj128ELj15ELj8EdEEvi20rocsparse_direction_NS_24const_host_device_scalarIT2_EEPKiS6_PKS3_S8_S4_PS3_21rocsparse_index_base_b
    .private_segment_fixed_size: 0
    .sgpr_count:     18
    .sgpr_spill_count: 0
    .symbol:         _ZN9rocsparseL19gebsrmvn_2xn_kernelILj128ELj15ELj8EdEEvi20rocsparse_direction_NS_24const_host_device_scalarIT2_EEPKiS6_PKS3_S8_S4_PS3_21rocsparse_index_base_b.kd
    .uniform_work_group_size: 1
    .uses_dynamic_stack: false
    .vgpr_count:     67
    .vgpr_spill_count: 0
    .wavefront_size: 32
    .workgroup_processor_mode: 1
  - .args:
      - .offset:         0
        .size:           4
        .value_kind:     by_value
      - .offset:         4
        .size:           4
        .value_kind:     by_value
      - .offset:         8
        .size:           8
        .value_kind:     by_value
      - .actual_access:  read_only
        .address_space:  global
        .offset:         16
        .size:           8
        .value_kind:     global_buffer
      - .actual_access:  read_only
        .address_space:  global
        .offset:         24
        .size:           8
        .value_kind:     global_buffer
      - .actual_access:  read_only
        .address_space:  global
        .offset:         32
        .size:           8
        .value_kind:     global_buffer
      - .actual_access:  read_only
        .address_space:  global
        .offset:         40
        .size:           8
        .value_kind:     global_buffer
      - .offset:         48
        .size:           8
        .value_kind:     by_value
      - .address_space:  global
        .offset:         56
        .size:           8
        .value_kind:     global_buffer
      - .offset:         64
        .size:           4
        .value_kind:     by_value
      - .offset:         68
        .size:           1
        .value_kind:     by_value
    .group_segment_fixed_size: 0
    .kernarg_segment_align: 8
    .kernarg_segment_size: 72
    .language:       OpenCL C
    .language_version:
      - 2
      - 0
    .max_flat_workgroup_size: 128
    .name:           _ZN9rocsparseL19gebsrmvn_2xn_kernelILj128ELj15ELj16EdEEvi20rocsparse_direction_NS_24const_host_device_scalarIT2_EEPKiS6_PKS3_S8_S4_PS3_21rocsparse_index_base_b
    .private_segment_fixed_size: 0
    .sgpr_count:     18
    .sgpr_spill_count: 0
    .symbol:         _ZN9rocsparseL19gebsrmvn_2xn_kernelILj128ELj15ELj16EdEEvi20rocsparse_direction_NS_24const_host_device_scalarIT2_EEPKiS6_PKS3_S8_S4_PS3_21rocsparse_index_base_b.kd
    .uniform_work_group_size: 1
    .uses_dynamic_stack: false
    .vgpr_count:     67
    .vgpr_spill_count: 0
    .wavefront_size: 32
    .workgroup_processor_mode: 1
  - .args:
      - .offset:         0
        .size:           4
        .value_kind:     by_value
      - .offset:         4
        .size:           4
        .value_kind:     by_value
      - .offset:         8
        .size:           8
        .value_kind:     by_value
      - .actual_access:  read_only
        .address_space:  global
        .offset:         16
        .size:           8
        .value_kind:     global_buffer
      - .actual_access:  read_only
        .address_space:  global
        .offset:         24
        .size:           8
        .value_kind:     global_buffer
      - .actual_access:  read_only
        .address_space:  global
        .offset:         32
        .size:           8
        .value_kind:     global_buffer
      - .actual_access:  read_only
        .address_space:  global
        .offset:         40
        .size:           8
        .value_kind:     global_buffer
      - .offset:         48
        .size:           8
        .value_kind:     by_value
      - .address_space:  global
        .offset:         56
        .size:           8
        .value_kind:     global_buffer
      - .offset:         64
        .size:           4
        .value_kind:     by_value
      - .offset:         68
        .size:           1
        .value_kind:     by_value
    .group_segment_fixed_size: 0
    .kernarg_segment_align: 8
    .kernarg_segment_size: 72
    .language:       OpenCL C
    .language_version:
      - 2
      - 0
    .max_flat_workgroup_size: 128
    .name:           _ZN9rocsparseL19gebsrmvn_2xn_kernelILj128ELj15ELj32EdEEvi20rocsparse_direction_NS_24const_host_device_scalarIT2_EEPKiS6_PKS3_S8_S4_PS3_21rocsparse_index_base_b
    .private_segment_fixed_size: 0
    .sgpr_count:     18
    .sgpr_spill_count: 0
    .symbol:         _ZN9rocsparseL19gebsrmvn_2xn_kernelILj128ELj15ELj32EdEEvi20rocsparse_direction_NS_24const_host_device_scalarIT2_EEPKiS6_PKS3_S8_S4_PS3_21rocsparse_index_base_b.kd
    .uniform_work_group_size: 1
    .uses_dynamic_stack: false
    .vgpr_count:     67
    .vgpr_spill_count: 0
    .wavefront_size: 32
    .workgroup_processor_mode: 1
  - .args:
      - .offset:         0
        .size:           4
        .value_kind:     by_value
      - .offset:         4
        .size:           4
        .value_kind:     by_value
      - .offset:         8
        .size:           8
        .value_kind:     by_value
      - .actual_access:  read_only
        .address_space:  global
        .offset:         16
        .size:           8
        .value_kind:     global_buffer
      - .actual_access:  read_only
        .address_space:  global
        .offset:         24
        .size:           8
        .value_kind:     global_buffer
      - .actual_access:  read_only
        .address_space:  global
        .offset:         32
        .size:           8
        .value_kind:     global_buffer
      - .actual_access:  read_only
        .address_space:  global
        .offset:         40
        .size:           8
        .value_kind:     global_buffer
      - .offset:         48
        .size:           8
        .value_kind:     by_value
      - .address_space:  global
        .offset:         56
        .size:           8
        .value_kind:     global_buffer
      - .offset:         64
        .size:           4
        .value_kind:     by_value
      - .offset:         68
        .size:           1
        .value_kind:     by_value
    .group_segment_fixed_size: 0
    .kernarg_segment_align: 8
    .kernarg_segment_size: 72
    .language:       OpenCL C
    .language_version:
      - 2
      - 0
    .max_flat_workgroup_size: 128
    .name:           _ZN9rocsparseL19gebsrmvn_2xn_kernelILj128ELj15ELj64EdEEvi20rocsparse_direction_NS_24const_host_device_scalarIT2_EEPKiS6_PKS3_S8_S4_PS3_21rocsparse_index_base_b
    .private_segment_fixed_size: 0
    .sgpr_count:     18
    .sgpr_spill_count: 0
    .symbol:         _ZN9rocsparseL19gebsrmvn_2xn_kernelILj128ELj15ELj64EdEEvi20rocsparse_direction_NS_24const_host_device_scalarIT2_EEPKiS6_PKS3_S8_S4_PS3_21rocsparse_index_base_b.kd
    .uniform_work_group_size: 1
    .uses_dynamic_stack: false
    .vgpr_count:     67
    .vgpr_spill_count: 0
    .wavefront_size: 32
    .workgroup_processor_mode: 1
  - .args:
      - .offset:         0
        .size:           4
        .value_kind:     by_value
      - .offset:         4
        .size:           4
        .value_kind:     by_value
      - .offset:         8
        .size:           8
        .value_kind:     by_value
      - .actual_access:  read_only
        .address_space:  global
        .offset:         16
        .size:           8
        .value_kind:     global_buffer
      - .actual_access:  read_only
        .address_space:  global
        .offset:         24
        .size:           8
        .value_kind:     global_buffer
      - .actual_access:  read_only
        .address_space:  global
        .offset:         32
        .size:           8
        .value_kind:     global_buffer
      - .actual_access:  read_only
        .address_space:  global
        .offset:         40
        .size:           8
        .value_kind:     global_buffer
      - .offset:         48
        .size:           8
        .value_kind:     by_value
      - .address_space:  global
        .offset:         56
        .size:           8
        .value_kind:     global_buffer
      - .offset:         64
        .size:           4
        .value_kind:     by_value
      - .offset:         68
        .size:           1
        .value_kind:     by_value
    .group_segment_fixed_size: 0
    .kernarg_segment_align: 8
    .kernarg_segment_size: 72
    .language:       OpenCL C
    .language_version:
      - 2
      - 0
    .max_flat_workgroup_size: 128
    .name:           _ZN9rocsparseL19gebsrmvn_2xn_kernelILj128ELj16ELj4EdEEvi20rocsparse_direction_NS_24const_host_device_scalarIT2_EEPKiS6_PKS3_S8_S4_PS3_21rocsparse_index_base_b
    .private_segment_fixed_size: 0
    .sgpr_count:     18
    .sgpr_spill_count: 0
    .symbol:         _ZN9rocsparseL19gebsrmvn_2xn_kernelILj128ELj16ELj4EdEEvi20rocsparse_direction_NS_24const_host_device_scalarIT2_EEPKiS6_PKS3_S8_S4_PS3_21rocsparse_index_base_b.kd
    .uniform_work_group_size: 1
    .uses_dynamic_stack: false
    .vgpr_count:     101
    .vgpr_spill_count: 0
    .wavefront_size: 32
    .workgroup_processor_mode: 1
  - .args:
      - .offset:         0
        .size:           4
        .value_kind:     by_value
      - .offset:         4
        .size:           4
        .value_kind:     by_value
      - .offset:         8
        .size:           8
        .value_kind:     by_value
      - .actual_access:  read_only
        .address_space:  global
        .offset:         16
        .size:           8
        .value_kind:     global_buffer
      - .actual_access:  read_only
        .address_space:  global
        .offset:         24
        .size:           8
        .value_kind:     global_buffer
      - .actual_access:  read_only
        .address_space:  global
        .offset:         32
        .size:           8
        .value_kind:     global_buffer
      - .actual_access:  read_only
        .address_space:  global
        .offset:         40
        .size:           8
        .value_kind:     global_buffer
      - .offset:         48
        .size:           8
        .value_kind:     by_value
      - .address_space:  global
        .offset:         56
        .size:           8
        .value_kind:     global_buffer
      - .offset:         64
        .size:           4
        .value_kind:     by_value
      - .offset:         68
        .size:           1
        .value_kind:     by_value
    .group_segment_fixed_size: 0
    .kernarg_segment_align: 8
    .kernarg_segment_size: 72
    .language:       OpenCL C
    .language_version:
      - 2
      - 0
    .max_flat_workgroup_size: 128
    .name:           _ZN9rocsparseL19gebsrmvn_2xn_kernelILj128ELj16ELj8EdEEvi20rocsparse_direction_NS_24const_host_device_scalarIT2_EEPKiS6_PKS3_S8_S4_PS3_21rocsparse_index_base_b
    .private_segment_fixed_size: 0
    .sgpr_count:     18
    .sgpr_spill_count: 0
    .symbol:         _ZN9rocsparseL19gebsrmvn_2xn_kernelILj128ELj16ELj8EdEEvi20rocsparse_direction_NS_24const_host_device_scalarIT2_EEPKiS6_PKS3_S8_S4_PS3_21rocsparse_index_base_b.kd
    .uniform_work_group_size: 1
    .uses_dynamic_stack: false
    .vgpr_count:     101
    .vgpr_spill_count: 0
    .wavefront_size: 32
    .workgroup_processor_mode: 1
  - .args:
      - .offset:         0
        .size:           4
        .value_kind:     by_value
      - .offset:         4
        .size:           4
        .value_kind:     by_value
      - .offset:         8
        .size:           8
        .value_kind:     by_value
      - .actual_access:  read_only
        .address_space:  global
        .offset:         16
        .size:           8
        .value_kind:     global_buffer
      - .actual_access:  read_only
        .address_space:  global
        .offset:         24
        .size:           8
        .value_kind:     global_buffer
      - .actual_access:  read_only
        .address_space:  global
        .offset:         32
        .size:           8
        .value_kind:     global_buffer
      - .actual_access:  read_only
        .address_space:  global
        .offset:         40
        .size:           8
        .value_kind:     global_buffer
      - .offset:         48
        .size:           8
        .value_kind:     by_value
      - .address_space:  global
        .offset:         56
        .size:           8
        .value_kind:     global_buffer
      - .offset:         64
        .size:           4
        .value_kind:     by_value
      - .offset:         68
        .size:           1
        .value_kind:     by_value
    .group_segment_fixed_size: 0
    .kernarg_segment_align: 8
    .kernarg_segment_size: 72
    .language:       OpenCL C
    .language_version:
      - 2
      - 0
    .max_flat_workgroup_size: 128
    .name:           _ZN9rocsparseL19gebsrmvn_2xn_kernelILj128ELj16ELj16EdEEvi20rocsparse_direction_NS_24const_host_device_scalarIT2_EEPKiS6_PKS3_S8_S4_PS3_21rocsparse_index_base_b
    .private_segment_fixed_size: 0
    .sgpr_count:     18
    .sgpr_spill_count: 0
    .symbol:         _ZN9rocsparseL19gebsrmvn_2xn_kernelILj128ELj16ELj16EdEEvi20rocsparse_direction_NS_24const_host_device_scalarIT2_EEPKiS6_PKS3_S8_S4_PS3_21rocsparse_index_base_b.kd
    .uniform_work_group_size: 1
    .uses_dynamic_stack: false
    .vgpr_count:     101
    .vgpr_spill_count: 0
    .wavefront_size: 32
    .workgroup_processor_mode: 1
  - .args:
      - .offset:         0
        .size:           4
        .value_kind:     by_value
      - .offset:         4
        .size:           4
        .value_kind:     by_value
      - .offset:         8
        .size:           8
        .value_kind:     by_value
      - .actual_access:  read_only
        .address_space:  global
        .offset:         16
        .size:           8
        .value_kind:     global_buffer
      - .actual_access:  read_only
        .address_space:  global
        .offset:         24
        .size:           8
        .value_kind:     global_buffer
      - .actual_access:  read_only
        .address_space:  global
        .offset:         32
        .size:           8
        .value_kind:     global_buffer
      - .actual_access:  read_only
        .address_space:  global
        .offset:         40
        .size:           8
        .value_kind:     global_buffer
      - .offset:         48
        .size:           8
        .value_kind:     by_value
      - .address_space:  global
        .offset:         56
        .size:           8
        .value_kind:     global_buffer
      - .offset:         64
        .size:           4
        .value_kind:     by_value
      - .offset:         68
        .size:           1
        .value_kind:     by_value
    .group_segment_fixed_size: 0
    .kernarg_segment_align: 8
    .kernarg_segment_size: 72
    .language:       OpenCL C
    .language_version:
      - 2
      - 0
    .max_flat_workgroup_size: 128
    .name:           _ZN9rocsparseL19gebsrmvn_2xn_kernelILj128ELj16ELj32EdEEvi20rocsparse_direction_NS_24const_host_device_scalarIT2_EEPKiS6_PKS3_S8_S4_PS3_21rocsparse_index_base_b
    .private_segment_fixed_size: 0
    .sgpr_count:     18
    .sgpr_spill_count: 0
    .symbol:         _ZN9rocsparseL19gebsrmvn_2xn_kernelILj128ELj16ELj32EdEEvi20rocsparse_direction_NS_24const_host_device_scalarIT2_EEPKiS6_PKS3_S8_S4_PS3_21rocsparse_index_base_b.kd
    .uniform_work_group_size: 1
    .uses_dynamic_stack: false
    .vgpr_count:     101
    .vgpr_spill_count: 0
    .wavefront_size: 32
    .workgroup_processor_mode: 1
  - .args:
      - .offset:         0
        .size:           4
        .value_kind:     by_value
      - .offset:         4
        .size:           4
        .value_kind:     by_value
      - .offset:         8
        .size:           8
        .value_kind:     by_value
      - .actual_access:  read_only
        .address_space:  global
        .offset:         16
        .size:           8
        .value_kind:     global_buffer
      - .actual_access:  read_only
        .address_space:  global
        .offset:         24
        .size:           8
        .value_kind:     global_buffer
      - .actual_access:  read_only
        .address_space:  global
        .offset:         32
        .size:           8
        .value_kind:     global_buffer
      - .actual_access:  read_only
        .address_space:  global
        .offset:         40
        .size:           8
        .value_kind:     global_buffer
      - .offset:         48
        .size:           8
        .value_kind:     by_value
      - .address_space:  global
        .offset:         56
        .size:           8
        .value_kind:     global_buffer
      - .offset:         64
        .size:           4
        .value_kind:     by_value
      - .offset:         68
        .size:           1
        .value_kind:     by_value
    .group_segment_fixed_size: 0
    .kernarg_segment_align: 8
    .kernarg_segment_size: 72
    .language:       OpenCL C
    .language_version:
      - 2
      - 0
    .max_flat_workgroup_size: 128
    .name:           _ZN9rocsparseL19gebsrmvn_2xn_kernelILj128ELj16ELj64EdEEvi20rocsparse_direction_NS_24const_host_device_scalarIT2_EEPKiS6_PKS3_S8_S4_PS3_21rocsparse_index_base_b
    .private_segment_fixed_size: 0
    .sgpr_count:     18
    .sgpr_spill_count: 0
    .symbol:         _ZN9rocsparseL19gebsrmvn_2xn_kernelILj128ELj16ELj64EdEEvi20rocsparse_direction_NS_24const_host_device_scalarIT2_EEPKiS6_PKS3_S8_S4_PS3_21rocsparse_index_base_b.kd
    .uniform_work_group_size: 1
    .uses_dynamic_stack: false
    .vgpr_count:     101
    .vgpr_spill_count: 0
    .wavefront_size: 32
    .workgroup_processor_mode: 1
  - .args:
      - .offset:         0
        .size:           4
        .value_kind:     by_value
      - .offset:         4
        .size:           4
        .value_kind:     by_value
      - .offset:         8
        .size:           8
        .value_kind:     by_value
      - .actual_access:  read_only
        .address_space:  global
        .offset:         16
        .size:           8
        .value_kind:     global_buffer
      - .actual_access:  read_only
        .address_space:  global
        .offset:         24
        .size:           8
        .value_kind:     global_buffer
      - .actual_access:  read_only
        .address_space:  global
        .offset:         32
        .size:           8
        .value_kind:     global_buffer
      - .offset:         40
        .size:           4
        .value_kind:     by_value
      - .offset:         44
        .size:           4
        .value_kind:     by_value
      - .actual_access:  read_only
        .address_space:  global
        .offset:         48
        .size:           8
        .value_kind:     global_buffer
      - .offset:         56
        .size:           8
        .value_kind:     by_value
      - .address_space:  global
        .offset:         64
        .size:           8
        .value_kind:     global_buffer
      - .offset:         72
        .size:           4
        .value_kind:     by_value
      - .offset:         76
        .size:           1
        .value_kind:     by_value
    .group_segment_fixed_size: 0
    .kernarg_segment_align: 8
    .kernarg_segment_size: 80
    .language:       OpenCL C
    .language_version:
      - 2
      - 0
    .max_flat_workgroup_size: 32
    .name:           _ZN9rocsparseL23gebsrmvn_general_kernelILj32ELj32EdEEvi20rocsparse_direction_NS_24const_host_device_scalarIT1_EEPKiS6_PKS3_iiS8_S4_PS3_21rocsparse_index_base_b
    .private_segment_fixed_size: 0
    .sgpr_count:     28
    .sgpr_spill_count: 0
    .symbol:         _ZN9rocsparseL23gebsrmvn_general_kernelILj32ELj32EdEEvi20rocsparse_direction_NS_24const_host_device_scalarIT1_EEPKiS6_PKS3_iiS8_S4_PS3_21rocsparse_index_base_b.kd
    .uniform_work_group_size: 1
    .uses_dynamic_stack: false
    .vgpr_count:     20
    .vgpr_spill_count: 0
    .wavefront_size: 32
    .workgroup_processor_mode: 1
  - .args:
      - .offset:         0
        .size:           4
        .value_kind:     by_value
      - .offset:         4
        .size:           4
        .value_kind:     by_value
      - .offset:         8
        .size:           8
        .value_kind:     by_value
      - .actual_access:  read_only
        .address_space:  global
        .offset:         16
        .size:           8
        .value_kind:     global_buffer
      - .actual_access:  read_only
        .address_space:  global
        .offset:         24
        .size:           8
        .value_kind:     global_buffer
      - .actual_access:  read_only
        .address_space:  global
        .offset:         32
        .size:           8
        .value_kind:     global_buffer
      - .actual_access:  read_only
        .address_space:  global
        .offset:         40
        .size:           8
        .value_kind:     global_buffer
      - .offset:         48
        .size:           8
        .value_kind:     by_value
      - .address_space:  global
        .offset:         56
        .size:           8
        .value_kind:     global_buffer
      - .offset:         64
        .size:           4
        .value_kind:     by_value
      - .offset:         68
        .size:           1
        .value_kind:     by_value
    .group_segment_fixed_size: 0
    .kernarg_segment_align: 8
    .kernarg_segment_size: 72
    .language:       OpenCL C
    .language_version:
      - 2
      - 0
    .max_flat_workgroup_size: 128
    .name:           _ZN9rocsparseL19gebsrmvn_2xn_kernelILj128ELj1ELj4E21rocsparse_complex_numIfEEEvi20rocsparse_direction_NS_24const_host_device_scalarIT2_EEPKiS8_PKS5_SA_S6_PS5_21rocsparse_index_base_b
    .private_segment_fixed_size: 0
    .sgpr_count:     18
    .sgpr_spill_count: 0
    .symbol:         _ZN9rocsparseL19gebsrmvn_2xn_kernelILj128ELj1ELj4E21rocsparse_complex_numIfEEEvi20rocsparse_direction_NS_24const_host_device_scalarIT2_EEPKiS8_PKS5_SA_S6_PS5_21rocsparse_index_base_b.kd
    .uniform_work_group_size: 1
    .uses_dynamic_stack: false
    .vgpr_count:     23
    .vgpr_spill_count: 0
    .wavefront_size: 32
    .workgroup_processor_mode: 1
  - .args:
      - .offset:         0
        .size:           4
        .value_kind:     by_value
      - .offset:         4
        .size:           4
        .value_kind:     by_value
      - .offset:         8
        .size:           8
        .value_kind:     by_value
      - .actual_access:  read_only
        .address_space:  global
        .offset:         16
        .size:           8
        .value_kind:     global_buffer
      - .actual_access:  read_only
        .address_space:  global
        .offset:         24
        .size:           8
        .value_kind:     global_buffer
      - .actual_access:  read_only
        .address_space:  global
        .offset:         32
        .size:           8
        .value_kind:     global_buffer
      - .actual_access:  read_only
        .address_space:  global
        .offset:         40
        .size:           8
        .value_kind:     global_buffer
      - .offset:         48
        .size:           8
        .value_kind:     by_value
      - .address_space:  global
        .offset:         56
        .size:           8
        .value_kind:     global_buffer
      - .offset:         64
        .size:           4
        .value_kind:     by_value
      - .offset:         68
        .size:           1
        .value_kind:     by_value
    .group_segment_fixed_size: 0
    .kernarg_segment_align: 8
    .kernarg_segment_size: 72
    .language:       OpenCL C
    .language_version:
      - 2
      - 0
    .max_flat_workgroup_size: 128
    .name:           _ZN9rocsparseL19gebsrmvn_2xn_kernelILj128ELj1ELj8E21rocsparse_complex_numIfEEEvi20rocsparse_direction_NS_24const_host_device_scalarIT2_EEPKiS8_PKS5_SA_S6_PS5_21rocsparse_index_base_b
    .private_segment_fixed_size: 0
    .sgpr_count:     18
    .sgpr_spill_count: 0
    .symbol:         _ZN9rocsparseL19gebsrmvn_2xn_kernelILj128ELj1ELj8E21rocsparse_complex_numIfEEEvi20rocsparse_direction_NS_24const_host_device_scalarIT2_EEPKiS8_PKS5_SA_S6_PS5_21rocsparse_index_base_b.kd
    .uniform_work_group_size: 1
    .uses_dynamic_stack: false
    .vgpr_count:     23
    .vgpr_spill_count: 0
    .wavefront_size: 32
    .workgroup_processor_mode: 1
  - .args:
      - .offset:         0
        .size:           4
        .value_kind:     by_value
      - .offset:         4
        .size:           4
        .value_kind:     by_value
      - .offset:         8
        .size:           8
        .value_kind:     by_value
      - .actual_access:  read_only
        .address_space:  global
        .offset:         16
        .size:           8
        .value_kind:     global_buffer
      - .actual_access:  read_only
        .address_space:  global
        .offset:         24
        .size:           8
        .value_kind:     global_buffer
      - .actual_access:  read_only
        .address_space:  global
        .offset:         32
        .size:           8
        .value_kind:     global_buffer
      - .actual_access:  read_only
        .address_space:  global
        .offset:         40
        .size:           8
        .value_kind:     global_buffer
      - .offset:         48
        .size:           8
        .value_kind:     by_value
      - .address_space:  global
        .offset:         56
        .size:           8
        .value_kind:     global_buffer
      - .offset:         64
        .size:           4
        .value_kind:     by_value
      - .offset:         68
        .size:           1
        .value_kind:     by_value
    .group_segment_fixed_size: 0
    .kernarg_segment_align: 8
    .kernarg_segment_size: 72
    .language:       OpenCL C
    .language_version:
      - 2
      - 0
    .max_flat_workgroup_size: 128
    .name:           _ZN9rocsparseL19gebsrmvn_2xn_kernelILj128ELj1ELj16E21rocsparse_complex_numIfEEEvi20rocsparse_direction_NS_24const_host_device_scalarIT2_EEPKiS8_PKS5_SA_S6_PS5_21rocsparse_index_base_b
    .private_segment_fixed_size: 0
    .sgpr_count:     18
    .sgpr_spill_count: 0
    .symbol:         _ZN9rocsparseL19gebsrmvn_2xn_kernelILj128ELj1ELj16E21rocsparse_complex_numIfEEEvi20rocsparse_direction_NS_24const_host_device_scalarIT2_EEPKiS8_PKS5_SA_S6_PS5_21rocsparse_index_base_b.kd
    .uniform_work_group_size: 1
    .uses_dynamic_stack: false
    .vgpr_count:     23
    .vgpr_spill_count: 0
    .wavefront_size: 32
    .workgroup_processor_mode: 1
  - .args:
      - .offset:         0
        .size:           4
        .value_kind:     by_value
      - .offset:         4
        .size:           4
        .value_kind:     by_value
      - .offset:         8
        .size:           8
        .value_kind:     by_value
      - .actual_access:  read_only
        .address_space:  global
        .offset:         16
        .size:           8
        .value_kind:     global_buffer
      - .actual_access:  read_only
        .address_space:  global
        .offset:         24
        .size:           8
        .value_kind:     global_buffer
      - .actual_access:  read_only
        .address_space:  global
        .offset:         32
        .size:           8
        .value_kind:     global_buffer
      - .actual_access:  read_only
        .address_space:  global
        .offset:         40
        .size:           8
        .value_kind:     global_buffer
      - .offset:         48
        .size:           8
        .value_kind:     by_value
      - .address_space:  global
        .offset:         56
        .size:           8
        .value_kind:     global_buffer
      - .offset:         64
        .size:           4
        .value_kind:     by_value
      - .offset:         68
        .size:           1
        .value_kind:     by_value
    .group_segment_fixed_size: 0
    .kernarg_segment_align: 8
    .kernarg_segment_size: 72
    .language:       OpenCL C
    .language_version:
      - 2
      - 0
    .max_flat_workgroup_size: 128
    .name:           _ZN9rocsparseL19gebsrmvn_2xn_kernelILj128ELj1ELj32E21rocsparse_complex_numIfEEEvi20rocsparse_direction_NS_24const_host_device_scalarIT2_EEPKiS8_PKS5_SA_S6_PS5_21rocsparse_index_base_b
    .private_segment_fixed_size: 0
    .sgpr_count:     18
    .sgpr_spill_count: 0
    .symbol:         _ZN9rocsparseL19gebsrmvn_2xn_kernelILj128ELj1ELj32E21rocsparse_complex_numIfEEEvi20rocsparse_direction_NS_24const_host_device_scalarIT2_EEPKiS8_PKS5_SA_S6_PS5_21rocsparse_index_base_b.kd
    .uniform_work_group_size: 1
    .uses_dynamic_stack: false
    .vgpr_count:     23
    .vgpr_spill_count: 0
    .wavefront_size: 32
    .workgroup_processor_mode: 1
  - .args:
      - .offset:         0
        .size:           4
        .value_kind:     by_value
      - .offset:         4
        .size:           4
        .value_kind:     by_value
      - .offset:         8
        .size:           8
        .value_kind:     by_value
      - .actual_access:  read_only
        .address_space:  global
        .offset:         16
        .size:           8
        .value_kind:     global_buffer
      - .actual_access:  read_only
        .address_space:  global
        .offset:         24
        .size:           8
        .value_kind:     global_buffer
      - .actual_access:  read_only
        .address_space:  global
        .offset:         32
        .size:           8
        .value_kind:     global_buffer
      - .actual_access:  read_only
        .address_space:  global
        .offset:         40
        .size:           8
        .value_kind:     global_buffer
      - .offset:         48
        .size:           8
        .value_kind:     by_value
      - .address_space:  global
        .offset:         56
        .size:           8
        .value_kind:     global_buffer
      - .offset:         64
        .size:           4
        .value_kind:     by_value
      - .offset:         68
        .size:           1
        .value_kind:     by_value
    .group_segment_fixed_size: 0
    .kernarg_segment_align: 8
    .kernarg_segment_size: 72
    .language:       OpenCL C
    .language_version:
      - 2
      - 0
    .max_flat_workgroup_size: 128
    .name:           _ZN9rocsparseL19gebsrmvn_2xn_kernelILj128ELj1ELj64E21rocsparse_complex_numIfEEEvi20rocsparse_direction_NS_24const_host_device_scalarIT2_EEPKiS8_PKS5_SA_S6_PS5_21rocsparse_index_base_b
    .private_segment_fixed_size: 0
    .sgpr_count:     18
    .sgpr_spill_count: 0
    .symbol:         _ZN9rocsparseL19gebsrmvn_2xn_kernelILj128ELj1ELj64E21rocsparse_complex_numIfEEEvi20rocsparse_direction_NS_24const_host_device_scalarIT2_EEPKiS8_PKS5_SA_S6_PS5_21rocsparse_index_base_b.kd
    .uniform_work_group_size: 1
    .uses_dynamic_stack: false
    .vgpr_count:     23
    .vgpr_spill_count: 0
    .wavefront_size: 32
    .workgroup_processor_mode: 1
  - .args:
      - .offset:         0
        .size:           4
        .value_kind:     by_value
      - .offset:         4
        .size:           4
        .value_kind:     by_value
      - .offset:         8
        .size:           8
        .value_kind:     by_value
      - .actual_access:  read_only
        .address_space:  global
        .offset:         16
        .size:           8
        .value_kind:     global_buffer
      - .actual_access:  read_only
        .address_space:  global
        .offset:         24
        .size:           8
        .value_kind:     global_buffer
      - .actual_access:  read_only
        .address_space:  global
        .offset:         32
        .size:           8
        .value_kind:     global_buffer
      - .actual_access:  read_only
        .address_space:  global
        .offset:         40
        .size:           8
        .value_kind:     global_buffer
      - .offset:         48
        .size:           8
        .value_kind:     by_value
      - .address_space:  global
        .offset:         56
        .size:           8
        .value_kind:     global_buffer
      - .offset:         64
        .size:           4
        .value_kind:     by_value
      - .offset:         68
        .size:           1
        .value_kind:     by_value
    .group_segment_fixed_size: 0
    .kernarg_segment_align: 8
    .kernarg_segment_size: 72
    .language:       OpenCL C
    .language_version:
      - 2
      - 0
    .max_flat_workgroup_size: 128
    .name:           _ZN9rocsparseL19gebsrmvn_2xn_kernelILj128ELj3ELj4E21rocsparse_complex_numIfEEEvi20rocsparse_direction_NS_24const_host_device_scalarIT2_EEPKiS8_PKS5_SA_S6_PS5_21rocsparse_index_base_b
    .private_segment_fixed_size: 0
    .sgpr_count:     18
    .sgpr_spill_count: 0
    .symbol:         _ZN9rocsparseL19gebsrmvn_2xn_kernelILj128ELj3ELj4E21rocsparse_complex_numIfEEEvi20rocsparse_direction_NS_24const_host_device_scalarIT2_EEPKiS8_PKS5_SA_S6_PS5_21rocsparse_index_base_b.kd
    .uniform_work_group_size: 1
    .uses_dynamic_stack: false
    .vgpr_count:     35
    .vgpr_spill_count: 0
    .wavefront_size: 32
    .workgroup_processor_mode: 1
  - .args:
      - .offset:         0
        .size:           4
        .value_kind:     by_value
      - .offset:         4
        .size:           4
        .value_kind:     by_value
      - .offset:         8
        .size:           8
        .value_kind:     by_value
      - .actual_access:  read_only
        .address_space:  global
        .offset:         16
        .size:           8
        .value_kind:     global_buffer
      - .actual_access:  read_only
        .address_space:  global
        .offset:         24
        .size:           8
        .value_kind:     global_buffer
      - .actual_access:  read_only
        .address_space:  global
        .offset:         32
        .size:           8
        .value_kind:     global_buffer
      - .actual_access:  read_only
        .address_space:  global
        .offset:         40
        .size:           8
        .value_kind:     global_buffer
      - .offset:         48
        .size:           8
        .value_kind:     by_value
      - .address_space:  global
        .offset:         56
        .size:           8
        .value_kind:     global_buffer
      - .offset:         64
        .size:           4
        .value_kind:     by_value
      - .offset:         68
        .size:           1
        .value_kind:     by_value
    .group_segment_fixed_size: 0
    .kernarg_segment_align: 8
    .kernarg_segment_size: 72
    .language:       OpenCL C
    .language_version:
      - 2
      - 0
    .max_flat_workgroup_size: 128
    .name:           _ZN9rocsparseL19gebsrmvn_2xn_kernelILj128ELj3ELj8E21rocsparse_complex_numIfEEEvi20rocsparse_direction_NS_24const_host_device_scalarIT2_EEPKiS8_PKS5_SA_S6_PS5_21rocsparse_index_base_b
    .private_segment_fixed_size: 0
    .sgpr_count:     18
    .sgpr_spill_count: 0
    .symbol:         _ZN9rocsparseL19gebsrmvn_2xn_kernelILj128ELj3ELj8E21rocsparse_complex_numIfEEEvi20rocsparse_direction_NS_24const_host_device_scalarIT2_EEPKiS8_PKS5_SA_S6_PS5_21rocsparse_index_base_b.kd
    .uniform_work_group_size: 1
    .uses_dynamic_stack: false
    .vgpr_count:     35
    .vgpr_spill_count: 0
    .wavefront_size: 32
    .workgroup_processor_mode: 1
  - .args:
      - .offset:         0
        .size:           4
        .value_kind:     by_value
      - .offset:         4
        .size:           4
        .value_kind:     by_value
      - .offset:         8
        .size:           8
        .value_kind:     by_value
      - .actual_access:  read_only
        .address_space:  global
        .offset:         16
        .size:           8
        .value_kind:     global_buffer
      - .actual_access:  read_only
        .address_space:  global
        .offset:         24
        .size:           8
        .value_kind:     global_buffer
      - .actual_access:  read_only
        .address_space:  global
        .offset:         32
        .size:           8
        .value_kind:     global_buffer
      - .actual_access:  read_only
        .address_space:  global
        .offset:         40
        .size:           8
        .value_kind:     global_buffer
      - .offset:         48
        .size:           8
        .value_kind:     by_value
      - .address_space:  global
        .offset:         56
        .size:           8
        .value_kind:     global_buffer
      - .offset:         64
        .size:           4
        .value_kind:     by_value
      - .offset:         68
        .size:           1
        .value_kind:     by_value
    .group_segment_fixed_size: 0
    .kernarg_segment_align: 8
    .kernarg_segment_size: 72
    .language:       OpenCL C
    .language_version:
      - 2
      - 0
    .max_flat_workgroup_size: 128
    .name:           _ZN9rocsparseL19gebsrmvn_2xn_kernelILj128ELj3ELj16E21rocsparse_complex_numIfEEEvi20rocsparse_direction_NS_24const_host_device_scalarIT2_EEPKiS8_PKS5_SA_S6_PS5_21rocsparse_index_base_b
    .private_segment_fixed_size: 0
    .sgpr_count:     18
    .sgpr_spill_count: 0
    .symbol:         _ZN9rocsparseL19gebsrmvn_2xn_kernelILj128ELj3ELj16E21rocsparse_complex_numIfEEEvi20rocsparse_direction_NS_24const_host_device_scalarIT2_EEPKiS8_PKS5_SA_S6_PS5_21rocsparse_index_base_b.kd
    .uniform_work_group_size: 1
    .uses_dynamic_stack: false
    .vgpr_count:     35
    .vgpr_spill_count: 0
    .wavefront_size: 32
    .workgroup_processor_mode: 1
  - .args:
      - .offset:         0
        .size:           4
        .value_kind:     by_value
      - .offset:         4
        .size:           4
        .value_kind:     by_value
      - .offset:         8
        .size:           8
        .value_kind:     by_value
      - .actual_access:  read_only
        .address_space:  global
        .offset:         16
        .size:           8
        .value_kind:     global_buffer
      - .actual_access:  read_only
        .address_space:  global
        .offset:         24
        .size:           8
        .value_kind:     global_buffer
      - .actual_access:  read_only
        .address_space:  global
        .offset:         32
        .size:           8
        .value_kind:     global_buffer
      - .actual_access:  read_only
        .address_space:  global
        .offset:         40
        .size:           8
        .value_kind:     global_buffer
      - .offset:         48
        .size:           8
        .value_kind:     by_value
      - .address_space:  global
        .offset:         56
        .size:           8
        .value_kind:     global_buffer
      - .offset:         64
        .size:           4
        .value_kind:     by_value
      - .offset:         68
        .size:           1
        .value_kind:     by_value
    .group_segment_fixed_size: 0
    .kernarg_segment_align: 8
    .kernarg_segment_size: 72
    .language:       OpenCL C
    .language_version:
      - 2
      - 0
    .max_flat_workgroup_size: 128
    .name:           _ZN9rocsparseL19gebsrmvn_2xn_kernelILj128ELj3ELj32E21rocsparse_complex_numIfEEEvi20rocsparse_direction_NS_24const_host_device_scalarIT2_EEPKiS8_PKS5_SA_S6_PS5_21rocsparse_index_base_b
    .private_segment_fixed_size: 0
    .sgpr_count:     18
    .sgpr_spill_count: 0
    .symbol:         _ZN9rocsparseL19gebsrmvn_2xn_kernelILj128ELj3ELj32E21rocsparse_complex_numIfEEEvi20rocsparse_direction_NS_24const_host_device_scalarIT2_EEPKiS8_PKS5_SA_S6_PS5_21rocsparse_index_base_b.kd
    .uniform_work_group_size: 1
    .uses_dynamic_stack: false
    .vgpr_count:     35
    .vgpr_spill_count: 0
    .wavefront_size: 32
    .workgroup_processor_mode: 1
  - .args:
      - .offset:         0
        .size:           4
        .value_kind:     by_value
      - .offset:         4
        .size:           4
        .value_kind:     by_value
      - .offset:         8
        .size:           8
        .value_kind:     by_value
      - .actual_access:  read_only
        .address_space:  global
        .offset:         16
        .size:           8
        .value_kind:     global_buffer
      - .actual_access:  read_only
        .address_space:  global
        .offset:         24
        .size:           8
        .value_kind:     global_buffer
      - .actual_access:  read_only
        .address_space:  global
        .offset:         32
        .size:           8
        .value_kind:     global_buffer
      - .actual_access:  read_only
        .address_space:  global
        .offset:         40
        .size:           8
        .value_kind:     global_buffer
      - .offset:         48
        .size:           8
        .value_kind:     by_value
      - .address_space:  global
        .offset:         56
        .size:           8
        .value_kind:     global_buffer
      - .offset:         64
        .size:           4
        .value_kind:     by_value
      - .offset:         68
        .size:           1
        .value_kind:     by_value
    .group_segment_fixed_size: 0
    .kernarg_segment_align: 8
    .kernarg_segment_size: 72
    .language:       OpenCL C
    .language_version:
      - 2
      - 0
    .max_flat_workgroup_size: 128
    .name:           _ZN9rocsparseL19gebsrmvn_2xn_kernelILj128ELj3ELj64E21rocsparse_complex_numIfEEEvi20rocsparse_direction_NS_24const_host_device_scalarIT2_EEPKiS8_PKS5_SA_S6_PS5_21rocsparse_index_base_b
    .private_segment_fixed_size: 0
    .sgpr_count:     18
    .sgpr_spill_count: 0
    .symbol:         _ZN9rocsparseL19gebsrmvn_2xn_kernelILj128ELj3ELj64E21rocsparse_complex_numIfEEEvi20rocsparse_direction_NS_24const_host_device_scalarIT2_EEPKiS8_PKS5_SA_S6_PS5_21rocsparse_index_base_b.kd
    .uniform_work_group_size: 1
    .uses_dynamic_stack: false
    .vgpr_count:     35
    .vgpr_spill_count: 0
    .wavefront_size: 32
    .workgroup_processor_mode: 1
  - .args:
      - .offset:         0
        .size:           4
        .value_kind:     by_value
      - .offset:         4
        .size:           4
        .value_kind:     by_value
      - .offset:         8
        .size:           8
        .value_kind:     by_value
      - .actual_access:  read_only
        .address_space:  global
        .offset:         16
        .size:           8
        .value_kind:     global_buffer
      - .actual_access:  read_only
        .address_space:  global
        .offset:         24
        .size:           8
        .value_kind:     global_buffer
      - .actual_access:  read_only
        .address_space:  global
        .offset:         32
        .size:           8
        .value_kind:     global_buffer
      - .actual_access:  read_only
        .address_space:  global
        .offset:         40
        .size:           8
        .value_kind:     global_buffer
      - .offset:         48
        .size:           8
        .value_kind:     by_value
      - .address_space:  global
        .offset:         56
        .size:           8
        .value_kind:     global_buffer
      - .offset:         64
        .size:           4
        .value_kind:     by_value
      - .offset:         68
        .size:           1
        .value_kind:     by_value
    .group_segment_fixed_size: 0
    .kernarg_segment_align: 8
    .kernarg_segment_size: 72
    .language:       OpenCL C
    .language_version:
      - 2
      - 0
    .max_flat_workgroup_size: 128
    .name:           _ZN9rocsparseL19gebsrmvn_2xn_kernelILj128ELj4ELj4E21rocsparse_complex_numIfEEEvi20rocsparse_direction_NS_24const_host_device_scalarIT2_EEPKiS8_PKS5_SA_S6_PS5_21rocsparse_index_base_b
    .private_segment_fixed_size: 0
    .sgpr_count:     18
    .sgpr_spill_count: 0
    .symbol:         _ZN9rocsparseL19gebsrmvn_2xn_kernelILj128ELj4ELj4E21rocsparse_complex_numIfEEEvi20rocsparse_direction_NS_24const_host_device_scalarIT2_EEPKiS8_PKS5_SA_S6_PS5_21rocsparse_index_base_b.kd
    .uniform_work_group_size: 1
    .uses_dynamic_stack: false
    .vgpr_count:     40
    .vgpr_spill_count: 0
    .wavefront_size: 32
    .workgroup_processor_mode: 1
  - .args:
      - .offset:         0
        .size:           4
        .value_kind:     by_value
      - .offset:         4
        .size:           4
        .value_kind:     by_value
      - .offset:         8
        .size:           8
        .value_kind:     by_value
      - .actual_access:  read_only
        .address_space:  global
        .offset:         16
        .size:           8
        .value_kind:     global_buffer
      - .actual_access:  read_only
        .address_space:  global
        .offset:         24
        .size:           8
        .value_kind:     global_buffer
      - .actual_access:  read_only
        .address_space:  global
        .offset:         32
        .size:           8
        .value_kind:     global_buffer
      - .actual_access:  read_only
        .address_space:  global
        .offset:         40
        .size:           8
        .value_kind:     global_buffer
      - .offset:         48
        .size:           8
        .value_kind:     by_value
      - .address_space:  global
        .offset:         56
        .size:           8
        .value_kind:     global_buffer
      - .offset:         64
        .size:           4
        .value_kind:     by_value
      - .offset:         68
        .size:           1
        .value_kind:     by_value
    .group_segment_fixed_size: 0
    .kernarg_segment_align: 8
    .kernarg_segment_size: 72
    .language:       OpenCL C
    .language_version:
      - 2
      - 0
    .max_flat_workgroup_size: 128
    .name:           _ZN9rocsparseL19gebsrmvn_2xn_kernelILj128ELj4ELj8E21rocsparse_complex_numIfEEEvi20rocsparse_direction_NS_24const_host_device_scalarIT2_EEPKiS8_PKS5_SA_S6_PS5_21rocsparse_index_base_b
    .private_segment_fixed_size: 0
    .sgpr_count:     18
    .sgpr_spill_count: 0
    .symbol:         _ZN9rocsparseL19gebsrmvn_2xn_kernelILj128ELj4ELj8E21rocsparse_complex_numIfEEEvi20rocsparse_direction_NS_24const_host_device_scalarIT2_EEPKiS8_PKS5_SA_S6_PS5_21rocsparse_index_base_b.kd
    .uniform_work_group_size: 1
    .uses_dynamic_stack: false
    .vgpr_count:     40
    .vgpr_spill_count: 0
    .wavefront_size: 32
    .workgroup_processor_mode: 1
  - .args:
      - .offset:         0
        .size:           4
        .value_kind:     by_value
      - .offset:         4
        .size:           4
        .value_kind:     by_value
      - .offset:         8
        .size:           8
        .value_kind:     by_value
      - .actual_access:  read_only
        .address_space:  global
        .offset:         16
        .size:           8
        .value_kind:     global_buffer
      - .actual_access:  read_only
        .address_space:  global
        .offset:         24
        .size:           8
        .value_kind:     global_buffer
      - .actual_access:  read_only
        .address_space:  global
        .offset:         32
        .size:           8
        .value_kind:     global_buffer
      - .actual_access:  read_only
        .address_space:  global
        .offset:         40
        .size:           8
        .value_kind:     global_buffer
      - .offset:         48
        .size:           8
        .value_kind:     by_value
      - .address_space:  global
        .offset:         56
        .size:           8
        .value_kind:     global_buffer
      - .offset:         64
        .size:           4
        .value_kind:     by_value
      - .offset:         68
        .size:           1
        .value_kind:     by_value
    .group_segment_fixed_size: 0
    .kernarg_segment_align: 8
    .kernarg_segment_size: 72
    .language:       OpenCL C
    .language_version:
      - 2
      - 0
    .max_flat_workgroup_size: 128
    .name:           _ZN9rocsparseL19gebsrmvn_2xn_kernelILj128ELj4ELj16E21rocsparse_complex_numIfEEEvi20rocsparse_direction_NS_24const_host_device_scalarIT2_EEPKiS8_PKS5_SA_S6_PS5_21rocsparse_index_base_b
    .private_segment_fixed_size: 0
    .sgpr_count:     18
    .sgpr_spill_count: 0
    .symbol:         _ZN9rocsparseL19gebsrmvn_2xn_kernelILj128ELj4ELj16E21rocsparse_complex_numIfEEEvi20rocsparse_direction_NS_24const_host_device_scalarIT2_EEPKiS8_PKS5_SA_S6_PS5_21rocsparse_index_base_b.kd
    .uniform_work_group_size: 1
    .uses_dynamic_stack: false
    .vgpr_count:     40
    .vgpr_spill_count: 0
    .wavefront_size: 32
    .workgroup_processor_mode: 1
  - .args:
      - .offset:         0
        .size:           4
        .value_kind:     by_value
      - .offset:         4
        .size:           4
        .value_kind:     by_value
      - .offset:         8
        .size:           8
        .value_kind:     by_value
      - .actual_access:  read_only
        .address_space:  global
        .offset:         16
        .size:           8
        .value_kind:     global_buffer
      - .actual_access:  read_only
        .address_space:  global
        .offset:         24
        .size:           8
        .value_kind:     global_buffer
      - .actual_access:  read_only
        .address_space:  global
        .offset:         32
        .size:           8
        .value_kind:     global_buffer
      - .actual_access:  read_only
        .address_space:  global
        .offset:         40
        .size:           8
        .value_kind:     global_buffer
      - .offset:         48
        .size:           8
        .value_kind:     by_value
      - .address_space:  global
        .offset:         56
        .size:           8
        .value_kind:     global_buffer
      - .offset:         64
        .size:           4
        .value_kind:     by_value
      - .offset:         68
        .size:           1
        .value_kind:     by_value
    .group_segment_fixed_size: 0
    .kernarg_segment_align: 8
    .kernarg_segment_size: 72
    .language:       OpenCL C
    .language_version:
      - 2
      - 0
    .max_flat_workgroup_size: 128
    .name:           _ZN9rocsparseL19gebsrmvn_2xn_kernelILj128ELj4ELj32E21rocsparse_complex_numIfEEEvi20rocsparse_direction_NS_24const_host_device_scalarIT2_EEPKiS8_PKS5_SA_S6_PS5_21rocsparse_index_base_b
    .private_segment_fixed_size: 0
    .sgpr_count:     18
    .sgpr_spill_count: 0
    .symbol:         _ZN9rocsparseL19gebsrmvn_2xn_kernelILj128ELj4ELj32E21rocsparse_complex_numIfEEEvi20rocsparse_direction_NS_24const_host_device_scalarIT2_EEPKiS8_PKS5_SA_S6_PS5_21rocsparse_index_base_b.kd
    .uniform_work_group_size: 1
    .uses_dynamic_stack: false
    .vgpr_count:     40
    .vgpr_spill_count: 0
    .wavefront_size: 32
    .workgroup_processor_mode: 1
  - .args:
      - .offset:         0
        .size:           4
        .value_kind:     by_value
      - .offset:         4
        .size:           4
        .value_kind:     by_value
      - .offset:         8
        .size:           8
        .value_kind:     by_value
      - .actual_access:  read_only
        .address_space:  global
        .offset:         16
        .size:           8
        .value_kind:     global_buffer
      - .actual_access:  read_only
        .address_space:  global
        .offset:         24
        .size:           8
        .value_kind:     global_buffer
      - .actual_access:  read_only
        .address_space:  global
        .offset:         32
        .size:           8
        .value_kind:     global_buffer
      - .actual_access:  read_only
        .address_space:  global
        .offset:         40
        .size:           8
        .value_kind:     global_buffer
      - .offset:         48
        .size:           8
        .value_kind:     by_value
      - .address_space:  global
        .offset:         56
        .size:           8
        .value_kind:     global_buffer
      - .offset:         64
        .size:           4
        .value_kind:     by_value
      - .offset:         68
        .size:           1
        .value_kind:     by_value
    .group_segment_fixed_size: 0
    .kernarg_segment_align: 8
    .kernarg_segment_size: 72
    .language:       OpenCL C
    .language_version:
      - 2
      - 0
    .max_flat_workgroup_size: 128
    .name:           _ZN9rocsparseL19gebsrmvn_2xn_kernelILj128ELj4ELj64E21rocsparse_complex_numIfEEEvi20rocsparse_direction_NS_24const_host_device_scalarIT2_EEPKiS8_PKS5_SA_S6_PS5_21rocsparse_index_base_b
    .private_segment_fixed_size: 0
    .sgpr_count:     18
    .sgpr_spill_count: 0
    .symbol:         _ZN9rocsparseL19gebsrmvn_2xn_kernelILj128ELj4ELj64E21rocsparse_complex_numIfEEEvi20rocsparse_direction_NS_24const_host_device_scalarIT2_EEPKiS8_PKS5_SA_S6_PS5_21rocsparse_index_base_b.kd
    .uniform_work_group_size: 1
    .uses_dynamic_stack: false
    .vgpr_count:     40
    .vgpr_spill_count: 0
    .wavefront_size: 32
    .workgroup_processor_mode: 1
  - .args:
      - .offset:         0
        .size:           4
        .value_kind:     by_value
      - .offset:         4
        .size:           4
        .value_kind:     by_value
      - .offset:         8
        .size:           8
        .value_kind:     by_value
      - .actual_access:  read_only
        .address_space:  global
        .offset:         16
        .size:           8
        .value_kind:     global_buffer
      - .actual_access:  read_only
        .address_space:  global
        .offset:         24
        .size:           8
        .value_kind:     global_buffer
      - .actual_access:  read_only
        .address_space:  global
        .offset:         32
        .size:           8
        .value_kind:     global_buffer
      - .actual_access:  read_only
        .address_space:  global
        .offset:         40
        .size:           8
        .value_kind:     global_buffer
      - .offset:         48
        .size:           8
        .value_kind:     by_value
      - .address_space:  global
        .offset:         56
        .size:           8
        .value_kind:     global_buffer
      - .offset:         64
        .size:           4
        .value_kind:     by_value
      - .offset:         68
        .size:           1
        .value_kind:     by_value
    .group_segment_fixed_size: 0
    .kernarg_segment_align: 8
    .kernarg_segment_size: 72
    .language:       OpenCL C
    .language_version:
      - 2
      - 0
    .max_flat_workgroup_size: 128
    .name:           _ZN9rocsparseL19gebsrmvn_2xn_kernelILj128ELj5ELj4E21rocsparse_complex_numIfEEEvi20rocsparse_direction_NS_24const_host_device_scalarIT2_EEPKiS8_PKS5_SA_S6_PS5_21rocsparse_index_base_b
    .private_segment_fixed_size: 0
    .sgpr_count:     18
    .sgpr_spill_count: 0
    .symbol:         _ZN9rocsparseL19gebsrmvn_2xn_kernelILj128ELj5ELj4E21rocsparse_complex_numIfEEEvi20rocsparse_direction_NS_24const_host_device_scalarIT2_EEPKiS8_PKS5_SA_S6_PS5_21rocsparse_index_base_b.kd
    .uniform_work_group_size: 1
    .uses_dynamic_stack: false
    .vgpr_count:     48
    .vgpr_spill_count: 0
    .wavefront_size: 32
    .workgroup_processor_mode: 1
  - .args:
      - .offset:         0
        .size:           4
        .value_kind:     by_value
      - .offset:         4
        .size:           4
        .value_kind:     by_value
      - .offset:         8
        .size:           8
        .value_kind:     by_value
      - .actual_access:  read_only
        .address_space:  global
        .offset:         16
        .size:           8
        .value_kind:     global_buffer
      - .actual_access:  read_only
        .address_space:  global
        .offset:         24
        .size:           8
        .value_kind:     global_buffer
      - .actual_access:  read_only
        .address_space:  global
        .offset:         32
        .size:           8
        .value_kind:     global_buffer
      - .actual_access:  read_only
        .address_space:  global
        .offset:         40
        .size:           8
        .value_kind:     global_buffer
      - .offset:         48
        .size:           8
        .value_kind:     by_value
      - .address_space:  global
        .offset:         56
        .size:           8
        .value_kind:     global_buffer
      - .offset:         64
        .size:           4
        .value_kind:     by_value
      - .offset:         68
        .size:           1
        .value_kind:     by_value
    .group_segment_fixed_size: 0
    .kernarg_segment_align: 8
    .kernarg_segment_size: 72
    .language:       OpenCL C
    .language_version:
      - 2
      - 0
    .max_flat_workgroup_size: 128
    .name:           _ZN9rocsparseL19gebsrmvn_2xn_kernelILj128ELj5ELj8E21rocsparse_complex_numIfEEEvi20rocsparse_direction_NS_24const_host_device_scalarIT2_EEPKiS8_PKS5_SA_S6_PS5_21rocsparse_index_base_b
    .private_segment_fixed_size: 0
    .sgpr_count:     18
    .sgpr_spill_count: 0
    .symbol:         _ZN9rocsparseL19gebsrmvn_2xn_kernelILj128ELj5ELj8E21rocsparse_complex_numIfEEEvi20rocsparse_direction_NS_24const_host_device_scalarIT2_EEPKiS8_PKS5_SA_S6_PS5_21rocsparse_index_base_b.kd
    .uniform_work_group_size: 1
    .uses_dynamic_stack: false
    .vgpr_count:     48
    .vgpr_spill_count: 0
    .wavefront_size: 32
    .workgroup_processor_mode: 1
  - .args:
      - .offset:         0
        .size:           4
        .value_kind:     by_value
      - .offset:         4
        .size:           4
        .value_kind:     by_value
      - .offset:         8
        .size:           8
        .value_kind:     by_value
      - .actual_access:  read_only
        .address_space:  global
        .offset:         16
        .size:           8
        .value_kind:     global_buffer
      - .actual_access:  read_only
        .address_space:  global
        .offset:         24
        .size:           8
        .value_kind:     global_buffer
      - .actual_access:  read_only
        .address_space:  global
        .offset:         32
        .size:           8
        .value_kind:     global_buffer
      - .actual_access:  read_only
        .address_space:  global
        .offset:         40
        .size:           8
        .value_kind:     global_buffer
      - .offset:         48
        .size:           8
        .value_kind:     by_value
      - .address_space:  global
        .offset:         56
        .size:           8
        .value_kind:     global_buffer
      - .offset:         64
        .size:           4
        .value_kind:     by_value
      - .offset:         68
        .size:           1
        .value_kind:     by_value
    .group_segment_fixed_size: 0
    .kernarg_segment_align: 8
    .kernarg_segment_size: 72
    .language:       OpenCL C
    .language_version:
      - 2
      - 0
    .max_flat_workgroup_size: 128
    .name:           _ZN9rocsparseL19gebsrmvn_2xn_kernelILj128ELj5ELj16E21rocsparse_complex_numIfEEEvi20rocsparse_direction_NS_24const_host_device_scalarIT2_EEPKiS8_PKS5_SA_S6_PS5_21rocsparse_index_base_b
    .private_segment_fixed_size: 0
    .sgpr_count:     18
    .sgpr_spill_count: 0
    .symbol:         _ZN9rocsparseL19gebsrmvn_2xn_kernelILj128ELj5ELj16E21rocsparse_complex_numIfEEEvi20rocsparse_direction_NS_24const_host_device_scalarIT2_EEPKiS8_PKS5_SA_S6_PS5_21rocsparse_index_base_b.kd
    .uniform_work_group_size: 1
    .uses_dynamic_stack: false
    .vgpr_count:     48
    .vgpr_spill_count: 0
    .wavefront_size: 32
    .workgroup_processor_mode: 1
  - .args:
      - .offset:         0
        .size:           4
        .value_kind:     by_value
      - .offset:         4
        .size:           4
        .value_kind:     by_value
      - .offset:         8
        .size:           8
        .value_kind:     by_value
      - .actual_access:  read_only
        .address_space:  global
        .offset:         16
        .size:           8
        .value_kind:     global_buffer
      - .actual_access:  read_only
        .address_space:  global
        .offset:         24
        .size:           8
        .value_kind:     global_buffer
      - .actual_access:  read_only
        .address_space:  global
        .offset:         32
        .size:           8
        .value_kind:     global_buffer
      - .actual_access:  read_only
        .address_space:  global
        .offset:         40
        .size:           8
        .value_kind:     global_buffer
      - .offset:         48
        .size:           8
        .value_kind:     by_value
      - .address_space:  global
        .offset:         56
        .size:           8
        .value_kind:     global_buffer
      - .offset:         64
        .size:           4
        .value_kind:     by_value
      - .offset:         68
        .size:           1
        .value_kind:     by_value
    .group_segment_fixed_size: 0
    .kernarg_segment_align: 8
    .kernarg_segment_size: 72
    .language:       OpenCL C
    .language_version:
      - 2
      - 0
    .max_flat_workgroup_size: 128
    .name:           _ZN9rocsparseL19gebsrmvn_2xn_kernelILj128ELj5ELj32E21rocsparse_complex_numIfEEEvi20rocsparse_direction_NS_24const_host_device_scalarIT2_EEPKiS8_PKS5_SA_S6_PS5_21rocsparse_index_base_b
    .private_segment_fixed_size: 0
    .sgpr_count:     18
    .sgpr_spill_count: 0
    .symbol:         _ZN9rocsparseL19gebsrmvn_2xn_kernelILj128ELj5ELj32E21rocsparse_complex_numIfEEEvi20rocsparse_direction_NS_24const_host_device_scalarIT2_EEPKiS8_PKS5_SA_S6_PS5_21rocsparse_index_base_b.kd
    .uniform_work_group_size: 1
    .uses_dynamic_stack: false
    .vgpr_count:     48
    .vgpr_spill_count: 0
    .wavefront_size: 32
    .workgroup_processor_mode: 1
  - .args:
      - .offset:         0
        .size:           4
        .value_kind:     by_value
      - .offset:         4
        .size:           4
        .value_kind:     by_value
      - .offset:         8
        .size:           8
        .value_kind:     by_value
      - .actual_access:  read_only
        .address_space:  global
        .offset:         16
        .size:           8
        .value_kind:     global_buffer
      - .actual_access:  read_only
        .address_space:  global
        .offset:         24
        .size:           8
        .value_kind:     global_buffer
      - .actual_access:  read_only
        .address_space:  global
        .offset:         32
        .size:           8
        .value_kind:     global_buffer
      - .actual_access:  read_only
        .address_space:  global
        .offset:         40
        .size:           8
        .value_kind:     global_buffer
      - .offset:         48
        .size:           8
        .value_kind:     by_value
      - .address_space:  global
        .offset:         56
        .size:           8
        .value_kind:     global_buffer
      - .offset:         64
        .size:           4
        .value_kind:     by_value
      - .offset:         68
        .size:           1
        .value_kind:     by_value
    .group_segment_fixed_size: 0
    .kernarg_segment_align: 8
    .kernarg_segment_size: 72
    .language:       OpenCL C
    .language_version:
      - 2
      - 0
    .max_flat_workgroup_size: 128
    .name:           _ZN9rocsparseL19gebsrmvn_2xn_kernelILj128ELj5ELj64E21rocsparse_complex_numIfEEEvi20rocsparse_direction_NS_24const_host_device_scalarIT2_EEPKiS8_PKS5_SA_S6_PS5_21rocsparse_index_base_b
    .private_segment_fixed_size: 0
    .sgpr_count:     18
    .sgpr_spill_count: 0
    .symbol:         _ZN9rocsparseL19gebsrmvn_2xn_kernelILj128ELj5ELj64E21rocsparse_complex_numIfEEEvi20rocsparse_direction_NS_24const_host_device_scalarIT2_EEPKiS8_PKS5_SA_S6_PS5_21rocsparse_index_base_b.kd
    .uniform_work_group_size: 1
    .uses_dynamic_stack: false
    .vgpr_count:     48
    .vgpr_spill_count: 0
    .wavefront_size: 32
    .workgroup_processor_mode: 1
  - .args:
      - .offset:         0
        .size:           4
        .value_kind:     by_value
      - .offset:         4
        .size:           4
        .value_kind:     by_value
      - .offset:         8
        .size:           8
        .value_kind:     by_value
      - .actual_access:  read_only
        .address_space:  global
        .offset:         16
        .size:           8
        .value_kind:     global_buffer
      - .actual_access:  read_only
        .address_space:  global
        .offset:         24
        .size:           8
        .value_kind:     global_buffer
      - .actual_access:  read_only
        .address_space:  global
        .offset:         32
        .size:           8
        .value_kind:     global_buffer
      - .actual_access:  read_only
        .address_space:  global
        .offset:         40
        .size:           8
        .value_kind:     global_buffer
      - .offset:         48
        .size:           8
        .value_kind:     by_value
      - .address_space:  global
        .offset:         56
        .size:           8
        .value_kind:     global_buffer
      - .offset:         64
        .size:           4
        .value_kind:     by_value
      - .offset:         68
        .size:           1
        .value_kind:     by_value
    .group_segment_fixed_size: 0
    .kernarg_segment_align: 8
    .kernarg_segment_size: 72
    .language:       OpenCL C
    .language_version:
      - 2
      - 0
    .max_flat_workgroup_size: 128
    .name:           _ZN9rocsparseL19gebsrmvn_2xn_kernelILj128ELj6ELj4E21rocsparse_complex_numIfEEEvi20rocsparse_direction_NS_24const_host_device_scalarIT2_EEPKiS8_PKS5_SA_S6_PS5_21rocsparse_index_base_b
    .private_segment_fixed_size: 0
    .sgpr_count:     18
    .sgpr_spill_count: 0
    .symbol:         _ZN9rocsparseL19gebsrmvn_2xn_kernelILj128ELj6ELj4E21rocsparse_complex_numIfEEEvi20rocsparse_direction_NS_24const_host_device_scalarIT2_EEPKiS8_PKS5_SA_S6_PS5_21rocsparse_index_base_b.kd
    .uniform_work_group_size: 1
    .uses_dynamic_stack: false
    .vgpr_count:     54
    .vgpr_spill_count: 0
    .wavefront_size: 32
    .workgroup_processor_mode: 1
  - .args:
      - .offset:         0
        .size:           4
        .value_kind:     by_value
      - .offset:         4
        .size:           4
        .value_kind:     by_value
      - .offset:         8
        .size:           8
        .value_kind:     by_value
      - .actual_access:  read_only
        .address_space:  global
        .offset:         16
        .size:           8
        .value_kind:     global_buffer
      - .actual_access:  read_only
        .address_space:  global
        .offset:         24
        .size:           8
        .value_kind:     global_buffer
      - .actual_access:  read_only
        .address_space:  global
        .offset:         32
        .size:           8
        .value_kind:     global_buffer
      - .actual_access:  read_only
        .address_space:  global
        .offset:         40
        .size:           8
        .value_kind:     global_buffer
      - .offset:         48
        .size:           8
        .value_kind:     by_value
      - .address_space:  global
        .offset:         56
        .size:           8
        .value_kind:     global_buffer
      - .offset:         64
        .size:           4
        .value_kind:     by_value
      - .offset:         68
        .size:           1
        .value_kind:     by_value
    .group_segment_fixed_size: 0
    .kernarg_segment_align: 8
    .kernarg_segment_size: 72
    .language:       OpenCL C
    .language_version:
      - 2
      - 0
    .max_flat_workgroup_size: 128
    .name:           _ZN9rocsparseL19gebsrmvn_2xn_kernelILj128ELj6ELj8E21rocsparse_complex_numIfEEEvi20rocsparse_direction_NS_24const_host_device_scalarIT2_EEPKiS8_PKS5_SA_S6_PS5_21rocsparse_index_base_b
    .private_segment_fixed_size: 0
    .sgpr_count:     18
    .sgpr_spill_count: 0
    .symbol:         _ZN9rocsparseL19gebsrmvn_2xn_kernelILj128ELj6ELj8E21rocsparse_complex_numIfEEEvi20rocsparse_direction_NS_24const_host_device_scalarIT2_EEPKiS8_PKS5_SA_S6_PS5_21rocsparse_index_base_b.kd
    .uniform_work_group_size: 1
    .uses_dynamic_stack: false
    .vgpr_count:     54
    .vgpr_spill_count: 0
    .wavefront_size: 32
    .workgroup_processor_mode: 1
  - .args:
      - .offset:         0
        .size:           4
        .value_kind:     by_value
      - .offset:         4
        .size:           4
        .value_kind:     by_value
      - .offset:         8
        .size:           8
        .value_kind:     by_value
      - .actual_access:  read_only
        .address_space:  global
        .offset:         16
        .size:           8
        .value_kind:     global_buffer
      - .actual_access:  read_only
        .address_space:  global
        .offset:         24
        .size:           8
        .value_kind:     global_buffer
      - .actual_access:  read_only
        .address_space:  global
        .offset:         32
        .size:           8
        .value_kind:     global_buffer
      - .actual_access:  read_only
        .address_space:  global
        .offset:         40
        .size:           8
        .value_kind:     global_buffer
      - .offset:         48
        .size:           8
        .value_kind:     by_value
      - .address_space:  global
        .offset:         56
        .size:           8
        .value_kind:     global_buffer
      - .offset:         64
        .size:           4
        .value_kind:     by_value
      - .offset:         68
        .size:           1
        .value_kind:     by_value
    .group_segment_fixed_size: 0
    .kernarg_segment_align: 8
    .kernarg_segment_size: 72
    .language:       OpenCL C
    .language_version:
      - 2
      - 0
    .max_flat_workgroup_size: 128
    .name:           _ZN9rocsparseL19gebsrmvn_2xn_kernelILj128ELj6ELj16E21rocsparse_complex_numIfEEEvi20rocsparse_direction_NS_24const_host_device_scalarIT2_EEPKiS8_PKS5_SA_S6_PS5_21rocsparse_index_base_b
    .private_segment_fixed_size: 0
    .sgpr_count:     18
    .sgpr_spill_count: 0
    .symbol:         _ZN9rocsparseL19gebsrmvn_2xn_kernelILj128ELj6ELj16E21rocsparse_complex_numIfEEEvi20rocsparse_direction_NS_24const_host_device_scalarIT2_EEPKiS8_PKS5_SA_S6_PS5_21rocsparse_index_base_b.kd
    .uniform_work_group_size: 1
    .uses_dynamic_stack: false
    .vgpr_count:     54
    .vgpr_spill_count: 0
    .wavefront_size: 32
    .workgroup_processor_mode: 1
  - .args:
      - .offset:         0
        .size:           4
        .value_kind:     by_value
      - .offset:         4
        .size:           4
        .value_kind:     by_value
      - .offset:         8
        .size:           8
        .value_kind:     by_value
      - .actual_access:  read_only
        .address_space:  global
        .offset:         16
        .size:           8
        .value_kind:     global_buffer
      - .actual_access:  read_only
        .address_space:  global
        .offset:         24
        .size:           8
        .value_kind:     global_buffer
      - .actual_access:  read_only
        .address_space:  global
        .offset:         32
        .size:           8
        .value_kind:     global_buffer
      - .actual_access:  read_only
        .address_space:  global
        .offset:         40
        .size:           8
        .value_kind:     global_buffer
      - .offset:         48
        .size:           8
        .value_kind:     by_value
      - .address_space:  global
        .offset:         56
        .size:           8
        .value_kind:     global_buffer
      - .offset:         64
        .size:           4
        .value_kind:     by_value
      - .offset:         68
        .size:           1
        .value_kind:     by_value
    .group_segment_fixed_size: 0
    .kernarg_segment_align: 8
    .kernarg_segment_size: 72
    .language:       OpenCL C
    .language_version:
      - 2
      - 0
    .max_flat_workgroup_size: 128
    .name:           _ZN9rocsparseL19gebsrmvn_2xn_kernelILj128ELj6ELj32E21rocsparse_complex_numIfEEEvi20rocsparse_direction_NS_24const_host_device_scalarIT2_EEPKiS8_PKS5_SA_S6_PS5_21rocsparse_index_base_b
    .private_segment_fixed_size: 0
    .sgpr_count:     18
    .sgpr_spill_count: 0
    .symbol:         _ZN9rocsparseL19gebsrmvn_2xn_kernelILj128ELj6ELj32E21rocsparse_complex_numIfEEEvi20rocsparse_direction_NS_24const_host_device_scalarIT2_EEPKiS8_PKS5_SA_S6_PS5_21rocsparse_index_base_b.kd
    .uniform_work_group_size: 1
    .uses_dynamic_stack: false
    .vgpr_count:     54
    .vgpr_spill_count: 0
    .wavefront_size: 32
    .workgroup_processor_mode: 1
  - .args:
      - .offset:         0
        .size:           4
        .value_kind:     by_value
      - .offset:         4
        .size:           4
        .value_kind:     by_value
      - .offset:         8
        .size:           8
        .value_kind:     by_value
      - .actual_access:  read_only
        .address_space:  global
        .offset:         16
        .size:           8
        .value_kind:     global_buffer
      - .actual_access:  read_only
        .address_space:  global
        .offset:         24
        .size:           8
        .value_kind:     global_buffer
      - .actual_access:  read_only
        .address_space:  global
        .offset:         32
        .size:           8
        .value_kind:     global_buffer
      - .actual_access:  read_only
        .address_space:  global
        .offset:         40
        .size:           8
        .value_kind:     global_buffer
      - .offset:         48
        .size:           8
        .value_kind:     by_value
      - .address_space:  global
        .offset:         56
        .size:           8
        .value_kind:     global_buffer
      - .offset:         64
        .size:           4
        .value_kind:     by_value
      - .offset:         68
        .size:           1
        .value_kind:     by_value
    .group_segment_fixed_size: 0
    .kernarg_segment_align: 8
    .kernarg_segment_size: 72
    .language:       OpenCL C
    .language_version:
      - 2
      - 0
    .max_flat_workgroup_size: 128
    .name:           _ZN9rocsparseL19gebsrmvn_2xn_kernelILj128ELj6ELj64E21rocsparse_complex_numIfEEEvi20rocsparse_direction_NS_24const_host_device_scalarIT2_EEPKiS8_PKS5_SA_S6_PS5_21rocsparse_index_base_b
    .private_segment_fixed_size: 0
    .sgpr_count:     18
    .sgpr_spill_count: 0
    .symbol:         _ZN9rocsparseL19gebsrmvn_2xn_kernelILj128ELj6ELj64E21rocsparse_complex_numIfEEEvi20rocsparse_direction_NS_24const_host_device_scalarIT2_EEPKiS8_PKS5_SA_S6_PS5_21rocsparse_index_base_b.kd
    .uniform_work_group_size: 1
    .uses_dynamic_stack: false
    .vgpr_count:     54
    .vgpr_spill_count: 0
    .wavefront_size: 32
    .workgroup_processor_mode: 1
  - .args:
      - .offset:         0
        .size:           4
        .value_kind:     by_value
      - .offset:         4
        .size:           4
        .value_kind:     by_value
      - .offset:         8
        .size:           8
        .value_kind:     by_value
      - .actual_access:  read_only
        .address_space:  global
        .offset:         16
        .size:           8
        .value_kind:     global_buffer
      - .actual_access:  read_only
        .address_space:  global
        .offset:         24
        .size:           8
        .value_kind:     global_buffer
      - .actual_access:  read_only
        .address_space:  global
        .offset:         32
        .size:           8
        .value_kind:     global_buffer
      - .actual_access:  read_only
        .address_space:  global
        .offset:         40
        .size:           8
        .value_kind:     global_buffer
      - .offset:         48
        .size:           8
        .value_kind:     by_value
      - .address_space:  global
        .offset:         56
        .size:           8
        .value_kind:     global_buffer
      - .offset:         64
        .size:           4
        .value_kind:     by_value
      - .offset:         68
        .size:           1
        .value_kind:     by_value
    .group_segment_fixed_size: 0
    .kernarg_segment_align: 8
    .kernarg_segment_size: 72
    .language:       OpenCL C
    .language_version:
      - 2
      - 0
    .max_flat_workgroup_size: 128
    .name:           _ZN9rocsparseL19gebsrmvn_2xn_kernelILj128ELj7ELj4E21rocsparse_complex_numIfEEEvi20rocsparse_direction_NS_24const_host_device_scalarIT2_EEPKiS8_PKS5_SA_S6_PS5_21rocsparse_index_base_b
    .private_segment_fixed_size: 0
    .sgpr_count:     18
    .sgpr_spill_count: 0
    .symbol:         _ZN9rocsparseL19gebsrmvn_2xn_kernelILj128ELj7ELj4E21rocsparse_complex_numIfEEEvi20rocsparse_direction_NS_24const_host_device_scalarIT2_EEPKiS8_PKS5_SA_S6_PS5_21rocsparse_index_base_b.kd
    .uniform_work_group_size: 1
    .uses_dynamic_stack: false
    .vgpr_count:     60
    .vgpr_spill_count: 0
    .wavefront_size: 32
    .workgroup_processor_mode: 1
  - .args:
      - .offset:         0
        .size:           4
        .value_kind:     by_value
      - .offset:         4
        .size:           4
        .value_kind:     by_value
      - .offset:         8
        .size:           8
        .value_kind:     by_value
      - .actual_access:  read_only
        .address_space:  global
        .offset:         16
        .size:           8
        .value_kind:     global_buffer
      - .actual_access:  read_only
        .address_space:  global
        .offset:         24
        .size:           8
        .value_kind:     global_buffer
      - .actual_access:  read_only
        .address_space:  global
        .offset:         32
        .size:           8
        .value_kind:     global_buffer
      - .actual_access:  read_only
        .address_space:  global
        .offset:         40
        .size:           8
        .value_kind:     global_buffer
      - .offset:         48
        .size:           8
        .value_kind:     by_value
      - .address_space:  global
        .offset:         56
        .size:           8
        .value_kind:     global_buffer
      - .offset:         64
        .size:           4
        .value_kind:     by_value
      - .offset:         68
        .size:           1
        .value_kind:     by_value
    .group_segment_fixed_size: 0
    .kernarg_segment_align: 8
    .kernarg_segment_size: 72
    .language:       OpenCL C
    .language_version:
      - 2
      - 0
    .max_flat_workgroup_size: 128
    .name:           _ZN9rocsparseL19gebsrmvn_2xn_kernelILj128ELj7ELj8E21rocsparse_complex_numIfEEEvi20rocsparse_direction_NS_24const_host_device_scalarIT2_EEPKiS8_PKS5_SA_S6_PS5_21rocsparse_index_base_b
    .private_segment_fixed_size: 0
    .sgpr_count:     18
    .sgpr_spill_count: 0
    .symbol:         _ZN9rocsparseL19gebsrmvn_2xn_kernelILj128ELj7ELj8E21rocsparse_complex_numIfEEEvi20rocsparse_direction_NS_24const_host_device_scalarIT2_EEPKiS8_PKS5_SA_S6_PS5_21rocsparse_index_base_b.kd
    .uniform_work_group_size: 1
    .uses_dynamic_stack: false
    .vgpr_count:     60
    .vgpr_spill_count: 0
    .wavefront_size: 32
    .workgroup_processor_mode: 1
  - .args:
      - .offset:         0
        .size:           4
        .value_kind:     by_value
      - .offset:         4
        .size:           4
        .value_kind:     by_value
      - .offset:         8
        .size:           8
        .value_kind:     by_value
      - .actual_access:  read_only
        .address_space:  global
        .offset:         16
        .size:           8
        .value_kind:     global_buffer
      - .actual_access:  read_only
        .address_space:  global
        .offset:         24
        .size:           8
        .value_kind:     global_buffer
      - .actual_access:  read_only
        .address_space:  global
        .offset:         32
        .size:           8
        .value_kind:     global_buffer
      - .actual_access:  read_only
        .address_space:  global
        .offset:         40
        .size:           8
        .value_kind:     global_buffer
      - .offset:         48
        .size:           8
        .value_kind:     by_value
      - .address_space:  global
        .offset:         56
        .size:           8
        .value_kind:     global_buffer
      - .offset:         64
        .size:           4
        .value_kind:     by_value
      - .offset:         68
        .size:           1
        .value_kind:     by_value
    .group_segment_fixed_size: 0
    .kernarg_segment_align: 8
    .kernarg_segment_size: 72
    .language:       OpenCL C
    .language_version:
      - 2
      - 0
    .max_flat_workgroup_size: 128
    .name:           _ZN9rocsparseL19gebsrmvn_2xn_kernelILj128ELj7ELj16E21rocsparse_complex_numIfEEEvi20rocsparse_direction_NS_24const_host_device_scalarIT2_EEPKiS8_PKS5_SA_S6_PS5_21rocsparse_index_base_b
    .private_segment_fixed_size: 0
    .sgpr_count:     18
    .sgpr_spill_count: 0
    .symbol:         _ZN9rocsparseL19gebsrmvn_2xn_kernelILj128ELj7ELj16E21rocsparse_complex_numIfEEEvi20rocsparse_direction_NS_24const_host_device_scalarIT2_EEPKiS8_PKS5_SA_S6_PS5_21rocsparse_index_base_b.kd
    .uniform_work_group_size: 1
    .uses_dynamic_stack: false
    .vgpr_count:     60
    .vgpr_spill_count: 0
    .wavefront_size: 32
    .workgroup_processor_mode: 1
  - .args:
      - .offset:         0
        .size:           4
        .value_kind:     by_value
      - .offset:         4
        .size:           4
        .value_kind:     by_value
      - .offset:         8
        .size:           8
        .value_kind:     by_value
      - .actual_access:  read_only
        .address_space:  global
        .offset:         16
        .size:           8
        .value_kind:     global_buffer
      - .actual_access:  read_only
        .address_space:  global
        .offset:         24
        .size:           8
        .value_kind:     global_buffer
      - .actual_access:  read_only
        .address_space:  global
        .offset:         32
        .size:           8
        .value_kind:     global_buffer
      - .actual_access:  read_only
        .address_space:  global
        .offset:         40
        .size:           8
        .value_kind:     global_buffer
      - .offset:         48
        .size:           8
        .value_kind:     by_value
      - .address_space:  global
        .offset:         56
        .size:           8
        .value_kind:     global_buffer
      - .offset:         64
        .size:           4
        .value_kind:     by_value
      - .offset:         68
        .size:           1
        .value_kind:     by_value
    .group_segment_fixed_size: 0
    .kernarg_segment_align: 8
    .kernarg_segment_size: 72
    .language:       OpenCL C
    .language_version:
      - 2
      - 0
    .max_flat_workgroup_size: 128
    .name:           _ZN9rocsparseL19gebsrmvn_2xn_kernelILj128ELj7ELj32E21rocsparse_complex_numIfEEEvi20rocsparse_direction_NS_24const_host_device_scalarIT2_EEPKiS8_PKS5_SA_S6_PS5_21rocsparse_index_base_b
    .private_segment_fixed_size: 0
    .sgpr_count:     18
    .sgpr_spill_count: 0
    .symbol:         _ZN9rocsparseL19gebsrmvn_2xn_kernelILj128ELj7ELj32E21rocsparse_complex_numIfEEEvi20rocsparse_direction_NS_24const_host_device_scalarIT2_EEPKiS8_PKS5_SA_S6_PS5_21rocsparse_index_base_b.kd
    .uniform_work_group_size: 1
    .uses_dynamic_stack: false
    .vgpr_count:     60
    .vgpr_spill_count: 0
    .wavefront_size: 32
    .workgroup_processor_mode: 1
  - .args:
      - .offset:         0
        .size:           4
        .value_kind:     by_value
      - .offset:         4
        .size:           4
        .value_kind:     by_value
      - .offset:         8
        .size:           8
        .value_kind:     by_value
      - .actual_access:  read_only
        .address_space:  global
        .offset:         16
        .size:           8
        .value_kind:     global_buffer
      - .actual_access:  read_only
        .address_space:  global
        .offset:         24
        .size:           8
        .value_kind:     global_buffer
      - .actual_access:  read_only
        .address_space:  global
        .offset:         32
        .size:           8
        .value_kind:     global_buffer
      - .actual_access:  read_only
        .address_space:  global
        .offset:         40
        .size:           8
        .value_kind:     global_buffer
      - .offset:         48
        .size:           8
        .value_kind:     by_value
      - .address_space:  global
        .offset:         56
        .size:           8
        .value_kind:     global_buffer
      - .offset:         64
        .size:           4
        .value_kind:     by_value
      - .offset:         68
        .size:           1
        .value_kind:     by_value
    .group_segment_fixed_size: 0
    .kernarg_segment_align: 8
    .kernarg_segment_size: 72
    .language:       OpenCL C
    .language_version:
      - 2
      - 0
    .max_flat_workgroup_size: 128
    .name:           _ZN9rocsparseL19gebsrmvn_2xn_kernelILj128ELj7ELj64E21rocsparse_complex_numIfEEEvi20rocsparse_direction_NS_24const_host_device_scalarIT2_EEPKiS8_PKS5_SA_S6_PS5_21rocsparse_index_base_b
    .private_segment_fixed_size: 0
    .sgpr_count:     18
    .sgpr_spill_count: 0
    .symbol:         _ZN9rocsparseL19gebsrmvn_2xn_kernelILj128ELj7ELj64E21rocsparse_complex_numIfEEEvi20rocsparse_direction_NS_24const_host_device_scalarIT2_EEPKiS8_PKS5_SA_S6_PS5_21rocsparse_index_base_b.kd
    .uniform_work_group_size: 1
    .uses_dynamic_stack: false
    .vgpr_count:     60
    .vgpr_spill_count: 0
    .wavefront_size: 32
    .workgroup_processor_mode: 1
  - .args:
      - .offset:         0
        .size:           4
        .value_kind:     by_value
      - .offset:         4
        .size:           4
        .value_kind:     by_value
      - .offset:         8
        .size:           8
        .value_kind:     by_value
      - .actual_access:  read_only
        .address_space:  global
        .offset:         16
        .size:           8
        .value_kind:     global_buffer
      - .actual_access:  read_only
        .address_space:  global
        .offset:         24
        .size:           8
        .value_kind:     global_buffer
      - .actual_access:  read_only
        .address_space:  global
        .offset:         32
        .size:           8
        .value_kind:     global_buffer
      - .actual_access:  read_only
        .address_space:  global
        .offset:         40
        .size:           8
        .value_kind:     global_buffer
      - .offset:         48
        .size:           8
        .value_kind:     by_value
      - .address_space:  global
        .offset:         56
        .size:           8
        .value_kind:     global_buffer
      - .offset:         64
        .size:           4
        .value_kind:     by_value
      - .offset:         68
        .size:           1
        .value_kind:     by_value
    .group_segment_fixed_size: 0
    .kernarg_segment_align: 8
    .kernarg_segment_size: 72
    .language:       OpenCL C
    .language_version:
      - 2
      - 0
    .max_flat_workgroup_size: 128
    .name:           _ZN9rocsparseL19gebsrmvn_2xn_kernelILj128ELj8ELj4E21rocsparse_complex_numIfEEEvi20rocsparse_direction_NS_24const_host_device_scalarIT2_EEPKiS8_PKS5_SA_S6_PS5_21rocsparse_index_base_b
    .private_segment_fixed_size: 0
    .sgpr_count:     18
    .sgpr_spill_count: 0
    .symbol:         _ZN9rocsparseL19gebsrmvn_2xn_kernelILj128ELj8ELj4E21rocsparse_complex_numIfEEEvi20rocsparse_direction_NS_24const_host_device_scalarIT2_EEPKiS8_PKS5_SA_S6_PS5_21rocsparse_index_base_b.kd
    .uniform_work_group_size: 1
    .uses_dynamic_stack: false
    .vgpr_count:     64
    .vgpr_spill_count: 0
    .wavefront_size: 32
    .workgroup_processor_mode: 1
  - .args:
      - .offset:         0
        .size:           4
        .value_kind:     by_value
      - .offset:         4
        .size:           4
        .value_kind:     by_value
      - .offset:         8
        .size:           8
        .value_kind:     by_value
      - .actual_access:  read_only
        .address_space:  global
        .offset:         16
        .size:           8
        .value_kind:     global_buffer
      - .actual_access:  read_only
        .address_space:  global
        .offset:         24
        .size:           8
        .value_kind:     global_buffer
      - .actual_access:  read_only
        .address_space:  global
        .offset:         32
        .size:           8
        .value_kind:     global_buffer
      - .actual_access:  read_only
        .address_space:  global
        .offset:         40
        .size:           8
        .value_kind:     global_buffer
      - .offset:         48
        .size:           8
        .value_kind:     by_value
      - .address_space:  global
        .offset:         56
        .size:           8
        .value_kind:     global_buffer
      - .offset:         64
        .size:           4
        .value_kind:     by_value
      - .offset:         68
        .size:           1
        .value_kind:     by_value
    .group_segment_fixed_size: 0
    .kernarg_segment_align: 8
    .kernarg_segment_size: 72
    .language:       OpenCL C
    .language_version:
      - 2
      - 0
    .max_flat_workgroup_size: 128
    .name:           _ZN9rocsparseL19gebsrmvn_2xn_kernelILj128ELj8ELj8E21rocsparse_complex_numIfEEEvi20rocsparse_direction_NS_24const_host_device_scalarIT2_EEPKiS8_PKS5_SA_S6_PS5_21rocsparse_index_base_b
    .private_segment_fixed_size: 0
    .sgpr_count:     18
    .sgpr_spill_count: 0
    .symbol:         _ZN9rocsparseL19gebsrmvn_2xn_kernelILj128ELj8ELj8E21rocsparse_complex_numIfEEEvi20rocsparse_direction_NS_24const_host_device_scalarIT2_EEPKiS8_PKS5_SA_S6_PS5_21rocsparse_index_base_b.kd
    .uniform_work_group_size: 1
    .uses_dynamic_stack: false
    .vgpr_count:     64
    .vgpr_spill_count: 0
    .wavefront_size: 32
    .workgroup_processor_mode: 1
  - .args:
      - .offset:         0
        .size:           4
        .value_kind:     by_value
      - .offset:         4
        .size:           4
        .value_kind:     by_value
      - .offset:         8
        .size:           8
        .value_kind:     by_value
      - .actual_access:  read_only
        .address_space:  global
        .offset:         16
        .size:           8
        .value_kind:     global_buffer
      - .actual_access:  read_only
        .address_space:  global
        .offset:         24
        .size:           8
        .value_kind:     global_buffer
      - .actual_access:  read_only
        .address_space:  global
        .offset:         32
        .size:           8
        .value_kind:     global_buffer
      - .actual_access:  read_only
        .address_space:  global
        .offset:         40
        .size:           8
        .value_kind:     global_buffer
      - .offset:         48
        .size:           8
        .value_kind:     by_value
      - .address_space:  global
        .offset:         56
        .size:           8
        .value_kind:     global_buffer
      - .offset:         64
        .size:           4
        .value_kind:     by_value
      - .offset:         68
        .size:           1
        .value_kind:     by_value
    .group_segment_fixed_size: 0
    .kernarg_segment_align: 8
    .kernarg_segment_size: 72
    .language:       OpenCL C
    .language_version:
      - 2
      - 0
    .max_flat_workgroup_size: 128
    .name:           _ZN9rocsparseL19gebsrmvn_2xn_kernelILj128ELj8ELj16E21rocsparse_complex_numIfEEEvi20rocsparse_direction_NS_24const_host_device_scalarIT2_EEPKiS8_PKS5_SA_S6_PS5_21rocsparse_index_base_b
    .private_segment_fixed_size: 0
    .sgpr_count:     18
    .sgpr_spill_count: 0
    .symbol:         _ZN9rocsparseL19gebsrmvn_2xn_kernelILj128ELj8ELj16E21rocsparse_complex_numIfEEEvi20rocsparse_direction_NS_24const_host_device_scalarIT2_EEPKiS8_PKS5_SA_S6_PS5_21rocsparse_index_base_b.kd
    .uniform_work_group_size: 1
    .uses_dynamic_stack: false
    .vgpr_count:     64
    .vgpr_spill_count: 0
    .wavefront_size: 32
    .workgroup_processor_mode: 1
  - .args:
      - .offset:         0
        .size:           4
        .value_kind:     by_value
      - .offset:         4
        .size:           4
        .value_kind:     by_value
      - .offset:         8
        .size:           8
        .value_kind:     by_value
      - .actual_access:  read_only
        .address_space:  global
        .offset:         16
        .size:           8
        .value_kind:     global_buffer
      - .actual_access:  read_only
        .address_space:  global
        .offset:         24
        .size:           8
        .value_kind:     global_buffer
      - .actual_access:  read_only
        .address_space:  global
        .offset:         32
        .size:           8
        .value_kind:     global_buffer
      - .actual_access:  read_only
        .address_space:  global
        .offset:         40
        .size:           8
        .value_kind:     global_buffer
      - .offset:         48
        .size:           8
        .value_kind:     by_value
      - .address_space:  global
        .offset:         56
        .size:           8
        .value_kind:     global_buffer
      - .offset:         64
        .size:           4
        .value_kind:     by_value
      - .offset:         68
        .size:           1
        .value_kind:     by_value
    .group_segment_fixed_size: 0
    .kernarg_segment_align: 8
    .kernarg_segment_size: 72
    .language:       OpenCL C
    .language_version:
      - 2
      - 0
    .max_flat_workgroup_size: 128
    .name:           _ZN9rocsparseL19gebsrmvn_2xn_kernelILj128ELj8ELj32E21rocsparse_complex_numIfEEEvi20rocsparse_direction_NS_24const_host_device_scalarIT2_EEPKiS8_PKS5_SA_S6_PS5_21rocsparse_index_base_b
    .private_segment_fixed_size: 0
    .sgpr_count:     18
    .sgpr_spill_count: 0
    .symbol:         _ZN9rocsparseL19gebsrmvn_2xn_kernelILj128ELj8ELj32E21rocsparse_complex_numIfEEEvi20rocsparse_direction_NS_24const_host_device_scalarIT2_EEPKiS8_PKS5_SA_S6_PS5_21rocsparse_index_base_b.kd
    .uniform_work_group_size: 1
    .uses_dynamic_stack: false
    .vgpr_count:     64
    .vgpr_spill_count: 0
    .wavefront_size: 32
    .workgroup_processor_mode: 1
  - .args:
      - .offset:         0
        .size:           4
        .value_kind:     by_value
      - .offset:         4
        .size:           4
        .value_kind:     by_value
      - .offset:         8
        .size:           8
        .value_kind:     by_value
      - .actual_access:  read_only
        .address_space:  global
        .offset:         16
        .size:           8
        .value_kind:     global_buffer
      - .actual_access:  read_only
        .address_space:  global
        .offset:         24
        .size:           8
        .value_kind:     global_buffer
      - .actual_access:  read_only
        .address_space:  global
        .offset:         32
        .size:           8
        .value_kind:     global_buffer
      - .actual_access:  read_only
        .address_space:  global
        .offset:         40
        .size:           8
        .value_kind:     global_buffer
      - .offset:         48
        .size:           8
        .value_kind:     by_value
      - .address_space:  global
        .offset:         56
        .size:           8
        .value_kind:     global_buffer
      - .offset:         64
        .size:           4
        .value_kind:     by_value
      - .offset:         68
        .size:           1
        .value_kind:     by_value
    .group_segment_fixed_size: 0
    .kernarg_segment_align: 8
    .kernarg_segment_size: 72
    .language:       OpenCL C
    .language_version:
      - 2
      - 0
    .max_flat_workgroup_size: 128
    .name:           _ZN9rocsparseL19gebsrmvn_2xn_kernelILj128ELj8ELj64E21rocsparse_complex_numIfEEEvi20rocsparse_direction_NS_24const_host_device_scalarIT2_EEPKiS8_PKS5_SA_S6_PS5_21rocsparse_index_base_b
    .private_segment_fixed_size: 0
    .sgpr_count:     18
    .sgpr_spill_count: 0
    .symbol:         _ZN9rocsparseL19gebsrmvn_2xn_kernelILj128ELj8ELj64E21rocsparse_complex_numIfEEEvi20rocsparse_direction_NS_24const_host_device_scalarIT2_EEPKiS8_PKS5_SA_S6_PS5_21rocsparse_index_base_b.kd
    .uniform_work_group_size: 1
    .uses_dynamic_stack: false
    .vgpr_count:     64
    .vgpr_spill_count: 0
    .wavefront_size: 32
    .workgroup_processor_mode: 1
  - .args:
      - .offset:         0
        .size:           4
        .value_kind:     by_value
      - .offset:         4
        .size:           4
        .value_kind:     by_value
      - .offset:         8
        .size:           8
        .value_kind:     by_value
      - .actual_access:  read_only
        .address_space:  global
        .offset:         16
        .size:           8
        .value_kind:     global_buffer
      - .actual_access:  read_only
        .address_space:  global
        .offset:         24
        .size:           8
        .value_kind:     global_buffer
      - .actual_access:  read_only
        .address_space:  global
        .offset:         32
        .size:           8
        .value_kind:     global_buffer
      - .actual_access:  read_only
        .address_space:  global
        .offset:         40
        .size:           8
        .value_kind:     global_buffer
      - .offset:         48
        .size:           8
        .value_kind:     by_value
      - .address_space:  global
        .offset:         56
        .size:           8
        .value_kind:     global_buffer
      - .offset:         64
        .size:           4
        .value_kind:     by_value
      - .offset:         68
        .size:           1
        .value_kind:     by_value
    .group_segment_fixed_size: 0
    .kernarg_segment_align: 8
    .kernarg_segment_size: 72
    .language:       OpenCL C
    .language_version:
      - 2
      - 0
    .max_flat_workgroup_size: 128
    .name:           _ZN9rocsparseL19gebsrmvn_2xn_kernelILj128ELj9ELj4E21rocsparse_complex_numIfEEEvi20rocsparse_direction_NS_24const_host_device_scalarIT2_EEPKiS8_PKS5_SA_S6_PS5_21rocsparse_index_base_b
    .private_segment_fixed_size: 0
    .sgpr_count:     18
    .sgpr_spill_count: 0
    .symbol:         _ZN9rocsparseL19gebsrmvn_2xn_kernelILj128ELj9ELj4E21rocsparse_complex_numIfEEEvi20rocsparse_direction_NS_24const_host_device_scalarIT2_EEPKiS8_PKS5_SA_S6_PS5_21rocsparse_index_base_b.kd
    .uniform_work_group_size: 1
    .uses_dynamic_stack: false
    .vgpr_count:     69
    .vgpr_spill_count: 0
    .wavefront_size: 32
    .workgroup_processor_mode: 1
  - .args:
      - .offset:         0
        .size:           4
        .value_kind:     by_value
      - .offset:         4
        .size:           4
        .value_kind:     by_value
      - .offset:         8
        .size:           8
        .value_kind:     by_value
      - .actual_access:  read_only
        .address_space:  global
        .offset:         16
        .size:           8
        .value_kind:     global_buffer
      - .actual_access:  read_only
        .address_space:  global
        .offset:         24
        .size:           8
        .value_kind:     global_buffer
      - .actual_access:  read_only
        .address_space:  global
        .offset:         32
        .size:           8
        .value_kind:     global_buffer
      - .actual_access:  read_only
        .address_space:  global
        .offset:         40
        .size:           8
        .value_kind:     global_buffer
      - .offset:         48
        .size:           8
        .value_kind:     by_value
      - .address_space:  global
        .offset:         56
        .size:           8
        .value_kind:     global_buffer
      - .offset:         64
        .size:           4
        .value_kind:     by_value
      - .offset:         68
        .size:           1
        .value_kind:     by_value
    .group_segment_fixed_size: 0
    .kernarg_segment_align: 8
    .kernarg_segment_size: 72
    .language:       OpenCL C
    .language_version:
      - 2
      - 0
    .max_flat_workgroup_size: 128
    .name:           _ZN9rocsparseL19gebsrmvn_2xn_kernelILj128ELj9ELj8E21rocsparse_complex_numIfEEEvi20rocsparse_direction_NS_24const_host_device_scalarIT2_EEPKiS8_PKS5_SA_S6_PS5_21rocsparse_index_base_b
    .private_segment_fixed_size: 0
    .sgpr_count:     18
    .sgpr_spill_count: 0
    .symbol:         _ZN9rocsparseL19gebsrmvn_2xn_kernelILj128ELj9ELj8E21rocsparse_complex_numIfEEEvi20rocsparse_direction_NS_24const_host_device_scalarIT2_EEPKiS8_PKS5_SA_S6_PS5_21rocsparse_index_base_b.kd
    .uniform_work_group_size: 1
    .uses_dynamic_stack: false
    .vgpr_count:     69
    .vgpr_spill_count: 0
    .wavefront_size: 32
    .workgroup_processor_mode: 1
  - .args:
      - .offset:         0
        .size:           4
        .value_kind:     by_value
      - .offset:         4
        .size:           4
        .value_kind:     by_value
      - .offset:         8
        .size:           8
        .value_kind:     by_value
      - .actual_access:  read_only
        .address_space:  global
        .offset:         16
        .size:           8
        .value_kind:     global_buffer
      - .actual_access:  read_only
        .address_space:  global
        .offset:         24
        .size:           8
        .value_kind:     global_buffer
      - .actual_access:  read_only
        .address_space:  global
        .offset:         32
        .size:           8
        .value_kind:     global_buffer
      - .actual_access:  read_only
        .address_space:  global
        .offset:         40
        .size:           8
        .value_kind:     global_buffer
      - .offset:         48
        .size:           8
        .value_kind:     by_value
      - .address_space:  global
        .offset:         56
        .size:           8
        .value_kind:     global_buffer
      - .offset:         64
        .size:           4
        .value_kind:     by_value
      - .offset:         68
        .size:           1
        .value_kind:     by_value
    .group_segment_fixed_size: 0
    .kernarg_segment_align: 8
    .kernarg_segment_size: 72
    .language:       OpenCL C
    .language_version:
      - 2
      - 0
    .max_flat_workgroup_size: 128
    .name:           _ZN9rocsparseL19gebsrmvn_2xn_kernelILj128ELj9ELj16E21rocsparse_complex_numIfEEEvi20rocsparse_direction_NS_24const_host_device_scalarIT2_EEPKiS8_PKS5_SA_S6_PS5_21rocsparse_index_base_b
    .private_segment_fixed_size: 0
    .sgpr_count:     18
    .sgpr_spill_count: 0
    .symbol:         _ZN9rocsparseL19gebsrmvn_2xn_kernelILj128ELj9ELj16E21rocsparse_complex_numIfEEEvi20rocsparse_direction_NS_24const_host_device_scalarIT2_EEPKiS8_PKS5_SA_S6_PS5_21rocsparse_index_base_b.kd
    .uniform_work_group_size: 1
    .uses_dynamic_stack: false
    .vgpr_count:     69
    .vgpr_spill_count: 0
    .wavefront_size: 32
    .workgroup_processor_mode: 1
  - .args:
      - .offset:         0
        .size:           4
        .value_kind:     by_value
      - .offset:         4
        .size:           4
        .value_kind:     by_value
      - .offset:         8
        .size:           8
        .value_kind:     by_value
      - .actual_access:  read_only
        .address_space:  global
        .offset:         16
        .size:           8
        .value_kind:     global_buffer
      - .actual_access:  read_only
        .address_space:  global
        .offset:         24
        .size:           8
        .value_kind:     global_buffer
      - .actual_access:  read_only
        .address_space:  global
        .offset:         32
        .size:           8
        .value_kind:     global_buffer
      - .actual_access:  read_only
        .address_space:  global
        .offset:         40
        .size:           8
        .value_kind:     global_buffer
      - .offset:         48
        .size:           8
        .value_kind:     by_value
      - .address_space:  global
        .offset:         56
        .size:           8
        .value_kind:     global_buffer
      - .offset:         64
        .size:           4
        .value_kind:     by_value
      - .offset:         68
        .size:           1
        .value_kind:     by_value
    .group_segment_fixed_size: 0
    .kernarg_segment_align: 8
    .kernarg_segment_size: 72
    .language:       OpenCL C
    .language_version:
      - 2
      - 0
    .max_flat_workgroup_size: 128
    .name:           _ZN9rocsparseL19gebsrmvn_2xn_kernelILj128ELj9ELj32E21rocsparse_complex_numIfEEEvi20rocsparse_direction_NS_24const_host_device_scalarIT2_EEPKiS8_PKS5_SA_S6_PS5_21rocsparse_index_base_b
    .private_segment_fixed_size: 0
    .sgpr_count:     18
    .sgpr_spill_count: 0
    .symbol:         _ZN9rocsparseL19gebsrmvn_2xn_kernelILj128ELj9ELj32E21rocsparse_complex_numIfEEEvi20rocsparse_direction_NS_24const_host_device_scalarIT2_EEPKiS8_PKS5_SA_S6_PS5_21rocsparse_index_base_b.kd
    .uniform_work_group_size: 1
    .uses_dynamic_stack: false
    .vgpr_count:     69
    .vgpr_spill_count: 0
    .wavefront_size: 32
    .workgroup_processor_mode: 1
  - .args:
      - .offset:         0
        .size:           4
        .value_kind:     by_value
      - .offset:         4
        .size:           4
        .value_kind:     by_value
      - .offset:         8
        .size:           8
        .value_kind:     by_value
      - .actual_access:  read_only
        .address_space:  global
        .offset:         16
        .size:           8
        .value_kind:     global_buffer
      - .actual_access:  read_only
        .address_space:  global
        .offset:         24
        .size:           8
        .value_kind:     global_buffer
      - .actual_access:  read_only
        .address_space:  global
        .offset:         32
        .size:           8
        .value_kind:     global_buffer
      - .actual_access:  read_only
        .address_space:  global
        .offset:         40
        .size:           8
        .value_kind:     global_buffer
      - .offset:         48
        .size:           8
        .value_kind:     by_value
      - .address_space:  global
        .offset:         56
        .size:           8
        .value_kind:     global_buffer
      - .offset:         64
        .size:           4
        .value_kind:     by_value
      - .offset:         68
        .size:           1
        .value_kind:     by_value
    .group_segment_fixed_size: 0
    .kernarg_segment_align: 8
    .kernarg_segment_size: 72
    .language:       OpenCL C
    .language_version:
      - 2
      - 0
    .max_flat_workgroup_size: 128
    .name:           _ZN9rocsparseL19gebsrmvn_2xn_kernelILj128ELj9ELj64E21rocsparse_complex_numIfEEEvi20rocsparse_direction_NS_24const_host_device_scalarIT2_EEPKiS8_PKS5_SA_S6_PS5_21rocsparse_index_base_b
    .private_segment_fixed_size: 0
    .sgpr_count:     18
    .sgpr_spill_count: 0
    .symbol:         _ZN9rocsparseL19gebsrmvn_2xn_kernelILj128ELj9ELj64E21rocsparse_complex_numIfEEEvi20rocsparse_direction_NS_24const_host_device_scalarIT2_EEPKiS8_PKS5_SA_S6_PS5_21rocsparse_index_base_b.kd
    .uniform_work_group_size: 1
    .uses_dynamic_stack: false
    .vgpr_count:     69
    .vgpr_spill_count: 0
    .wavefront_size: 32
    .workgroup_processor_mode: 1
  - .args:
      - .offset:         0
        .size:           4
        .value_kind:     by_value
      - .offset:         4
        .size:           4
        .value_kind:     by_value
      - .offset:         8
        .size:           8
        .value_kind:     by_value
      - .actual_access:  read_only
        .address_space:  global
        .offset:         16
        .size:           8
        .value_kind:     global_buffer
      - .actual_access:  read_only
        .address_space:  global
        .offset:         24
        .size:           8
        .value_kind:     global_buffer
      - .actual_access:  read_only
        .address_space:  global
        .offset:         32
        .size:           8
        .value_kind:     global_buffer
      - .actual_access:  read_only
        .address_space:  global
        .offset:         40
        .size:           8
        .value_kind:     global_buffer
      - .offset:         48
        .size:           8
        .value_kind:     by_value
      - .address_space:  global
        .offset:         56
        .size:           8
        .value_kind:     global_buffer
      - .offset:         64
        .size:           4
        .value_kind:     by_value
      - .offset:         68
        .size:           1
        .value_kind:     by_value
    .group_segment_fixed_size: 0
    .kernarg_segment_align: 8
    .kernarg_segment_size: 72
    .language:       OpenCL C
    .language_version:
      - 2
      - 0
    .max_flat_workgroup_size: 128
    .name:           _ZN9rocsparseL19gebsrmvn_2xn_kernelILj128ELj10ELj4E21rocsparse_complex_numIfEEEvi20rocsparse_direction_NS_24const_host_device_scalarIT2_EEPKiS8_PKS5_SA_S6_PS5_21rocsparse_index_base_b
    .private_segment_fixed_size: 0
    .sgpr_count:     18
    .sgpr_spill_count: 0
    .symbol:         _ZN9rocsparseL19gebsrmvn_2xn_kernelILj128ELj10ELj4E21rocsparse_complex_numIfEEEvi20rocsparse_direction_NS_24const_host_device_scalarIT2_EEPKiS8_PKS5_SA_S6_PS5_21rocsparse_index_base_b.kd
    .uniform_work_group_size: 1
    .uses_dynamic_stack: false
    .vgpr_count:     78
    .vgpr_spill_count: 0
    .wavefront_size: 32
    .workgroup_processor_mode: 1
  - .args:
      - .offset:         0
        .size:           4
        .value_kind:     by_value
      - .offset:         4
        .size:           4
        .value_kind:     by_value
      - .offset:         8
        .size:           8
        .value_kind:     by_value
      - .actual_access:  read_only
        .address_space:  global
        .offset:         16
        .size:           8
        .value_kind:     global_buffer
      - .actual_access:  read_only
        .address_space:  global
        .offset:         24
        .size:           8
        .value_kind:     global_buffer
      - .actual_access:  read_only
        .address_space:  global
        .offset:         32
        .size:           8
        .value_kind:     global_buffer
      - .actual_access:  read_only
        .address_space:  global
        .offset:         40
        .size:           8
        .value_kind:     global_buffer
      - .offset:         48
        .size:           8
        .value_kind:     by_value
      - .address_space:  global
        .offset:         56
        .size:           8
        .value_kind:     global_buffer
      - .offset:         64
        .size:           4
        .value_kind:     by_value
      - .offset:         68
        .size:           1
        .value_kind:     by_value
    .group_segment_fixed_size: 0
    .kernarg_segment_align: 8
    .kernarg_segment_size: 72
    .language:       OpenCL C
    .language_version:
      - 2
      - 0
    .max_flat_workgroup_size: 128
    .name:           _ZN9rocsparseL19gebsrmvn_2xn_kernelILj128ELj10ELj8E21rocsparse_complex_numIfEEEvi20rocsparse_direction_NS_24const_host_device_scalarIT2_EEPKiS8_PKS5_SA_S6_PS5_21rocsparse_index_base_b
    .private_segment_fixed_size: 0
    .sgpr_count:     18
    .sgpr_spill_count: 0
    .symbol:         _ZN9rocsparseL19gebsrmvn_2xn_kernelILj128ELj10ELj8E21rocsparse_complex_numIfEEEvi20rocsparse_direction_NS_24const_host_device_scalarIT2_EEPKiS8_PKS5_SA_S6_PS5_21rocsparse_index_base_b.kd
    .uniform_work_group_size: 1
    .uses_dynamic_stack: false
    .vgpr_count:     78
    .vgpr_spill_count: 0
    .wavefront_size: 32
    .workgroup_processor_mode: 1
  - .args:
      - .offset:         0
        .size:           4
        .value_kind:     by_value
      - .offset:         4
        .size:           4
        .value_kind:     by_value
      - .offset:         8
        .size:           8
        .value_kind:     by_value
      - .actual_access:  read_only
        .address_space:  global
        .offset:         16
        .size:           8
        .value_kind:     global_buffer
      - .actual_access:  read_only
        .address_space:  global
        .offset:         24
        .size:           8
        .value_kind:     global_buffer
      - .actual_access:  read_only
        .address_space:  global
        .offset:         32
        .size:           8
        .value_kind:     global_buffer
      - .actual_access:  read_only
        .address_space:  global
        .offset:         40
        .size:           8
        .value_kind:     global_buffer
      - .offset:         48
        .size:           8
        .value_kind:     by_value
      - .address_space:  global
        .offset:         56
        .size:           8
        .value_kind:     global_buffer
      - .offset:         64
        .size:           4
        .value_kind:     by_value
      - .offset:         68
        .size:           1
        .value_kind:     by_value
    .group_segment_fixed_size: 0
    .kernarg_segment_align: 8
    .kernarg_segment_size: 72
    .language:       OpenCL C
    .language_version:
      - 2
      - 0
    .max_flat_workgroup_size: 128
    .name:           _ZN9rocsparseL19gebsrmvn_2xn_kernelILj128ELj10ELj16E21rocsparse_complex_numIfEEEvi20rocsparse_direction_NS_24const_host_device_scalarIT2_EEPKiS8_PKS5_SA_S6_PS5_21rocsparse_index_base_b
    .private_segment_fixed_size: 0
    .sgpr_count:     18
    .sgpr_spill_count: 0
    .symbol:         _ZN9rocsparseL19gebsrmvn_2xn_kernelILj128ELj10ELj16E21rocsparse_complex_numIfEEEvi20rocsparse_direction_NS_24const_host_device_scalarIT2_EEPKiS8_PKS5_SA_S6_PS5_21rocsparse_index_base_b.kd
    .uniform_work_group_size: 1
    .uses_dynamic_stack: false
    .vgpr_count:     78
    .vgpr_spill_count: 0
    .wavefront_size: 32
    .workgroup_processor_mode: 1
  - .args:
      - .offset:         0
        .size:           4
        .value_kind:     by_value
      - .offset:         4
        .size:           4
        .value_kind:     by_value
      - .offset:         8
        .size:           8
        .value_kind:     by_value
      - .actual_access:  read_only
        .address_space:  global
        .offset:         16
        .size:           8
        .value_kind:     global_buffer
      - .actual_access:  read_only
        .address_space:  global
        .offset:         24
        .size:           8
        .value_kind:     global_buffer
      - .actual_access:  read_only
        .address_space:  global
        .offset:         32
        .size:           8
        .value_kind:     global_buffer
      - .actual_access:  read_only
        .address_space:  global
        .offset:         40
        .size:           8
        .value_kind:     global_buffer
      - .offset:         48
        .size:           8
        .value_kind:     by_value
      - .address_space:  global
        .offset:         56
        .size:           8
        .value_kind:     global_buffer
      - .offset:         64
        .size:           4
        .value_kind:     by_value
      - .offset:         68
        .size:           1
        .value_kind:     by_value
    .group_segment_fixed_size: 0
    .kernarg_segment_align: 8
    .kernarg_segment_size: 72
    .language:       OpenCL C
    .language_version:
      - 2
      - 0
    .max_flat_workgroup_size: 128
    .name:           _ZN9rocsparseL19gebsrmvn_2xn_kernelILj128ELj10ELj32E21rocsparse_complex_numIfEEEvi20rocsparse_direction_NS_24const_host_device_scalarIT2_EEPKiS8_PKS5_SA_S6_PS5_21rocsparse_index_base_b
    .private_segment_fixed_size: 0
    .sgpr_count:     18
    .sgpr_spill_count: 0
    .symbol:         _ZN9rocsparseL19gebsrmvn_2xn_kernelILj128ELj10ELj32E21rocsparse_complex_numIfEEEvi20rocsparse_direction_NS_24const_host_device_scalarIT2_EEPKiS8_PKS5_SA_S6_PS5_21rocsparse_index_base_b.kd
    .uniform_work_group_size: 1
    .uses_dynamic_stack: false
    .vgpr_count:     78
    .vgpr_spill_count: 0
    .wavefront_size: 32
    .workgroup_processor_mode: 1
  - .args:
      - .offset:         0
        .size:           4
        .value_kind:     by_value
      - .offset:         4
        .size:           4
        .value_kind:     by_value
      - .offset:         8
        .size:           8
        .value_kind:     by_value
      - .actual_access:  read_only
        .address_space:  global
        .offset:         16
        .size:           8
        .value_kind:     global_buffer
      - .actual_access:  read_only
        .address_space:  global
        .offset:         24
        .size:           8
        .value_kind:     global_buffer
      - .actual_access:  read_only
        .address_space:  global
        .offset:         32
        .size:           8
        .value_kind:     global_buffer
      - .actual_access:  read_only
        .address_space:  global
        .offset:         40
        .size:           8
        .value_kind:     global_buffer
      - .offset:         48
        .size:           8
        .value_kind:     by_value
      - .address_space:  global
        .offset:         56
        .size:           8
        .value_kind:     global_buffer
      - .offset:         64
        .size:           4
        .value_kind:     by_value
      - .offset:         68
        .size:           1
        .value_kind:     by_value
    .group_segment_fixed_size: 0
    .kernarg_segment_align: 8
    .kernarg_segment_size: 72
    .language:       OpenCL C
    .language_version:
      - 2
      - 0
    .max_flat_workgroup_size: 128
    .name:           _ZN9rocsparseL19gebsrmvn_2xn_kernelILj128ELj10ELj64E21rocsparse_complex_numIfEEEvi20rocsparse_direction_NS_24const_host_device_scalarIT2_EEPKiS8_PKS5_SA_S6_PS5_21rocsparse_index_base_b
    .private_segment_fixed_size: 0
    .sgpr_count:     18
    .sgpr_spill_count: 0
    .symbol:         _ZN9rocsparseL19gebsrmvn_2xn_kernelILj128ELj10ELj64E21rocsparse_complex_numIfEEEvi20rocsparse_direction_NS_24const_host_device_scalarIT2_EEPKiS8_PKS5_SA_S6_PS5_21rocsparse_index_base_b.kd
    .uniform_work_group_size: 1
    .uses_dynamic_stack: false
    .vgpr_count:     78
    .vgpr_spill_count: 0
    .wavefront_size: 32
    .workgroup_processor_mode: 1
  - .args:
      - .offset:         0
        .size:           4
        .value_kind:     by_value
      - .offset:         4
        .size:           4
        .value_kind:     by_value
      - .offset:         8
        .size:           8
        .value_kind:     by_value
      - .actual_access:  read_only
        .address_space:  global
        .offset:         16
        .size:           8
        .value_kind:     global_buffer
      - .actual_access:  read_only
        .address_space:  global
        .offset:         24
        .size:           8
        .value_kind:     global_buffer
      - .actual_access:  read_only
        .address_space:  global
        .offset:         32
        .size:           8
        .value_kind:     global_buffer
      - .actual_access:  read_only
        .address_space:  global
        .offset:         40
        .size:           8
        .value_kind:     global_buffer
      - .offset:         48
        .size:           8
        .value_kind:     by_value
      - .address_space:  global
        .offset:         56
        .size:           8
        .value_kind:     global_buffer
      - .offset:         64
        .size:           4
        .value_kind:     by_value
      - .offset:         68
        .size:           1
        .value_kind:     by_value
    .group_segment_fixed_size: 0
    .kernarg_segment_align: 8
    .kernarg_segment_size: 72
    .language:       OpenCL C
    .language_version:
      - 2
      - 0
    .max_flat_workgroup_size: 128
    .name:           _ZN9rocsparseL19gebsrmvn_2xn_kernelILj128ELj11ELj4E21rocsparse_complex_numIfEEEvi20rocsparse_direction_NS_24const_host_device_scalarIT2_EEPKiS8_PKS5_SA_S6_PS5_21rocsparse_index_base_b
    .private_segment_fixed_size: 0
    .sgpr_count:     18
    .sgpr_spill_count: 0
    .symbol:         _ZN9rocsparseL19gebsrmvn_2xn_kernelILj128ELj11ELj4E21rocsparse_complex_numIfEEEvi20rocsparse_direction_NS_24const_host_device_scalarIT2_EEPKiS8_PKS5_SA_S6_PS5_21rocsparse_index_base_b.kd
    .uniform_work_group_size: 1
    .uses_dynamic_stack: false
    .vgpr_count:     68
    .vgpr_spill_count: 0
    .wavefront_size: 32
    .workgroup_processor_mode: 1
  - .args:
      - .offset:         0
        .size:           4
        .value_kind:     by_value
      - .offset:         4
        .size:           4
        .value_kind:     by_value
      - .offset:         8
        .size:           8
        .value_kind:     by_value
      - .actual_access:  read_only
        .address_space:  global
        .offset:         16
        .size:           8
        .value_kind:     global_buffer
      - .actual_access:  read_only
        .address_space:  global
        .offset:         24
        .size:           8
        .value_kind:     global_buffer
      - .actual_access:  read_only
        .address_space:  global
        .offset:         32
        .size:           8
        .value_kind:     global_buffer
      - .actual_access:  read_only
        .address_space:  global
        .offset:         40
        .size:           8
        .value_kind:     global_buffer
      - .offset:         48
        .size:           8
        .value_kind:     by_value
      - .address_space:  global
        .offset:         56
        .size:           8
        .value_kind:     global_buffer
      - .offset:         64
        .size:           4
        .value_kind:     by_value
      - .offset:         68
        .size:           1
        .value_kind:     by_value
    .group_segment_fixed_size: 0
    .kernarg_segment_align: 8
    .kernarg_segment_size: 72
    .language:       OpenCL C
    .language_version:
      - 2
      - 0
    .max_flat_workgroup_size: 128
    .name:           _ZN9rocsparseL19gebsrmvn_2xn_kernelILj128ELj11ELj8E21rocsparse_complex_numIfEEEvi20rocsparse_direction_NS_24const_host_device_scalarIT2_EEPKiS8_PKS5_SA_S6_PS5_21rocsparse_index_base_b
    .private_segment_fixed_size: 0
    .sgpr_count:     18
    .sgpr_spill_count: 0
    .symbol:         _ZN9rocsparseL19gebsrmvn_2xn_kernelILj128ELj11ELj8E21rocsparse_complex_numIfEEEvi20rocsparse_direction_NS_24const_host_device_scalarIT2_EEPKiS8_PKS5_SA_S6_PS5_21rocsparse_index_base_b.kd
    .uniform_work_group_size: 1
    .uses_dynamic_stack: false
    .vgpr_count:     68
    .vgpr_spill_count: 0
    .wavefront_size: 32
    .workgroup_processor_mode: 1
  - .args:
      - .offset:         0
        .size:           4
        .value_kind:     by_value
      - .offset:         4
        .size:           4
        .value_kind:     by_value
      - .offset:         8
        .size:           8
        .value_kind:     by_value
      - .actual_access:  read_only
        .address_space:  global
        .offset:         16
        .size:           8
        .value_kind:     global_buffer
      - .actual_access:  read_only
        .address_space:  global
        .offset:         24
        .size:           8
        .value_kind:     global_buffer
      - .actual_access:  read_only
        .address_space:  global
        .offset:         32
        .size:           8
        .value_kind:     global_buffer
      - .actual_access:  read_only
        .address_space:  global
        .offset:         40
        .size:           8
        .value_kind:     global_buffer
      - .offset:         48
        .size:           8
        .value_kind:     by_value
      - .address_space:  global
        .offset:         56
        .size:           8
        .value_kind:     global_buffer
      - .offset:         64
        .size:           4
        .value_kind:     by_value
      - .offset:         68
        .size:           1
        .value_kind:     by_value
    .group_segment_fixed_size: 0
    .kernarg_segment_align: 8
    .kernarg_segment_size: 72
    .language:       OpenCL C
    .language_version:
      - 2
      - 0
    .max_flat_workgroup_size: 128
    .name:           _ZN9rocsparseL19gebsrmvn_2xn_kernelILj128ELj11ELj16E21rocsparse_complex_numIfEEEvi20rocsparse_direction_NS_24const_host_device_scalarIT2_EEPKiS8_PKS5_SA_S6_PS5_21rocsparse_index_base_b
    .private_segment_fixed_size: 0
    .sgpr_count:     18
    .sgpr_spill_count: 0
    .symbol:         _ZN9rocsparseL19gebsrmvn_2xn_kernelILj128ELj11ELj16E21rocsparse_complex_numIfEEEvi20rocsparse_direction_NS_24const_host_device_scalarIT2_EEPKiS8_PKS5_SA_S6_PS5_21rocsparse_index_base_b.kd
    .uniform_work_group_size: 1
    .uses_dynamic_stack: false
    .vgpr_count:     68
    .vgpr_spill_count: 0
    .wavefront_size: 32
    .workgroup_processor_mode: 1
  - .args:
      - .offset:         0
        .size:           4
        .value_kind:     by_value
      - .offset:         4
        .size:           4
        .value_kind:     by_value
      - .offset:         8
        .size:           8
        .value_kind:     by_value
      - .actual_access:  read_only
        .address_space:  global
        .offset:         16
        .size:           8
        .value_kind:     global_buffer
      - .actual_access:  read_only
        .address_space:  global
        .offset:         24
        .size:           8
        .value_kind:     global_buffer
      - .actual_access:  read_only
        .address_space:  global
        .offset:         32
        .size:           8
        .value_kind:     global_buffer
      - .actual_access:  read_only
        .address_space:  global
        .offset:         40
        .size:           8
        .value_kind:     global_buffer
      - .offset:         48
        .size:           8
        .value_kind:     by_value
      - .address_space:  global
        .offset:         56
        .size:           8
        .value_kind:     global_buffer
      - .offset:         64
        .size:           4
        .value_kind:     by_value
      - .offset:         68
        .size:           1
        .value_kind:     by_value
    .group_segment_fixed_size: 0
    .kernarg_segment_align: 8
    .kernarg_segment_size: 72
    .language:       OpenCL C
    .language_version:
      - 2
      - 0
    .max_flat_workgroup_size: 128
    .name:           _ZN9rocsparseL19gebsrmvn_2xn_kernelILj128ELj11ELj32E21rocsparse_complex_numIfEEEvi20rocsparse_direction_NS_24const_host_device_scalarIT2_EEPKiS8_PKS5_SA_S6_PS5_21rocsparse_index_base_b
    .private_segment_fixed_size: 0
    .sgpr_count:     18
    .sgpr_spill_count: 0
    .symbol:         _ZN9rocsparseL19gebsrmvn_2xn_kernelILj128ELj11ELj32E21rocsparse_complex_numIfEEEvi20rocsparse_direction_NS_24const_host_device_scalarIT2_EEPKiS8_PKS5_SA_S6_PS5_21rocsparse_index_base_b.kd
    .uniform_work_group_size: 1
    .uses_dynamic_stack: false
    .vgpr_count:     68
    .vgpr_spill_count: 0
    .wavefront_size: 32
    .workgroup_processor_mode: 1
  - .args:
      - .offset:         0
        .size:           4
        .value_kind:     by_value
      - .offset:         4
        .size:           4
        .value_kind:     by_value
      - .offset:         8
        .size:           8
        .value_kind:     by_value
      - .actual_access:  read_only
        .address_space:  global
        .offset:         16
        .size:           8
        .value_kind:     global_buffer
      - .actual_access:  read_only
        .address_space:  global
        .offset:         24
        .size:           8
        .value_kind:     global_buffer
      - .actual_access:  read_only
        .address_space:  global
        .offset:         32
        .size:           8
        .value_kind:     global_buffer
      - .actual_access:  read_only
        .address_space:  global
        .offset:         40
        .size:           8
        .value_kind:     global_buffer
      - .offset:         48
        .size:           8
        .value_kind:     by_value
      - .address_space:  global
        .offset:         56
        .size:           8
        .value_kind:     global_buffer
      - .offset:         64
        .size:           4
        .value_kind:     by_value
      - .offset:         68
        .size:           1
        .value_kind:     by_value
    .group_segment_fixed_size: 0
    .kernarg_segment_align: 8
    .kernarg_segment_size: 72
    .language:       OpenCL C
    .language_version:
      - 2
      - 0
    .max_flat_workgroup_size: 128
    .name:           _ZN9rocsparseL19gebsrmvn_2xn_kernelILj128ELj11ELj64E21rocsparse_complex_numIfEEEvi20rocsparse_direction_NS_24const_host_device_scalarIT2_EEPKiS8_PKS5_SA_S6_PS5_21rocsparse_index_base_b
    .private_segment_fixed_size: 0
    .sgpr_count:     18
    .sgpr_spill_count: 0
    .symbol:         _ZN9rocsparseL19gebsrmvn_2xn_kernelILj128ELj11ELj64E21rocsparse_complex_numIfEEEvi20rocsparse_direction_NS_24const_host_device_scalarIT2_EEPKiS8_PKS5_SA_S6_PS5_21rocsparse_index_base_b.kd
    .uniform_work_group_size: 1
    .uses_dynamic_stack: false
    .vgpr_count:     68
    .vgpr_spill_count: 0
    .wavefront_size: 32
    .workgroup_processor_mode: 1
  - .args:
      - .offset:         0
        .size:           4
        .value_kind:     by_value
      - .offset:         4
        .size:           4
        .value_kind:     by_value
      - .offset:         8
        .size:           8
        .value_kind:     by_value
      - .actual_access:  read_only
        .address_space:  global
        .offset:         16
        .size:           8
        .value_kind:     global_buffer
      - .actual_access:  read_only
        .address_space:  global
        .offset:         24
        .size:           8
        .value_kind:     global_buffer
      - .actual_access:  read_only
        .address_space:  global
        .offset:         32
        .size:           8
        .value_kind:     global_buffer
      - .actual_access:  read_only
        .address_space:  global
        .offset:         40
        .size:           8
        .value_kind:     global_buffer
      - .offset:         48
        .size:           8
        .value_kind:     by_value
      - .address_space:  global
        .offset:         56
        .size:           8
        .value_kind:     global_buffer
      - .offset:         64
        .size:           4
        .value_kind:     by_value
      - .offset:         68
        .size:           1
        .value_kind:     by_value
    .group_segment_fixed_size: 0
    .kernarg_segment_align: 8
    .kernarg_segment_size: 72
    .language:       OpenCL C
    .language_version:
      - 2
      - 0
    .max_flat_workgroup_size: 128
    .name:           _ZN9rocsparseL19gebsrmvn_2xn_kernelILj128ELj12ELj4E21rocsparse_complex_numIfEEEvi20rocsparse_direction_NS_24const_host_device_scalarIT2_EEPKiS8_PKS5_SA_S6_PS5_21rocsparse_index_base_b
    .private_segment_fixed_size: 0
    .sgpr_count:     18
    .sgpr_spill_count: 0
    .symbol:         _ZN9rocsparseL19gebsrmvn_2xn_kernelILj128ELj12ELj4E21rocsparse_complex_numIfEEEvi20rocsparse_direction_NS_24const_host_device_scalarIT2_EEPKiS8_PKS5_SA_S6_PS5_21rocsparse_index_base_b.kd
    .uniform_work_group_size: 1
    .uses_dynamic_stack: false
    .vgpr_count:     78
    .vgpr_spill_count: 0
    .wavefront_size: 32
    .workgroup_processor_mode: 1
  - .args:
      - .offset:         0
        .size:           4
        .value_kind:     by_value
      - .offset:         4
        .size:           4
        .value_kind:     by_value
      - .offset:         8
        .size:           8
        .value_kind:     by_value
      - .actual_access:  read_only
        .address_space:  global
        .offset:         16
        .size:           8
        .value_kind:     global_buffer
      - .actual_access:  read_only
        .address_space:  global
        .offset:         24
        .size:           8
        .value_kind:     global_buffer
      - .actual_access:  read_only
        .address_space:  global
        .offset:         32
        .size:           8
        .value_kind:     global_buffer
      - .actual_access:  read_only
        .address_space:  global
        .offset:         40
        .size:           8
        .value_kind:     global_buffer
      - .offset:         48
        .size:           8
        .value_kind:     by_value
      - .address_space:  global
        .offset:         56
        .size:           8
        .value_kind:     global_buffer
      - .offset:         64
        .size:           4
        .value_kind:     by_value
      - .offset:         68
        .size:           1
        .value_kind:     by_value
    .group_segment_fixed_size: 0
    .kernarg_segment_align: 8
    .kernarg_segment_size: 72
    .language:       OpenCL C
    .language_version:
      - 2
      - 0
    .max_flat_workgroup_size: 128
    .name:           _ZN9rocsparseL19gebsrmvn_2xn_kernelILj128ELj12ELj8E21rocsparse_complex_numIfEEEvi20rocsparse_direction_NS_24const_host_device_scalarIT2_EEPKiS8_PKS5_SA_S6_PS5_21rocsparse_index_base_b
    .private_segment_fixed_size: 0
    .sgpr_count:     18
    .sgpr_spill_count: 0
    .symbol:         _ZN9rocsparseL19gebsrmvn_2xn_kernelILj128ELj12ELj8E21rocsparse_complex_numIfEEEvi20rocsparse_direction_NS_24const_host_device_scalarIT2_EEPKiS8_PKS5_SA_S6_PS5_21rocsparse_index_base_b.kd
    .uniform_work_group_size: 1
    .uses_dynamic_stack: false
    .vgpr_count:     78
    .vgpr_spill_count: 0
    .wavefront_size: 32
    .workgroup_processor_mode: 1
  - .args:
      - .offset:         0
        .size:           4
        .value_kind:     by_value
      - .offset:         4
        .size:           4
        .value_kind:     by_value
      - .offset:         8
        .size:           8
        .value_kind:     by_value
      - .actual_access:  read_only
        .address_space:  global
        .offset:         16
        .size:           8
        .value_kind:     global_buffer
      - .actual_access:  read_only
        .address_space:  global
        .offset:         24
        .size:           8
        .value_kind:     global_buffer
      - .actual_access:  read_only
        .address_space:  global
        .offset:         32
        .size:           8
        .value_kind:     global_buffer
      - .actual_access:  read_only
        .address_space:  global
        .offset:         40
        .size:           8
        .value_kind:     global_buffer
      - .offset:         48
        .size:           8
        .value_kind:     by_value
      - .address_space:  global
        .offset:         56
        .size:           8
        .value_kind:     global_buffer
      - .offset:         64
        .size:           4
        .value_kind:     by_value
      - .offset:         68
        .size:           1
        .value_kind:     by_value
    .group_segment_fixed_size: 0
    .kernarg_segment_align: 8
    .kernarg_segment_size: 72
    .language:       OpenCL C
    .language_version:
      - 2
      - 0
    .max_flat_workgroup_size: 128
    .name:           _ZN9rocsparseL19gebsrmvn_2xn_kernelILj128ELj12ELj16E21rocsparse_complex_numIfEEEvi20rocsparse_direction_NS_24const_host_device_scalarIT2_EEPKiS8_PKS5_SA_S6_PS5_21rocsparse_index_base_b
    .private_segment_fixed_size: 0
    .sgpr_count:     18
    .sgpr_spill_count: 0
    .symbol:         _ZN9rocsparseL19gebsrmvn_2xn_kernelILj128ELj12ELj16E21rocsparse_complex_numIfEEEvi20rocsparse_direction_NS_24const_host_device_scalarIT2_EEPKiS8_PKS5_SA_S6_PS5_21rocsparse_index_base_b.kd
    .uniform_work_group_size: 1
    .uses_dynamic_stack: false
    .vgpr_count:     78
    .vgpr_spill_count: 0
    .wavefront_size: 32
    .workgroup_processor_mode: 1
  - .args:
      - .offset:         0
        .size:           4
        .value_kind:     by_value
      - .offset:         4
        .size:           4
        .value_kind:     by_value
      - .offset:         8
        .size:           8
        .value_kind:     by_value
      - .actual_access:  read_only
        .address_space:  global
        .offset:         16
        .size:           8
        .value_kind:     global_buffer
      - .actual_access:  read_only
        .address_space:  global
        .offset:         24
        .size:           8
        .value_kind:     global_buffer
      - .actual_access:  read_only
        .address_space:  global
        .offset:         32
        .size:           8
        .value_kind:     global_buffer
      - .actual_access:  read_only
        .address_space:  global
        .offset:         40
        .size:           8
        .value_kind:     global_buffer
      - .offset:         48
        .size:           8
        .value_kind:     by_value
      - .address_space:  global
        .offset:         56
        .size:           8
        .value_kind:     global_buffer
      - .offset:         64
        .size:           4
        .value_kind:     by_value
      - .offset:         68
        .size:           1
        .value_kind:     by_value
    .group_segment_fixed_size: 0
    .kernarg_segment_align: 8
    .kernarg_segment_size: 72
    .language:       OpenCL C
    .language_version:
      - 2
      - 0
    .max_flat_workgroup_size: 128
    .name:           _ZN9rocsparseL19gebsrmvn_2xn_kernelILj128ELj12ELj32E21rocsparse_complex_numIfEEEvi20rocsparse_direction_NS_24const_host_device_scalarIT2_EEPKiS8_PKS5_SA_S6_PS5_21rocsparse_index_base_b
    .private_segment_fixed_size: 0
    .sgpr_count:     18
    .sgpr_spill_count: 0
    .symbol:         _ZN9rocsparseL19gebsrmvn_2xn_kernelILj128ELj12ELj32E21rocsparse_complex_numIfEEEvi20rocsparse_direction_NS_24const_host_device_scalarIT2_EEPKiS8_PKS5_SA_S6_PS5_21rocsparse_index_base_b.kd
    .uniform_work_group_size: 1
    .uses_dynamic_stack: false
    .vgpr_count:     78
    .vgpr_spill_count: 0
    .wavefront_size: 32
    .workgroup_processor_mode: 1
  - .args:
      - .offset:         0
        .size:           4
        .value_kind:     by_value
      - .offset:         4
        .size:           4
        .value_kind:     by_value
      - .offset:         8
        .size:           8
        .value_kind:     by_value
      - .actual_access:  read_only
        .address_space:  global
        .offset:         16
        .size:           8
        .value_kind:     global_buffer
      - .actual_access:  read_only
        .address_space:  global
        .offset:         24
        .size:           8
        .value_kind:     global_buffer
      - .actual_access:  read_only
        .address_space:  global
        .offset:         32
        .size:           8
        .value_kind:     global_buffer
      - .actual_access:  read_only
        .address_space:  global
        .offset:         40
        .size:           8
        .value_kind:     global_buffer
      - .offset:         48
        .size:           8
        .value_kind:     by_value
      - .address_space:  global
        .offset:         56
        .size:           8
        .value_kind:     global_buffer
      - .offset:         64
        .size:           4
        .value_kind:     by_value
      - .offset:         68
        .size:           1
        .value_kind:     by_value
    .group_segment_fixed_size: 0
    .kernarg_segment_align: 8
    .kernarg_segment_size: 72
    .language:       OpenCL C
    .language_version:
      - 2
      - 0
    .max_flat_workgroup_size: 128
    .name:           _ZN9rocsparseL19gebsrmvn_2xn_kernelILj128ELj12ELj64E21rocsparse_complex_numIfEEEvi20rocsparse_direction_NS_24const_host_device_scalarIT2_EEPKiS8_PKS5_SA_S6_PS5_21rocsparse_index_base_b
    .private_segment_fixed_size: 0
    .sgpr_count:     18
    .sgpr_spill_count: 0
    .symbol:         _ZN9rocsparseL19gebsrmvn_2xn_kernelILj128ELj12ELj64E21rocsparse_complex_numIfEEEvi20rocsparse_direction_NS_24const_host_device_scalarIT2_EEPKiS8_PKS5_SA_S6_PS5_21rocsparse_index_base_b.kd
    .uniform_work_group_size: 1
    .uses_dynamic_stack: false
    .vgpr_count:     78
    .vgpr_spill_count: 0
    .wavefront_size: 32
    .workgroup_processor_mode: 1
  - .args:
      - .offset:         0
        .size:           4
        .value_kind:     by_value
      - .offset:         4
        .size:           4
        .value_kind:     by_value
      - .offset:         8
        .size:           8
        .value_kind:     by_value
      - .actual_access:  read_only
        .address_space:  global
        .offset:         16
        .size:           8
        .value_kind:     global_buffer
      - .actual_access:  read_only
        .address_space:  global
        .offset:         24
        .size:           8
        .value_kind:     global_buffer
      - .actual_access:  read_only
        .address_space:  global
        .offset:         32
        .size:           8
        .value_kind:     global_buffer
      - .actual_access:  read_only
        .address_space:  global
        .offset:         40
        .size:           8
        .value_kind:     global_buffer
      - .offset:         48
        .size:           8
        .value_kind:     by_value
      - .address_space:  global
        .offset:         56
        .size:           8
        .value_kind:     global_buffer
      - .offset:         64
        .size:           4
        .value_kind:     by_value
      - .offset:         68
        .size:           1
        .value_kind:     by_value
    .group_segment_fixed_size: 0
    .kernarg_segment_align: 8
    .kernarg_segment_size: 72
    .language:       OpenCL C
    .language_version:
      - 2
      - 0
    .max_flat_workgroup_size: 128
    .name:           _ZN9rocsparseL19gebsrmvn_2xn_kernelILj128ELj13ELj4E21rocsparse_complex_numIfEEEvi20rocsparse_direction_NS_24const_host_device_scalarIT2_EEPKiS8_PKS5_SA_S6_PS5_21rocsparse_index_base_b
    .private_segment_fixed_size: 0
    .sgpr_count:     18
    .sgpr_spill_count: 0
    .symbol:         _ZN9rocsparseL19gebsrmvn_2xn_kernelILj128ELj13ELj4E21rocsparse_complex_numIfEEEvi20rocsparse_direction_NS_24const_host_device_scalarIT2_EEPKiS8_PKS5_SA_S6_PS5_21rocsparse_index_base_b.kd
    .uniform_work_group_size: 1
    .uses_dynamic_stack: false
    .vgpr_count:     66
    .vgpr_spill_count: 0
    .wavefront_size: 32
    .workgroup_processor_mode: 1
  - .args:
      - .offset:         0
        .size:           4
        .value_kind:     by_value
      - .offset:         4
        .size:           4
        .value_kind:     by_value
      - .offset:         8
        .size:           8
        .value_kind:     by_value
      - .actual_access:  read_only
        .address_space:  global
        .offset:         16
        .size:           8
        .value_kind:     global_buffer
      - .actual_access:  read_only
        .address_space:  global
        .offset:         24
        .size:           8
        .value_kind:     global_buffer
      - .actual_access:  read_only
        .address_space:  global
        .offset:         32
        .size:           8
        .value_kind:     global_buffer
      - .actual_access:  read_only
        .address_space:  global
        .offset:         40
        .size:           8
        .value_kind:     global_buffer
      - .offset:         48
        .size:           8
        .value_kind:     by_value
      - .address_space:  global
        .offset:         56
        .size:           8
        .value_kind:     global_buffer
      - .offset:         64
        .size:           4
        .value_kind:     by_value
      - .offset:         68
        .size:           1
        .value_kind:     by_value
    .group_segment_fixed_size: 0
    .kernarg_segment_align: 8
    .kernarg_segment_size: 72
    .language:       OpenCL C
    .language_version:
      - 2
      - 0
    .max_flat_workgroup_size: 128
    .name:           _ZN9rocsparseL19gebsrmvn_2xn_kernelILj128ELj13ELj8E21rocsparse_complex_numIfEEEvi20rocsparse_direction_NS_24const_host_device_scalarIT2_EEPKiS8_PKS5_SA_S6_PS5_21rocsparse_index_base_b
    .private_segment_fixed_size: 0
    .sgpr_count:     18
    .sgpr_spill_count: 0
    .symbol:         _ZN9rocsparseL19gebsrmvn_2xn_kernelILj128ELj13ELj8E21rocsparse_complex_numIfEEEvi20rocsparse_direction_NS_24const_host_device_scalarIT2_EEPKiS8_PKS5_SA_S6_PS5_21rocsparse_index_base_b.kd
    .uniform_work_group_size: 1
    .uses_dynamic_stack: false
    .vgpr_count:     66
    .vgpr_spill_count: 0
    .wavefront_size: 32
    .workgroup_processor_mode: 1
  - .args:
      - .offset:         0
        .size:           4
        .value_kind:     by_value
      - .offset:         4
        .size:           4
        .value_kind:     by_value
      - .offset:         8
        .size:           8
        .value_kind:     by_value
      - .actual_access:  read_only
        .address_space:  global
        .offset:         16
        .size:           8
        .value_kind:     global_buffer
      - .actual_access:  read_only
        .address_space:  global
        .offset:         24
        .size:           8
        .value_kind:     global_buffer
      - .actual_access:  read_only
        .address_space:  global
        .offset:         32
        .size:           8
        .value_kind:     global_buffer
      - .actual_access:  read_only
        .address_space:  global
        .offset:         40
        .size:           8
        .value_kind:     global_buffer
      - .offset:         48
        .size:           8
        .value_kind:     by_value
      - .address_space:  global
        .offset:         56
        .size:           8
        .value_kind:     global_buffer
      - .offset:         64
        .size:           4
        .value_kind:     by_value
      - .offset:         68
        .size:           1
        .value_kind:     by_value
    .group_segment_fixed_size: 0
    .kernarg_segment_align: 8
    .kernarg_segment_size: 72
    .language:       OpenCL C
    .language_version:
      - 2
      - 0
    .max_flat_workgroup_size: 128
    .name:           _ZN9rocsparseL19gebsrmvn_2xn_kernelILj128ELj13ELj16E21rocsparse_complex_numIfEEEvi20rocsparse_direction_NS_24const_host_device_scalarIT2_EEPKiS8_PKS5_SA_S6_PS5_21rocsparse_index_base_b
    .private_segment_fixed_size: 0
    .sgpr_count:     18
    .sgpr_spill_count: 0
    .symbol:         _ZN9rocsparseL19gebsrmvn_2xn_kernelILj128ELj13ELj16E21rocsparse_complex_numIfEEEvi20rocsparse_direction_NS_24const_host_device_scalarIT2_EEPKiS8_PKS5_SA_S6_PS5_21rocsparse_index_base_b.kd
    .uniform_work_group_size: 1
    .uses_dynamic_stack: false
    .vgpr_count:     66
    .vgpr_spill_count: 0
    .wavefront_size: 32
    .workgroup_processor_mode: 1
  - .args:
      - .offset:         0
        .size:           4
        .value_kind:     by_value
      - .offset:         4
        .size:           4
        .value_kind:     by_value
      - .offset:         8
        .size:           8
        .value_kind:     by_value
      - .actual_access:  read_only
        .address_space:  global
        .offset:         16
        .size:           8
        .value_kind:     global_buffer
      - .actual_access:  read_only
        .address_space:  global
        .offset:         24
        .size:           8
        .value_kind:     global_buffer
      - .actual_access:  read_only
        .address_space:  global
        .offset:         32
        .size:           8
        .value_kind:     global_buffer
      - .actual_access:  read_only
        .address_space:  global
        .offset:         40
        .size:           8
        .value_kind:     global_buffer
      - .offset:         48
        .size:           8
        .value_kind:     by_value
      - .address_space:  global
        .offset:         56
        .size:           8
        .value_kind:     global_buffer
      - .offset:         64
        .size:           4
        .value_kind:     by_value
      - .offset:         68
        .size:           1
        .value_kind:     by_value
    .group_segment_fixed_size: 0
    .kernarg_segment_align: 8
    .kernarg_segment_size: 72
    .language:       OpenCL C
    .language_version:
      - 2
      - 0
    .max_flat_workgroup_size: 128
    .name:           _ZN9rocsparseL19gebsrmvn_2xn_kernelILj128ELj13ELj32E21rocsparse_complex_numIfEEEvi20rocsparse_direction_NS_24const_host_device_scalarIT2_EEPKiS8_PKS5_SA_S6_PS5_21rocsparse_index_base_b
    .private_segment_fixed_size: 0
    .sgpr_count:     18
    .sgpr_spill_count: 0
    .symbol:         _ZN9rocsparseL19gebsrmvn_2xn_kernelILj128ELj13ELj32E21rocsparse_complex_numIfEEEvi20rocsparse_direction_NS_24const_host_device_scalarIT2_EEPKiS8_PKS5_SA_S6_PS5_21rocsparse_index_base_b.kd
    .uniform_work_group_size: 1
    .uses_dynamic_stack: false
    .vgpr_count:     66
    .vgpr_spill_count: 0
    .wavefront_size: 32
    .workgroup_processor_mode: 1
  - .args:
      - .offset:         0
        .size:           4
        .value_kind:     by_value
      - .offset:         4
        .size:           4
        .value_kind:     by_value
      - .offset:         8
        .size:           8
        .value_kind:     by_value
      - .actual_access:  read_only
        .address_space:  global
        .offset:         16
        .size:           8
        .value_kind:     global_buffer
      - .actual_access:  read_only
        .address_space:  global
        .offset:         24
        .size:           8
        .value_kind:     global_buffer
      - .actual_access:  read_only
        .address_space:  global
        .offset:         32
        .size:           8
        .value_kind:     global_buffer
      - .actual_access:  read_only
        .address_space:  global
        .offset:         40
        .size:           8
        .value_kind:     global_buffer
      - .offset:         48
        .size:           8
        .value_kind:     by_value
      - .address_space:  global
        .offset:         56
        .size:           8
        .value_kind:     global_buffer
      - .offset:         64
        .size:           4
        .value_kind:     by_value
      - .offset:         68
        .size:           1
        .value_kind:     by_value
    .group_segment_fixed_size: 0
    .kernarg_segment_align: 8
    .kernarg_segment_size: 72
    .language:       OpenCL C
    .language_version:
      - 2
      - 0
    .max_flat_workgroup_size: 128
    .name:           _ZN9rocsparseL19gebsrmvn_2xn_kernelILj128ELj13ELj64E21rocsparse_complex_numIfEEEvi20rocsparse_direction_NS_24const_host_device_scalarIT2_EEPKiS8_PKS5_SA_S6_PS5_21rocsparse_index_base_b
    .private_segment_fixed_size: 0
    .sgpr_count:     18
    .sgpr_spill_count: 0
    .symbol:         _ZN9rocsparseL19gebsrmvn_2xn_kernelILj128ELj13ELj64E21rocsparse_complex_numIfEEEvi20rocsparse_direction_NS_24const_host_device_scalarIT2_EEPKiS8_PKS5_SA_S6_PS5_21rocsparse_index_base_b.kd
    .uniform_work_group_size: 1
    .uses_dynamic_stack: false
    .vgpr_count:     66
    .vgpr_spill_count: 0
    .wavefront_size: 32
    .workgroup_processor_mode: 1
  - .args:
      - .offset:         0
        .size:           4
        .value_kind:     by_value
      - .offset:         4
        .size:           4
        .value_kind:     by_value
      - .offset:         8
        .size:           8
        .value_kind:     by_value
      - .actual_access:  read_only
        .address_space:  global
        .offset:         16
        .size:           8
        .value_kind:     global_buffer
      - .actual_access:  read_only
        .address_space:  global
        .offset:         24
        .size:           8
        .value_kind:     global_buffer
      - .actual_access:  read_only
        .address_space:  global
        .offset:         32
        .size:           8
        .value_kind:     global_buffer
      - .actual_access:  read_only
        .address_space:  global
        .offset:         40
        .size:           8
        .value_kind:     global_buffer
      - .offset:         48
        .size:           8
        .value_kind:     by_value
      - .address_space:  global
        .offset:         56
        .size:           8
        .value_kind:     global_buffer
      - .offset:         64
        .size:           4
        .value_kind:     by_value
      - .offset:         68
        .size:           1
        .value_kind:     by_value
    .group_segment_fixed_size: 0
    .kernarg_segment_align: 8
    .kernarg_segment_size: 72
    .language:       OpenCL C
    .language_version:
      - 2
      - 0
    .max_flat_workgroup_size: 128
    .name:           _ZN9rocsparseL19gebsrmvn_2xn_kernelILj128ELj14ELj4E21rocsparse_complex_numIfEEEvi20rocsparse_direction_NS_24const_host_device_scalarIT2_EEPKiS8_PKS5_SA_S6_PS5_21rocsparse_index_base_b
    .private_segment_fixed_size: 0
    .sgpr_count:     18
    .sgpr_spill_count: 0
    .symbol:         _ZN9rocsparseL19gebsrmvn_2xn_kernelILj128ELj14ELj4E21rocsparse_complex_numIfEEEvi20rocsparse_direction_NS_24const_host_device_scalarIT2_EEPKiS8_PKS5_SA_S6_PS5_21rocsparse_index_base_b.kd
    .uniform_work_group_size: 1
    .uses_dynamic_stack: false
    .vgpr_count:     30
    .vgpr_spill_count: 0
    .wavefront_size: 32
    .workgroup_processor_mode: 1
  - .args:
      - .offset:         0
        .size:           4
        .value_kind:     by_value
      - .offset:         4
        .size:           4
        .value_kind:     by_value
      - .offset:         8
        .size:           8
        .value_kind:     by_value
      - .actual_access:  read_only
        .address_space:  global
        .offset:         16
        .size:           8
        .value_kind:     global_buffer
      - .actual_access:  read_only
        .address_space:  global
        .offset:         24
        .size:           8
        .value_kind:     global_buffer
      - .actual_access:  read_only
        .address_space:  global
        .offset:         32
        .size:           8
        .value_kind:     global_buffer
      - .actual_access:  read_only
        .address_space:  global
        .offset:         40
        .size:           8
        .value_kind:     global_buffer
      - .offset:         48
        .size:           8
        .value_kind:     by_value
      - .address_space:  global
        .offset:         56
        .size:           8
        .value_kind:     global_buffer
      - .offset:         64
        .size:           4
        .value_kind:     by_value
      - .offset:         68
        .size:           1
        .value_kind:     by_value
    .group_segment_fixed_size: 0
    .kernarg_segment_align: 8
    .kernarg_segment_size: 72
    .language:       OpenCL C
    .language_version:
      - 2
      - 0
    .max_flat_workgroup_size: 128
    .name:           _ZN9rocsparseL19gebsrmvn_2xn_kernelILj128ELj14ELj8E21rocsparse_complex_numIfEEEvi20rocsparse_direction_NS_24const_host_device_scalarIT2_EEPKiS8_PKS5_SA_S6_PS5_21rocsparse_index_base_b
    .private_segment_fixed_size: 0
    .sgpr_count:     18
    .sgpr_spill_count: 0
    .symbol:         _ZN9rocsparseL19gebsrmvn_2xn_kernelILj128ELj14ELj8E21rocsparse_complex_numIfEEEvi20rocsparse_direction_NS_24const_host_device_scalarIT2_EEPKiS8_PKS5_SA_S6_PS5_21rocsparse_index_base_b.kd
    .uniform_work_group_size: 1
    .uses_dynamic_stack: false
    .vgpr_count:     30
    .vgpr_spill_count: 0
    .wavefront_size: 32
    .workgroup_processor_mode: 1
  - .args:
      - .offset:         0
        .size:           4
        .value_kind:     by_value
      - .offset:         4
        .size:           4
        .value_kind:     by_value
      - .offset:         8
        .size:           8
        .value_kind:     by_value
      - .actual_access:  read_only
        .address_space:  global
        .offset:         16
        .size:           8
        .value_kind:     global_buffer
      - .actual_access:  read_only
        .address_space:  global
        .offset:         24
        .size:           8
        .value_kind:     global_buffer
      - .actual_access:  read_only
        .address_space:  global
        .offset:         32
        .size:           8
        .value_kind:     global_buffer
      - .actual_access:  read_only
        .address_space:  global
        .offset:         40
        .size:           8
        .value_kind:     global_buffer
      - .offset:         48
        .size:           8
        .value_kind:     by_value
      - .address_space:  global
        .offset:         56
        .size:           8
        .value_kind:     global_buffer
      - .offset:         64
        .size:           4
        .value_kind:     by_value
      - .offset:         68
        .size:           1
        .value_kind:     by_value
    .group_segment_fixed_size: 0
    .kernarg_segment_align: 8
    .kernarg_segment_size: 72
    .language:       OpenCL C
    .language_version:
      - 2
      - 0
    .max_flat_workgroup_size: 128
    .name:           _ZN9rocsparseL19gebsrmvn_2xn_kernelILj128ELj14ELj16E21rocsparse_complex_numIfEEEvi20rocsparse_direction_NS_24const_host_device_scalarIT2_EEPKiS8_PKS5_SA_S6_PS5_21rocsparse_index_base_b
    .private_segment_fixed_size: 0
    .sgpr_count:     18
    .sgpr_spill_count: 0
    .symbol:         _ZN9rocsparseL19gebsrmvn_2xn_kernelILj128ELj14ELj16E21rocsparse_complex_numIfEEEvi20rocsparse_direction_NS_24const_host_device_scalarIT2_EEPKiS8_PKS5_SA_S6_PS5_21rocsparse_index_base_b.kd
    .uniform_work_group_size: 1
    .uses_dynamic_stack: false
    .vgpr_count:     30
    .vgpr_spill_count: 0
    .wavefront_size: 32
    .workgroup_processor_mode: 1
  - .args:
      - .offset:         0
        .size:           4
        .value_kind:     by_value
      - .offset:         4
        .size:           4
        .value_kind:     by_value
      - .offset:         8
        .size:           8
        .value_kind:     by_value
      - .actual_access:  read_only
        .address_space:  global
        .offset:         16
        .size:           8
        .value_kind:     global_buffer
      - .actual_access:  read_only
        .address_space:  global
        .offset:         24
        .size:           8
        .value_kind:     global_buffer
      - .actual_access:  read_only
        .address_space:  global
        .offset:         32
        .size:           8
        .value_kind:     global_buffer
      - .actual_access:  read_only
        .address_space:  global
        .offset:         40
        .size:           8
        .value_kind:     global_buffer
      - .offset:         48
        .size:           8
        .value_kind:     by_value
      - .address_space:  global
        .offset:         56
        .size:           8
        .value_kind:     global_buffer
      - .offset:         64
        .size:           4
        .value_kind:     by_value
      - .offset:         68
        .size:           1
        .value_kind:     by_value
    .group_segment_fixed_size: 0
    .kernarg_segment_align: 8
    .kernarg_segment_size: 72
    .language:       OpenCL C
    .language_version:
      - 2
      - 0
    .max_flat_workgroup_size: 128
    .name:           _ZN9rocsparseL19gebsrmvn_2xn_kernelILj128ELj14ELj32E21rocsparse_complex_numIfEEEvi20rocsparse_direction_NS_24const_host_device_scalarIT2_EEPKiS8_PKS5_SA_S6_PS5_21rocsparse_index_base_b
    .private_segment_fixed_size: 0
    .sgpr_count:     18
    .sgpr_spill_count: 0
    .symbol:         _ZN9rocsparseL19gebsrmvn_2xn_kernelILj128ELj14ELj32E21rocsparse_complex_numIfEEEvi20rocsparse_direction_NS_24const_host_device_scalarIT2_EEPKiS8_PKS5_SA_S6_PS5_21rocsparse_index_base_b.kd
    .uniform_work_group_size: 1
    .uses_dynamic_stack: false
    .vgpr_count:     30
    .vgpr_spill_count: 0
    .wavefront_size: 32
    .workgroup_processor_mode: 1
  - .args:
      - .offset:         0
        .size:           4
        .value_kind:     by_value
      - .offset:         4
        .size:           4
        .value_kind:     by_value
      - .offset:         8
        .size:           8
        .value_kind:     by_value
      - .actual_access:  read_only
        .address_space:  global
        .offset:         16
        .size:           8
        .value_kind:     global_buffer
      - .actual_access:  read_only
        .address_space:  global
        .offset:         24
        .size:           8
        .value_kind:     global_buffer
      - .actual_access:  read_only
        .address_space:  global
        .offset:         32
        .size:           8
        .value_kind:     global_buffer
      - .actual_access:  read_only
        .address_space:  global
        .offset:         40
        .size:           8
        .value_kind:     global_buffer
      - .offset:         48
        .size:           8
        .value_kind:     by_value
      - .address_space:  global
        .offset:         56
        .size:           8
        .value_kind:     global_buffer
      - .offset:         64
        .size:           4
        .value_kind:     by_value
      - .offset:         68
        .size:           1
        .value_kind:     by_value
    .group_segment_fixed_size: 0
    .kernarg_segment_align: 8
    .kernarg_segment_size: 72
    .language:       OpenCL C
    .language_version:
      - 2
      - 0
    .max_flat_workgroup_size: 128
    .name:           _ZN9rocsparseL19gebsrmvn_2xn_kernelILj128ELj14ELj64E21rocsparse_complex_numIfEEEvi20rocsparse_direction_NS_24const_host_device_scalarIT2_EEPKiS8_PKS5_SA_S6_PS5_21rocsparse_index_base_b
    .private_segment_fixed_size: 0
    .sgpr_count:     18
    .sgpr_spill_count: 0
    .symbol:         _ZN9rocsparseL19gebsrmvn_2xn_kernelILj128ELj14ELj64E21rocsparse_complex_numIfEEEvi20rocsparse_direction_NS_24const_host_device_scalarIT2_EEPKiS8_PKS5_SA_S6_PS5_21rocsparse_index_base_b.kd
    .uniform_work_group_size: 1
    .uses_dynamic_stack: false
    .vgpr_count:     30
    .vgpr_spill_count: 0
    .wavefront_size: 32
    .workgroup_processor_mode: 1
  - .args:
      - .offset:         0
        .size:           4
        .value_kind:     by_value
      - .offset:         4
        .size:           4
        .value_kind:     by_value
      - .offset:         8
        .size:           8
        .value_kind:     by_value
      - .actual_access:  read_only
        .address_space:  global
        .offset:         16
        .size:           8
        .value_kind:     global_buffer
      - .actual_access:  read_only
        .address_space:  global
        .offset:         24
        .size:           8
        .value_kind:     global_buffer
      - .actual_access:  read_only
        .address_space:  global
        .offset:         32
        .size:           8
        .value_kind:     global_buffer
      - .actual_access:  read_only
        .address_space:  global
        .offset:         40
        .size:           8
        .value_kind:     global_buffer
      - .offset:         48
        .size:           8
        .value_kind:     by_value
      - .address_space:  global
        .offset:         56
        .size:           8
        .value_kind:     global_buffer
      - .offset:         64
        .size:           4
        .value_kind:     by_value
      - .offset:         68
        .size:           1
        .value_kind:     by_value
    .group_segment_fixed_size: 0
    .kernarg_segment_align: 8
    .kernarg_segment_size: 72
    .language:       OpenCL C
    .language_version:
      - 2
      - 0
    .max_flat_workgroup_size: 128
    .name:           _ZN9rocsparseL19gebsrmvn_2xn_kernelILj128ELj15ELj4E21rocsparse_complex_numIfEEEvi20rocsparse_direction_NS_24const_host_device_scalarIT2_EEPKiS8_PKS5_SA_S6_PS5_21rocsparse_index_base_b
    .private_segment_fixed_size: 0
    .sgpr_count:     18
    .sgpr_spill_count: 0
    .symbol:         _ZN9rocsparseL19gebsrmvn_2xn_kernelILj128ELj15ELj4E21rocsparse_complex_numIfEEEvi20rocsparse_direction_NS_24const_host_device_scalarIT2_EEPKiS8_PKS5_SA_S6_PS5_21rocsparse_index_base_b.kd
    .uniform_work_group_size: 1
    .uses_dynamic_stack: false
    .vgpr_count:     53
    .vgpr_spill_count: 0
    .wavefront_size: 32
    .workgroup_processor_mode: 1
  - .args:
      - .offset:         0
        .size:           4
        .value_kind:     by_value
      - .offset:         4
        .size:           4
        .value_kind:     by_value
      - .offset:         8
        .size:           8
        .value_kind:     by_value
      - .actual_access:  read_only
        .address_space:  global
        .offset:         16
        .size:           8
        .value_kind:     global_buffer
      - .actual_access:  read_only
        .address_space:  global
        .offset:         24
        .size:           8
        .value_kind:     global_buffer
      - .actual_access:  read_only
        .address_space:  global
        .offset:         32
        .size:           8
        .value_kind:     global_buffer
      - .actual_access:  read_only
        .address_space:  global
        .offset:         40
        .size:           8
        .value_kind:     global_buffer
      - .offset:         48
        .size:           8
        .value_kind:     by_value
      - .address_space:  global
        .offset:         56
        .size:           8
        .value_kind:     global_buffer
      - .offset:         64
        .size:           4
        .value_kind:     by_value
      - .offset:         68
        .size:           1
        .value_kind:     by_value
    .group_segment_fixed_size: 0
    .kernarg_segment_align: 8
    .kernarg_segment_size: 72
    .language:       OpenCL C
    .language_version:
      - 2
      - 0
    .max_flat_workgroup_size: 128
    .name:           _ZN9rocsparseL19gebsrmvn_2xn_kernelILj128ELj15ELj8E21rocsparse_complex_numIfEEEvi20rocsparse_direction_NS_24const_host_device_scalarIT2_EEPKiS8_PKS5_SA_S6_PS5_21rocsparse_index_base_b
    .private_segment_fixed_size: 0
    .sgpr_count:     18
    .sgpr_spill_count: 0
    .symbol:         _ZN9rocsparseL19gebsrmvn_2xn_kernelILj128ELj15ELj8E21rocsparse_complex_numIfEEEvi20rocsparse_direction_NS_24const_host_device_scalarIT2_EEPKiS8_PKS5_SA_S6_PS5_21rocsparse_index_base_b.kd
    .uniform_work_group_size: 1
    .uses_dynamic_stack: false
    .vgpr_count:     53
    .vgpr_spill_count: 0
    .wavefront_size: 32
    .workgroup_processor_mode: 1
  - .args:
      - .offset:         0
        .size:           4
        .value_kind:     by_value
      - .offset:         4
        .size:           4
        .value_kind:     by_value
      - .offset:         8
        .size:           8
        .value_kind:     by_value
      - .actual_access:  read_only
        .address_space:  global
        .offset:         16
        .size:           8
        .value_kind:     global_buffer
      - .actual_access:  read_only
        .address_space:  global
        .offset:         24
        .size:           8
        .value_kind:     global_buffer
      - .actual_access:  read_only
        .address_space:  global
        .offset:         32
        .size:           8
        .value_kind:     global_buffer
      - .actual_access:  read_only
        .address_space:  global
        .offset:         40
        .size:           8
        .value_kind:     global_buffer
      - .offset:         48
        .size:           8
        .value_kind:     by_value
      - .address_space:  global
        .offset:         56
        .size:           8
        .value_kind:     global_buffer
      - .offset:         64
        .size:           4
        .value_kind:     by_value
      - .offset:         68
        .size:           1
        .value_kind:     by_value
    .group_segment_fixed_size: 0
    .kernarg_segment_align: 8
    .kernarg_segment_size: 72
    .language:       OpenCL C
    .language_version:
      - 2
      - 0
    .max_flat_workgroup_size: 128
    .name:           _ZN9rocsparseL19gebsrmvn_2xn_kernelILj128ELj15ELj16E21rocsparse_complex_numIfEEEvi20rocsparse_direction_NS_24const_host_device_scalarIT2_EEPKiS8_PKS5_SA_S6_PS5_21rocsparse_index_base_b
    .private_segment_fixed_size: 0
    .sgpr_count:     18
    .sgpr_spill_count: 0
    .symbol:         _ZN9rocsparseL19gebsrmvn_2xn_kernelILj128ELj15ELj16E21rocsparse_complex_numIfEEEvi20rocsparse_direction_NS_24const_host_device_scalarIT2_EEPKiS8_PKS5_SA_S6_PS5_21rocsparse_index_base_b.kd
    .uniform_work_group_size: 1
    .uses_dynamic_stack: false
    .vgpr_count:     53
    .vgpr_spill_count: 0
    .wavefront_size: 32
    .workgroup_processor_mode: 1
  - .args:
      - .offset:         0
        .size:           4
        .value_kind:     by_value
      - .offset:         4
        .size:           4
        .value_kind:     by_value
      - .offset:         8
        .size:           8
        .value_kind:     by_value
      - .actual_access:  read_only
        .address_space:  global
        .offset:         16
        .size:           8
        .value_kind:     global_buffer
      - .actual_access:  read_only
        .address_space:  global
        .offset:         24
        .size:           8
        .value_kind:     global_buffer
      - .actual_access:  read_only
        .address_space:  global
        .offset:         32
        .size:           8
        .value_kind:     global_buffer
      - .actual_access:  read_only
        .address_space:  global
        .offset:         40
        .size:           8
        .value_kind:     global_buffer
      - .offset:         48
        .size:           8
        .value_kind:     by_value
      - .address_space:  global
        .offset:         56
        .size:           8
        .value_kind:     global_buffer
      - .offset:         64
        .size:           4
        .value_kind:     by_value
      - .offset:         68
        .size:           1
        .value_kind:     by_value
    .group_segment_fixed_size: 0
    .kernarg_segment_align: 8
    .kernarg_segment_size: 72
    .language:       OpenCL C
    .language_version:
      - 2
      - 0
    .max_flat_workgroup_size: 128
    .name:           _ZN9rocsparseL19gebsrmvn_2xn_kernelILj128ELj15ELj32E21rocsparse_complex_numIfEEEvi20rocsparse_direction_NS_24const_host_device_scalarIT2_EEPKiS8_PKS5_SA_S6_PS5_21rocsparse_index_base_b
    .private_segment_fixed_size: 0
    .sgpr_count:     18
    .sgpr_spill_count: 0
    .symbol:         _ZN9rocsparseL19gebsrmvn_2xn_kernelILj128ELj15ELj32E21rocsparse_complex_numIfEEEvi20rocsparse_direction_NS_24const_host_device_scalarIT2_EEPKiS8_PKS5_SA_S6_PS5_21rocsparse_index_base_b.kd
    .uniform_work_group_size: 1
    .uses_dynamic_stack: false
    .vgpr_count:     53
    .vgpr_spill_count: 0
    .wavefront_size: 32
    .workgroup_processor_mode: 1
  - .args:
      - .offset:         0
        .size:           4
        .value_kind:     by_value
      - .offset:         4
        .size:           4
        .value_kind:     by_value
      - .offset:         8
        .size:           8
        .value_kind:     by_value
      - .actual_access:  read_only
        .address_space:  global
        .offset:         16
        .size:           8
        .value_kind:     global_buffer
      - .actual_access:  read_only
        .address_space:  global
        .offset:         24
        .size:           8
        .value_kind:     global_buffer
      - .actual_access:  read_only
        .address_space:  global
        .offset:         32
        .size:           8
        .value_kind:     global_buffer
      - .actual_access:  read_only
        .address_space:  global
        .offset:         40
        .size:           8
        .value_kind:     global_buffer
      - .offset:         48
        .size:           8
        .value_kind:     by_value
      - .address_space:  global
        .offset:         56
        .size:           8
        .value_kind:     global_buffer
      - .offset:         64
        .size:           4
        .value_kind:     by_value
      - .offset:         68
        .size:           1
        .value_kind:     by_value
    .group_segment_fixed_size: 0
    .kernarg_segment_align: 8
    .kernarg_segment_size: 72
    .language:       OpenCL C
    .language_version:
      - 2
      - 0
    .max_flat_workgroup_size: 128
    .name:           _ZN9rocsparseL19gebsrmvn_2xn_kernelILj128ELj15ELj64E21rocsparse_complex_numIfEEEvi20rocsparse_direction_NS_24const_host_device_scalarIT2_EEPKiS8_PKS5_SA_S6_PS5_21rocsparse_index_base_b
    .private_segment_fixed_size: 0
    .sgpr_count:     18
    .sgpr_spill_count: 0
    .symbol:         _ZN9rocsparseL19gebsrmvn_2xn_kernelILj128ELj15ELj64E21rocsparse_complex_numIfEEEvi20rocsparse_direction_NS_24const_host_device_scalarIT2_EEPKiS8_PKS5_SA_S6_PS5_21rocsparse_index_base_b.kd
    .uniform_work_group_size: 1
    .uses_dynamic_stack: false
    .vgpr_count:     53
    .vgpr_spill_count: 0
    .wavefront_size: 32
    .workgroup_processor_mode: 1
  - .args:
      - .offset:         0
        .size:           4
        .value_kind:     by_value
      - .offset:         4
        .size:           4
        .value_kind:     by_value
      - .offset:         8
        .size:           8
        .value_kind:     by_value
      - .actual_access:  read_only
        .address_space:  global
        .offset:         16
        .size:           8
        .value_kind:     global_buffer
      - .actual_access:  read_only
        .address_space:  global
        .offset:         24
        .size:           8
        .value_kind:     global_buffer
      - .actual_access:  read_only
        .address_space:  global
        .offset:         32
        .size:           8
        .value_kind:     global_buffer
      - .actual_access:  read_only
        .address_space:  global
        .offset:         40
        .size:           8
        .value_kind:     global_buffer
      - .offset:         48
        .size:           8
        .value_kind:     by_value
      - .address_space:  global
        .offset:         56
        .size:           8
        .value_kind:     global_buffer
      - .offset:         64
        .size:           4
        .value_kind:     by_value
      - .offset:         68
        .size:           1
        .value_kind:     by_value
    .group_segment_fixed_size: 0
    .kernarg_segment_align: 8
    .kernarg_segment_size: 72
    .language:       OpenCL C
    .language_version:
      - 2
      - 0
    .max_flat_workgroup_size: 128
    .name:           _ZN9rocsparseL19gebsrmvn_2xn_kernelILj128ELj16ELj4E21rocsparse_complex_numIfEEEvi20rocsparse_direction_NS_24const_host_device_scalarIT2_EEPKiS8_PKS5_SA_S6_PS5_21rocsparse_index_base_b
    .private_segment_fixed_size: 0
    .sgpr_count:     19
    .sgpr_spill_count: 0
    .symbol:         _ZN9rocsparseL19gebsrmvn_2xn_kernelILj128ELj16ELj4E21rocsparse_complex_numIfEEEvi20rocsparse_direction_NS_24const_host_device_scalarIT2_EEPKiS8_PKS5_SA_S6_PS5_21rocsparse_index_base_b.kd
    .uniform_work_group_size: 1
    .uses_dynamic_stack: false
    .vgpr_count:     47
    .vgpr_spill_count: 0
    .wavefront_size: 32
    .workgroup_processor_mode: 1
  - .args:
      - .offset:         0
        .size:           4
        .value_kind:     by_value
      - .offset:         4
        .size:           4
        .value_kind:     by_value
      - .offset:         8
        .size:           8
        .value_kind:     by_value
      - .actual_access:  read_only
        .address_space:  global
        .offset:         16
        .size:           8
        .value_kind:     global_buffer
      - .actual_access:  read_only
        .address_space:  global
        .offset:         24
        .size:           8
        .value_kind:     global_buffer
      - .actual_access:  read_only
        .address_space:  global
        .offset:         32
        .size:           8
        .value_kind:     global_buffer
      - .actual_access:  read_only
        .address_space:  global
        .offset:         40
        .size:           8
        .value_kind:     global_buffer
      - .offset:         48
        .size:           8
        .value_kind:     by_value
      - .address_space:  global
        .offset:         56
        .size:           8
        .value_kind:     global_buffer
      - .offset:         64
        .size:           4
        .value_kind:     by_value
      - .offset:         68
        .size:           1
        .value_kind:     by_value
    .group_segment_fixed_size: 0
    .kernarg_segment_align: 8
    .kernarg_segment_size: 72
    .language:       OpenCL C
    .language_version:
      - 2
      - 0
    .max_flat_workgroup_size: 128
    .name:           _ZN9rocsparseL19gebsrmvn_2xn_kernelILj128ELj16ELj8E21rocsparse_complex_numIfEEEvi20rocsparse_direction_NS_24const_host_device_scalarIT2_EEPKiS8_PKS5_SA_S6_PS5_21rocsparse_index_base_b
    .private_segment_fixed_size: 0
    .sgpr_count:     19
    .sgpr_spill_count: 0
    .symbol:         _ZN9rocsparseL19gebsrmvn_2xn_kernelILj128ELj16ELj8E21rocsparse_complex_numIfEEEvi20rocsparse_direction_NS_24const_host_device_scalarIT2_EEPKiS8_PKS5_SA_S6_PS5_21rocsparse_index_base_b.kd
    .uniform_work_group_size: 1
    .uses_dynamic_stack: false
    .vgpr_count:     47
    .vgpr_spill_count: 0
    .wavefront_size: 32
    .workgroup_processor_mode: 1
  - .args:
      - .offset:         0
        .size:           4
        .value_kind:     by_value
      - .offset:         4
        .size:           4
        .value_kind:     by_value
      - .offset:         8
        .size:           8
        .value_kind:     by_value
      - .actual_access:  read_only
        .address_space:  global
        .offset:         16
        .size:           8
        .value_kind:     global_buffer
      - .actual_access:  read_only
        .address_space:  global
        .offset:         24
        .size:           8
        .value_kind:     global_buffer
      - .actual_access:  read_only
        .address_space:  global
        .offset:         32
        .size:           8
        .value_kind:     global_buffer
      - .actual_access:  read_only
        .address_space:  global
        .offset:         40
        .size:           8
        .value_kind:     global_buffer
      - .offset:         48
        .size:           8
        .value_kind:     by_value
      - .address_space:  global
        .offset:         56
        .size:           8
        .value_kind:     global_buffer
      - .offset:         64
        .size:           4
        .value_kind:     by_value
      - .offset:         68
        .size:           1
        .value_kind:     by_value
    .group_segment_fixed_size: 0
    .kernarg_segment_align: 8
    .kernarg_segment_size: 72
    .language:       OpenCL C
    .language_version:
      - 2
      - 0
    .max_flat_workgroup_size: 128
    .name:           _ZN9rocsparseL19gebsrmvn_2xn_kernelILj128ELj16ELj16E21rocsparse_complex_numIfEEEvi20rocsparse_direction_NS_24const_host_device_scalarIT2_EEPKiS8_PKS5_SA_S6_PS5_21rocsparse_index_base_b
    .private_segment_fixed_size: 0
    .sgpr_count:     19
    .sgpr_spill_count: 0
    .symbol:         _ZN9rocsparseL19gebsrmvn_2xn_kernelILj128ELj16ELj16E21rocsparse_complex_numIfEEEvi20rocsparse_direction_NS_24const_host_device_scalarIT2_EEPKiS8_PKS5_SA_S6_PS5_21rocsparse_index_base_b.kd
    .uniform_work_group_size: 1
    .uses_dynamic_stack: false
    .vgpr_count:     47
    .vgpr_spill_count: 0
    .wavefront_size: 32
    .workgroup_processor_mode: 1
  - .args:
      - .offset:         0
        .size:           4
        .value_kind:     by_value
      - .offset:         4
        .size:           4
        .value_kind:     by_value
      - .offset:         8
        .size:           8
        .value_kind:     by_value
      - .actual_access:  read_only
        .address_space:  global
        .offset:         16
        .size:           8
        .value_kind:     global_buffer
      - .actual_access:  read_only
        .address_space:  global
        .offset:         24
        .size:           8
        .value_kind:     global_buffer
      - .actual_access:  read_only
        .address_space:  global
        .offset:         32
        .size:           8
        .value_kind:     global_buffer
      - .actual_access:  read_only
        .address_space:  global
        .offset:         40
        .size:           8
        .value_kind:     global_buffer
      - .offset:         48
        .size:           8
        .value_kind:     by_value
      - .address_space:  global
        .offset:         56
        .size:           8
        .value_kind:     global_buffer
      - .offset:         64
        .size:           4
        .value_kind:     by_value
      - .offset:         68
        .size:           1
        .value_kind:     by_value
    .group_segment_fixed_size: 0
    .kernarg_segment_align: 8
    .kernarg_segment_size: 72
    .language:       OpenCL C
    .language_version:
      - 2
      - 0
    .max_flat_workgroup_size: 128
    .name:           _ZN9rocsparseL19gebsrmvn_2xn_kernelILj128ELj16ELj32E21rocsparse_complex_numIfEEEvi20rocsparse_direction_NS_24const_host_device_scalarIT2_EEPKiS8_PKS5_SA_S6_PS5_21rocsparse_index_base_b
    .private_segment_fixed_size: 0
    .sgpr_count:     19
    .sgpr_spill_count: 0
    .symbol:         _ZN9rocsparseL19gebsrmvn_2xn_kernelILj128ELj16ELj32E21rocsparse_complex_numIfEEEvi20rocsparse_direction_NS_24const_host_device_scalarIT2_EEPKiS8_PKS5_SA_S6_PS5_21rocsparse_index_base_b.kd
    .uniform_work_group_size: 1
    .uses_dynamic_stack: false
    .vgpr_count:     47
    .vgpr_spill_count: 0
    .wavefront_size: 32
    .workgroup_processor_mode: 1
  - .args:
      - .offset:         0
        .size:           4
        .value_kind:     by_value
      - .offset:         4
        .size:           4
        .value_kind:     by_value
      - .offset:         8
        .size:           8
        .value_kind:     by_value
      - .actual_access:  read_only
        .address_space:  global
        .offset:         16
        .size:           8
        .value_kind:     global_buffer
      - .actual_access:  read_only
        .address_space:  global
        .offset:         24
        .size:           8
        .value_kind:     global_buffer
      - .actual_access:  read_only
        .address_space:  global
        .offset:         32
        .size:           8
        .value_kind:     global_buffer
      - .actual_access:  read_only
        .address_space:  global
        .offset:         40
        .size:           8
        .value_kind:     global_buffer
      - .offset:         48
        .size:           8
        .value_kind:     by_value
      - .address_space:  global
        .offset:         56
        .size:           8
        .value_kind:     global_buffer
      - .offset:         64
        .size:           4
        .value_kind:     by_value
      - .offset:         68
        .size:           1
        .value_kind:     by_value
    .group_segment_fixed_size: 0
    .kernarg_segment_align: 8
    .kernarg_segment_size: 72
    .language:       OpenCL C
    .language_version:
      - 2
      - 0
    .max_flat_workgroup_size: 128
    .name:           _ZN9rocsparseL19gebsrmvn_2xn_kernelILj128ELj16ELj64E21rocsparse_complex_numIfEEEvi20rocsparse_direction_NS_24const_host_device_scalarIT2_EEPKiS8_PKS5_SA_S6_PS5_21rocsparse_index_base_b
    .private_segment_fixed_size: 0
    .sgpr_count:     19
    .sgpr_spill_count: 0
    .symbol:         _ZN9rocsparseL19gebsrmvn_2xn_kernelILj128ELj16ELj64E21rocsparse_complex_numIfEEEvi20rocsparse_direction_NS_24const_host_device_scalarIT2_EEPKiS8_PKS5_SA_S6_PS5_21rocsparse_index_base_b.kd
    .uniform_work_group_size: 1
    .uses_dynamic_stack: false
    .vgpr_count:     47
    .vgpr_spill_count: 0
    .wavefront_size: 32
    .workgroup_processor_mode: 1
  - .args:
      - .offset:         0
        .size:           4
        .value_kind:     by_value
      - .offset:         4
        .size:           4
        .value_kind:     by_value
      - .offset:         8
        .size:           8
        .value_kind:     by_value
      - .actual_access:  read_only
        .address_space:  global
        .offset:         16
        .size:           8
        .value_kind:     global_buffer
      - .actual_access:  read_only
        .address_space:  global
        .offset:         24
        .size:           8
        .value_kind:     global_buffer
      - .actual_access:  read_only
        .address_space:  global
        .offset:         32
        .size:           8
        .value_kind:     global_buffer
      - .offset:         40
        .size:           4
        .value_kind:     by_value
      - .offset:         44
        .size:           4
        .value_kind:     by_value
      - .actual_access:  read_only
        .address_space:  global
        .offset:         48
        .size:           8
        .value_kind:     global_buffer
      - .offset:         56
        .size:           8
        .value_kind:     by_value
      - .address_space:  global
        .offset:         64
        .size:           8
        .value_kind:     global_buffer
      - .offset:         72
        .size:           4
        .value_kind:     by_value
      - .offset:         76
        .size:           1
        .value_kind:     by_value
    .group_segment_fixed_size: 0
    .kernarg_segment_align: 8
    .kernarg_segment_size: 80
    .language:       OpenCL C
    .language_version:
      - 2
      - 0
    .max_flat_workgroup_size: 32
    .name:           _ZN9rocsparseL23gebsrmvn_general_kernelILj32ELj32E21rocsparse_complex_numIfEEEvi20rocsparse_direction_NS_24const_host_device_scalarIT1_EEPKiS8_PKS5_iiSA_S6_PS5_21rocsparse_index_base_b
    .private_segment_fixed_size: 0
    .sgpr_count:     28
    .sgpr_spill_count: 0
    .symbol:         _ZN9rocsparseL23gebsrmvn_general_kernelILj32ELj32E21rocsparse_complex_numIfEEEvi20rocsparse_direction_NS_24const_host_device_scalarIT1_EEPKiS8_PKS5_iiSA_S6_PS5_21rocsparse_index_base_b.kd
    .uniform_work_group_size: 1
    .uses_dynamic_stack: false
    .vgpr_count:     20
    .vgpr_spill_count: 0
    .wavefront_size: 32
    .workgroup_processor_mode: 1
  - .args:
      - .offset:         0
        .size:           4
        .value_kind:     by_value
      - .offset:         4
        .size:           4
        .value_kind:     by_value
      - .offset:         8
        .size:           16
        .value_kind:     by_value
      - .actual_access:  read_only
        .address_space:  global
        .offset:         24
        .size:           8
        .value_kind:     global_buffer
      - .actual_access:  read_only
        .address_space:  global
        .offset:         32
        .size:           8
        .value_kind:     global_buffer
      - .actual_access:  read_only
        .address_space:  global
        .offset:         40
        .size:           8
        .value_kind:     global_buffer
      - .actual_access:  read_only
        .address_space:  global
        .offset:         48
        .size:           8
        .value_kind:     global_buffer
      - .offset:         56
        .size:           16
        .value_kind:     by_value
      - .address_space:  global
        .offset:         72
        .size:           8
        .value_kind:     global_buffer
      - .offset:         80
        .size:           4
        .value_kind:     by_value
      - .offset:         84
        .size:           1
        .value_kind:     by_value
    .group_segment_fixed_size: 0
    .kernarg_segment_align: 8
    .kernarg_segment_size: 88
    .language:       OpenCL C
    .language_version:
      - 2
      - 0
    .max_flat_workgroup_size: 128
    .name:           _ZN9rocsparseL19gebsrmvn_2xn_kernelILj128ELj1ELj4E21rocsparse_complex_numIdEEEvi20rocsparse_direction_NS_24const_host_device_scalarIT2_EEPKiS8_PKS5_SA_S6_PS5_21rocsparse_index_base_b
    .private_segment_fixed_size: 0
    .sgpr_count:     18
    .sgpr_spill_count: 0
    .symbol:         _ZN9rocsparseL19gebsrmvn_2xn_kernelILj128ELj1ELj4E21rocsparse_complex_numIdEEEvi20rocsparse_direction_NS_24const_host_device_scalarIT2_EEPKiS8_PKS5_SA_S6_PS5_21rocsparse_index_base_b.kd
    .uniform_work_group_size: 1
    .uses_dynamic_stack: false
    .vgpr_count:     36
    .vgpr_spill_count: 0
    .wavefront_size: 32
    .workgroup_processor_mode: 1
  - .args:
      - .offset:         0
        .size:           4
        .value_kind:     by_value
      - .offset:         4
        .size:           4
        .value_kind:     by_value
      - .offset:         8
        .size:           16
        .value_kind:     by_value
      - .actual_access:  read_only
        .address_space:  global
        .offset:         24
        .size:           8
        .value_kind:     global_buffer
      - .actual_access:  read_only
        .address_space:  global
        .offset:         32
        .size:           8
        .value_kind:     global_buffer
      - .actual_access:  read_only
        .address_space:  global
        .offset:         40
        .size:           8
        .value_kind:     global_buffer
      - .actual_access:  read_only
        .address_space:  global
        .offset:         48
        .size:           8
        .value_kind:     global_buffer
      - .offset:         56
        .size:           16
        .value_kind:     by_value
      - .address_space:  global
        .offset:         72
        .size:           8
        .value_kind:     global_buffer
      - .offset:         80
        .size:           4
        .value_kind:     by_value
      - .offset:         84
        .size:           1
        .value_kind:     by_value
    .group_segment_fixed_size: 0
    .kernarg_segment_align: 8
    .kernarg_segment_size: 88
    .language:       OpenCL C
    .language_version:
      - 2
      - 0
    .max_flat_workgroup_size: 128
    .name:           _ZN9rocsparseL19gebsrmvn_2xn_kernelILj128ELj1ELj8E21rocsparse_complex_numIdEEEvi20rocsparse_direction_NS_24const_host_device_scalarIT2_EEPKiS8_PKS5_SA_S6_PS5_21rocsparse_index_base_b
    .private_segment_fixed_size: 0
    .sgpr_count:     18
    .sgpr_spill_count: 0
    .symbol:         _ZN9rocsparseL19gebsrmvn_2xn_kernelILj128ELj1ELj8E21rocsparse_complex_numIdEEEvi20rocsparse_direction_NS_24const_host_device_scalarIT2_EEPKiS8_PKS5_SA_S6_PS5_21rocsparse_index_base_b.kd
    .uniform_work_group_size: 1
    .uses_dynamic_stack: false
    .vgpr_count:     36
    .vgpr_spill_count: 0
    .wavefront_size: 32
    .workgroup_processor_mode: 1
  - .args:
      - .offset:         0
        .size:           4
        .value_kind:     by_value
      - .offset:         4
        .size:           4
        .value_kind:     by_value
      - .offset:         8
        .size:           16
        .value_kind:     by_value
      - .actual_access:  read_only
        .address_space:  global
        .offset:         24
        .size:           8
        .value_kind:     global_buffer
      - .actual_access:  read_only
        .address_space:  global
        .offset:         32
        .size:           8
        .value_kind:     global_buffer
      - .actual_access:  read_only
        .address_space:  global
        .offset:         40
        .size:           8
        .value_kind:     global_buffer
      - .actual_access:  read_only
        .address_space:  global
        .offset:         48
        .size:           8
        .value_kind:     global_buffer
      - .offset:         56
        .size:           16
        .value_kind:     by_value
      - .address_space:  global
        .offset:         72
        .size:           8
        .value_kind:     global_buffer
      - .offset:         80
        .size:           4
        .value_kind:     by_value
      - .offset:         84
        .size:           1
        .value_kind:     by_value
    .group_segment_fixed_size: 0
    .kernarg_segment_align: 8
    .kernarg_segment_size: 88
    .language:       OpenCL C
    .language_version:
      - 2
      - 0
    .max_flat_workgroup_size: 128
    .name:           _ZN9rocsparseL19gebsrmvn_2xn_kernelILj128ELj1ELj16E21rocsparse_complex_numIdEEEvi20rocsparse_direction_NS_24const_host_device_scalarIT2_EEPKiS8_PKS5_SA_S6_PS5_21rocsparse_index_base_b
    .private_segment_fixed_size: 0
    .sgpr_count:     18
    .sgpr_spill_count: 0
    .symbol:         _ZN9rocsparseL19gebsrmvn_2xn_kernelILj128ELj1ELj16E21rocsparse_complex_numIdEEEvi20rocsparse_direction_NS_24const_host_device_scalarIT2_EEPKiS8_PKS5_SA_S6_PS5_21rocsparse_index_base_b.kd
    .uniform_work_group_size: 1
    .uses_dynamic_stack: false
    .vgpr_count:     36
    .vgpr_spill_count: 0
    .wavefront_size: 32
    .workgroup_processor_mode: 1
  - .args:
      - .offset:         0
        .size:           4
        .value_kind:     by_value
      - .offset:         4
        .size:           4
        .value_kind:     by_value
      - .offset:         8
        .size:           16
        .value_kind:     by_value
      - .actual_access:  read_only
        .address_space:  global
        .offset:         24
        .size:           8
        .value_kind:     global_buffer
      - .actual_access:  read_only
        .address_space:  global
        .offset:         32
        .size:           8
        .value_kind:     global_buffer
      - .actual_access:  read_only
        .address_space:  global
        .offset:         40
        .size:           8
        .value_kind:     global_buffer
      - .actual_access:  read_only
        .address_space:  global
        .offset:         48
        .size:           8
        .value_kind:     global_buffer
      - .offset:         56
        .size:           16
        .value_kind:     by_value
      - .address_space:  global
        .offset:         72
        .size:           8
        .value_kind:     global_buffer
      - .offset:         80
        .size:           4
        .value_kind:     by_value
      - .offset:         84
        .size:           1
        .value_kind:     by_value
    .group_segment_fixed_size: 0
    .kernarg_segment_align: 8
    .kernarg_segment_size: 88
    .language:       OpenCL C
    .language_version:
      - 2
      - 0
    .max_flat_workgroup_size: 128
    .name:           _ZN9rocsparseL19gebsrmvn_2xn_kernelILj128ELj1ELj32E21rocsparse_complex_numIdEEEvi20rocsparse_direction_NS_24const_host_device_scalarIT2_EEPKiS8_PKS5_SA_S6_PS5_21rocsparse_index_base_b
    .private_segment_fixed_size: 0
    .sgpr_count:     18
    .sgpr_spill_count: 0
    .symbol:         _ZN9rocsparseL19gebsrmvn_2xn_kernelILj128ELj1ELj32E21rocsparse_complex_numIdEEEvi20rocsparse_direction_NS_24const_host_device_scalarIT2_EEPKiS8_PKS5_SA_S6_PS5_21rocsparse_index_base_b.kd
    .uniform_work_group_size: 1
    .uses_dynamic_stack: false
    .vgpr_count:     36
    .vgpr_spill_count: 0
    .wavefront_size: 32
    .workgroup_processor_mode: 1
  - .args:
      - .offset:         0
        .size:           4
        .value_kind:     by_value
      - .offset:         4
        .size:           4
        .value_kind:     by_value
      - .offset:         8
        .size:           16
        .value_kind:     by_value
      - .actual_access:  read_only
        .address_space:  global
        .offset:         24
        .size:           8
        .value_kind:     global_buffer
      - .actual_access:  read_only
        .address_space:  global
        .offset:         32
        .size:           8
        .value_kind:     global_buffer
      - .actual_access:  read_only
        .address_space:  global
        .offset:         40
        .size:           8
        .value_kind:     global_buffer
      - .actual_access:  read_only
        .address_space:  global
        .offset:         48
        .size:           8
        .value_kind:     global_buffer
      - .offset:         56
        .size:           16
        .value_kind:     by_value
      - .address_space:  global
        .offset:         72
        .size:           8
        .value_kind:     global_buffer
      - .offset:         80
        .size:           4
        .value_kind:     by_value
      - .offset:         84
        .size:           1
        .value_kind:     by_value
    .group_segment_fixed_size: 0
    .kernarg_segment_align: 8
    .kernarg_segment_size: 88
    .language:       OpenCL C
    .language_version:
      - 2
      - 0
    .max_flat_workgroup_size: 128
    .name:           _ZN9rocsparseL19gebsrmvn_2xn_kernelILj128ELj1ELj64E21rocsparse_complex_numIdEEEvi20rocsparse_direction_NS_24const_host_device_scalarIT2_EEPKiS8_PKS5_SA_S6_PS5_21rocsparse_index_base_b
    .private_segment_fixed_size: 0
    .sgpr_count:     18
    .sgpr_spill_count: 0
    .symbol:         _ZN9rocsparseL19gebsrmvn_2xn_kernelILj128ELj1ELj64E21rocsparse_complex_numIdEEEvi20rocsparse_direction_NS_24const_host_device_scalarIT2_EEPKiS8_PKS5_SA_S6_PS5_21rocsparse_index_base_b.kd
    .uniform_work_group_size: 1
    .uses_dynamic_stack: false
    .vgpr_count:     36
    .vgpr_spill_count: 0
    .wavefront_size: 32
    .workgroup_processor_mode: 1
  - .args:
      - .offset:         0
        .size:           4
        .value_kind:     by_value
      - .offset:         4
        .size:           4
        .value_kind:     by_value
      - .offset:         8
        .size:           16
        .value_kind:     by_value
      - .actual_access:  read_only
        .address_space:  global
        .offset:         24
        .size:           8
        .value_kind:     global_buffer
      - .actual_access:  read_only
        .address_space:  global
        .offset:         32
        .size:           8
        .value_kind:     global_buffer
      - .actual_access:  read_only
        .address_space:  global
        .offset:         40
        .size:           8
        .value_kind:     global_buffer
      - .actual_access:  read_only
        .address_space:  global
        .offset:         48
        .size:           8
        .value_kind:     global_buffer
      - .offset:         56
        .size:           16
        .value_kind:     by_value
      - .address_space:  global
        .offset:         72
        .size:           8
        .value_kind:     global_buffer
      - .offset:         80
        .size:           4
        .value_kind:     by_value
      - .offset:         84
        .size:           1
        .value_kind:     by_value
    .group_segment_fixed_size: 0
    .kernarg_segment_align: 8
    .kernarg_segment_size: 88
    .language:       OpenCL C
    .language_version:
      - 2
      - 0
    .max_flat_workgroup_size: 128
    .name:           _ZN9rocsparseL19gebsrmvn_2xn_kernelILj128ELj3ELj4E21rocsparse_complex_numIdEEEvi20rocsparse_direction_NS_24const_host_device_scalarIT2_EEPKiS8_PKS5_SA_S6_PS5_21rocsparse_index_base_b
    .private_segment_fixed_size: 0
    .sgpr_count:     18
    .sgpr_spill_count: 0
    .symbol:         _ZN9rocsparseL19gebsrmvn_2xn_kernelILj128ELj3ELj4E21rocsparse_complex_numIdEEEvi20rocsparse_direction_NS_24const_host_device_scalarIT2_EEPKiS8_PKS5_SA_S6_PS5_21rocsparse_index_base_b.kd
    .uniform_work_group_size: 1
    .uses_dynamic_stack: false
    .vgpr_count:     61
    .vgpr_spill_count: 0
    .wavefront_size: 32
    .workgroup_processor_mode: 1
  - .args:
      - .offset:         0
        .size:           4
        .value_kind:     by_value
      - .offset:         4
        .size:           4
        .value_kind:     by_value
      - .offset:         8
        .size:           16
        .value_kind:     by_value
      - .actual_access:  read_only
        .address_space:  global
        .offset:         24
        .size:           8
        .value_kind:     global_buffer
      - .actual_access:  read_only
        .address_space:  global
        .offset:         32
        .size:           8
        .value_kind:     global_buffer
      - .actual_access:  read_only
        .address_space:  global
        .offset:         40
        .size:           8
        .value_kind:     global_buffer
      - .actual_access:  read_only
        .address_space:  global
        .offset:         48
        .size:           8
        .value_kind:     global_buffer
      - .offset:         56
        .size:           16
        .value_kind:     by_value
      - .address_space:  global
        .offset:         72
        .size:           8
        .value_kind:     global_buffer
      - .offset:         80
        .size:           4
        .value_kind:     by_value
      - .offset:         84
        .size:           1
        .value_kind:     by_value
    .group_segment_fixed_size: 0
    .kernarg_segment_align: 8
    .kernarg_segment_size: 88
    .language:       OpenCL C
    .language_version:
      - 2
      - 0
    .max_flat_workgroup_size: 128
    .name:           _ZN9rocsparseL19gebsrmvn_2xn_kernelILj128ELj3ELj8E21rocsparse_complex_numIdEEEvi20rocsparse_direction_NS_24const_host_device_scalarIT2_EEPKiS8_PKS5_SA_S6_PS5_21rocsparse_index_base_b
    .private_segment_fixed_size: 0
    .sgpr_count:     18
    .sgpr_spill_count: 0
    .symbol:         _ZN9rocsparseL19gebsrmvn_2xn_kernelILj128ELj3ELj8E21rocsparse_complex_numIdEEEvi20rocsparse_direction_NS_24const_host_device_scalarIT2_EEPKiS8_PKS5_SA_S6_PS5_21rocsparse_index_base_b.kd
    .uniform_work_group_size: 1
    .uses_dynamic_stack: false
    .vgpr_count:     61
    .vgpr_spill_count: 0
    .wavefront_size: 32
    .workgroup_processor_mode: 1
  - .args:
      - .offset:         0
        .size:           4
        .value_kind:     by_value
      - .offset:         4
        .size:           4
        .value_kind:     by_value
      - .offset:         8
        .size:           16
        .value_kind:     by_value
      - .actual_access:  read_only
        .address_space:  global
        .offset:         24
        .size:           8
        .value_kind:     global_buffer
      - .actual_access:  read_only
        .address_space:  global
        .offset:         32
        .size:           8
        .value_kind:     global_buffer
      - .actual_access:  read_only
        .address_space:  global
        .offset:         40
        .size:           8
        .value_kind:     global_buffer
      - .actual_access:  read_only
        .address_space:  global
        .offset:         48
        .size:           8
        .value_kind:     global_buffer
      - .offset:         56
        .size:           16
        .value_kind:     by_value
      - .address_space:  global
        .offset:         72
        .size:           8
        .value_kind:     global_buffer
      - .offset:         80
        .size:           4
        .value_kind:     by_value
      - .offset:         84
        .size:           1
        .value_kind:     by_value
    .group_segment_fixed_size: 0
    .kernarg_segment_align: 8
    .kernarg_segment_size: 88
    .language:       OpenCL C
    .language_version:
      - 2
      - 0
    .max_flat_workgroup_size: 128
    .name:           _ZN9rocsparseL19gebsrmvn_2xn_kernelILj128ELj3ELj16E21rocsparse_complex_numIdEEEvi20rocsparse_direction_NS_24const_host_device_scalarIT2_EEPKiS8_PKS5_SA_S6_PS5_21rocsparse_index_base_b
    .private_segment_fixed_size: 0
    .sgpr_count:     18
    .sgpr_spill_count: 0
    .symbol:         _ZN9rocsparseL19gebsrmvn_2xn_kernelILj128ELj3ELj16E21rocsparse_complex_numIdEEEvi20rocsparse_direction_NS_24const_host_device_scalarIT2_EEPKiS8_PKS5_SA_S6_PS5_21rocsparse_index_base_b.kd
    .uniform_work_group_size: 1
    .uses_dynamic_stack: false
    .vgpr_count:     60
    .vgpr_spill_count: 0
    .wavefront_size: 32
    .workgroup_processor_mode: 1
  - .args:
      - .offset:         0
        .size:           4
        .value_kind:     by_value
      - .offset:         4
        .size:           4
        .value_kind:     by_value
      - .offset:         8
        .size:           16
        .value_kind:     by_value
      - .actual_access:  read_only
        .address_space:  global
        .offset:         24
        .size:           8
        .value_kind:     global_buffer
      - .actual_access:  read_only
        .address_space:  global
        .offset:         32
        .size:           8
        .value_kind:     global_buffer
      - .actual_access:  read_only
        .address_space:  global
        .offset:         40
        .size:           8
        .value_kind:     global_buffer
      - .actual_access:  read_only
        .address_space:  global
        .offset:         48
        .size:           8
        .value_kind:     global_buffer
      - .offset:         56
        .size:           16
        .value_kind:     by_value
      - .address_space:  global
        .offset:         72
        .size:           8
        .value_kind:     global_buffer
      - .offset:         80
        .size:           4
        .value_kind:     by_value
      - .offset:         84
        .size:           1
        .value_kind:     by_value
    .group_segment_fixed_size: 0
    .kernarg_segment_align: 8
    .kernarg_segment_size: 88
    .language:       OpenCL C
    .language_version:
      - 2
      - 0
    .max_flat_workgroup_size: 128
    .name:           _ZN9rocsparseL19gebsrmvn_2xn_kernelILj128ELj3ELj32E21rocsparse_complex_numIdEEEvi20rocsparse_direction_NS_24const_host_device_scalarIT2_EEPKiS8_PKS5_SA_S6_PS5_21rocsparse_index_base_b
    .private_segment_fixed_size: 0
    .sgpr_count:     18
    .sgpr_spill_count: 0
    .symbol:         _ZN9rocsparseL19gebsrmvn_2xn_kernelILj128ELj3ELj32E21rocsparse_complex_numIdEEEvi20rocsparse_direction_NS_24const_host_device_scalarIT2_EEPKiS8_PKS5_SA_S6_PS5_21rocsparse_index_base_b.kd
    .uniform_work_group_size: 1
    .uses_dynamic_stack: false
    .vgpr_count:     60
    .vgpr_spill_count: 0
    .wavefront_size: 32
    .workgroup_processor_mode: 1
  - .args:
      - .offset:         0
        .size:           4
        .value_kind:     by_value
      - .offset:         4
        .size:           4
        .value_kind:     by_value
      - .offset:         8
        .size:           16
        .value_kind:     by_value
      - .actual_access:  read_only
        .address_space:  global
        .offset:         24
        .size:           8
        .value_kind:     global_buffer
      - .actual_access:  read_only
        .address_space:  global
        .offset:         32
        .size:           8
        .value_kind:     global_buffer
      - .actual_access:  read_only
        .address_space:  global
        .offset:         40
        .size:           8
        .value_kind:     global_buffer
      - .actual_access:  read_only
        .address_space:  global
        .offset:         48
        .size:           8
        .value_kind:     global_buffer
      - .offset:         56
        .size:           16
        .value_kind:     by_value
      - .address_space:  global
        .offset:         72
        .size:           8
        .value_kind:     global_buffer
      - .offset:         80
        .size:           4
        .value_kind:     by_value
      - .offset:         84
        .size:           1
        .value_kind:     by_value
    .group_segment_fixed_size: 0
    .kernarg_segment_align: 8
    .kernarg_segment_size: 88
    .language:       OpenCL C
    .language_version:
      - 2
      - 0
    .max_flat_workgroup_size: 128
    .name:           _ZN9rocsparseL19gebsrmvn_2xn_kernelILj128ELj3ELj64E21rocsparse_complex_numIdEEEvi20rocsparse_direction_NS_24const_host_device_scalarIT2_EEPKiS8_PKS5_SA_S6_PS5_21rocsparse_index_base_b
    .private_segment_fixed_size: 0
    .sgpr_count:     18
    .sgpr_spill_count: 0
    .symbol:         _ZN9rocsparseL19gebsrmvn_2xn_kernelILj128ELj3ELj64E21rocsparse_complex_numIdEEEvi20rocsparse_direction_NS_24const_host_device_scalarIT2_EEPKiS8_PKS5_SA_S6_PS5_21rocsparse_index_base_b.kd
    .uniform_work_group_size: 1
    .uses_dynamic_stack: false
    .vgpr_count:     60
    .vgpr_spill_count: 0
    .wavefront_size: 32
    .workgroup_processor_mode: 1
  - .args:
      - .offset:         0
        .size:           4
        .value_kind:     by_value
      - .offset:         4
        .size:           4
        .value_kind:     by_value
      - .offset:         8
        .size:           16
        .value_kind:     by_value
      - .actual_access:  read_only
        .address_space:  global
        .offset:         24
        .size:           8
        .value_kind:     global_buffer
      - .actual_access:  read_only
        .address_space:  global
        .offset:         32
        .size:           8
        .value_kind:     global_buffer
      - .actual_access:  read_only
        .address_space:  global
        .offset:         40
        .size:           8
        .value_kind:     global_buffer
      - .actual_access:  read_only
        .address_space:  global
        .offset:         48
        .size:           8
        .value_kind:     global_buffer
      - .offset:         56
        .size:           16
        .value_kind:     by_value
      - .address_space:  global
        .offset:         72
        .size:           8
        .value_kind:     global_buffer
      - .offset:         80
        .size:           4
        .value_kind:     by_value
      - .offset:         84
        .size:           1
        .value_kind:     by_value
    .group_segment_fixed_size: 0
    .kernarg_segment_align: 8
    .kernarg_segment_size: 88
    .language:       OpenCL C
    .language_version:
      - 2
      - 0
    .max_flat_workgroup_size: 128
    .name:           _ZN9rocsparseL19gebsrmvn_2xn_kernelILj128ELj4ELj4E21rocsparse_complex_numIdEEEvi20rocsparse_direction_NS_24const_host_device_scalarIT2_EEPKiS8_PKS5_SA_S6_PS5_21rocsparse_index_base_b
    .private_segment_fixed_size: 0
    .sgpr_count:     18
    .sgpr_spill_count: 0
    .symbol:         _ZN9rocsparseL19gebsrmvn_2xn_kernelILj128ELj4ELj4E21rocsparse_complex_numIdEEEvi20rocsparse_direction_NS_24const_host_device_scalarIT2_EEPKiS8_PKS5_SA_S6_PS5_21rocsparse_index_base_b.kd
    .uniform_work_group_size: 1
    .uses_dynamic_stack: false
    .vgpr_count:     73
    .vgpr_spill_count: 0
    .wavefront_size: 32
    .workgroup_processor_mode: 1
  - .args:
      - .offset:         0
        .size:           4
        .value_kind:     by_value
      - .offset:         4
        .size:           4
        .value_kind:     by_value
      - .offset:         8
        .size:           16
        .value_kind:     by_value
      - .actual_access:  read_only
        .address_space:  global
        .offset:         24
        .size:           8
        .value_kind:     global_buffer
      - .actual_access:  read_only
        .address_space:  global
        .offset:         32
        .size:           8
        .value_kind:     global_buffer
      - .actual_access:  read_only
        .address_space:  global
        .offset:         40
        .size:           8
        .value_kind:     global_buffer
      - .actual_access:  read_only
        .address_space:  global
        .offset:         48
        .size:           8
        .value_kind:     global_buffer
      - .offset:         56
        .size:           16
        .value_kind:     by_value
      - .address_space:  global
        .offset:         72
        .size:           8
        .value_kind:     global_buffer
      - .offset:         80
        .size:           4
        .value_kind:     by_value
      - .offset:         84
        .size:           1
        .value_kind:     by_value
    .group_segment_fixed_size: 0
    .kernarg_segment_align: 8
    .kernarg_segment_size: 88
    .language:       OpenCL C
    .language_version:
      - 2
      - 0
    .max_flat_workgroup_size: 128
    .name:           _ZN9rocsparseL19gebsrmvn_2xn_kernelILj128ELj4ELj8E21rocsparse_complex_numIdEEEvi20rocsparse_direction_NS_24const_host_device_scalarIT2_EEPKiS8_PKS5_SA_S6_PS5_21rocsparse_index_base_b
    .private_segment_fixed_size: 0
    .sgpr_count:     18
    .sgpr_spill_count: 0
    .symbol:         _ZN9rocsparseL19gebsrmvn_2xn_kernelILj128ELj4ELj8E21rocsparse_complex_numIdEEEvi20rocsparse_direction_NS_24const_host_device_scalarIT2_EEPKiS8_PKS5_SA_S6_PS5_21rocsparse_index_base_b.kd
    .uniform_work_group_size: 1
    .uses_dynamic_stack: false
    .vgpr_count:     73
    .vgpr_spill_count: 0
    .wavefront_size: 32
    .workgroup_processor_mode: 1
  - .args:
      - .offset:         0
        .size:           4
        .value_kind:     by_value
      - .offset:         4
        .size:           4
        .value_kind:     by_value
      - .offset:         8
        .size:           16
        .value_kind:     by_value
      - .actual_access:  read_only
        .address_space:  global
        .offset:         24
        .size:           8
        .value_kind:     global_buffer
      - .actual_access:  read_only
        .address_space:  global
        .offset:         32
        .size:           8
        .value_kind:     global_buffer
      - .actual_access:  read_only
        .address_space:  global
        .offset:         40
        .size:           8
        .value_kind:     global_buffer
      - .actual_access:  read_only
        .address_space:  global
        .offset:         48
        .size:           8
        .value_kind:     global_buffer
      - .offset:         56
        .size:           16
        .value_kind:     by_value
      - .address_space:  global
        .offset:         72
        .size:           8
        .value_kind:     global_buffer
      - .offset:         80
        .size:           4
        .value_kind:     by_value
      - .offset:         84
        .size:           1
        .value_kind:     by_value
    .group_segment_fixed_size: 0
    .kernarg_segment_align: 8
    .kernarg_segment_size: 88
    .language:       OpenCL C
    .language_version:
      - 2
      - 0
    .max_flat_workgroup_size: 128
    .name:           _ZN9rocsparseL19gebsrmvn_2xn_kernelILj128ELj4ELj16E21rocsparse_complex_numIdEEEvi20rocsparse_direction_NS_24const_host_device_scalarIT2_EEPKiS8_PKS5_SA_S6_PS5_21rocsparse_index_base_b
    .private_segment_fixed_size: 0
    .sgpr_count:     18
    .sgpr_spill_count: 0
    .symbol:         _ZN9rocsparseL19gebsrmvn_2xn_kernelILj128ELj4ELj16E21rocsparse_complex_numIdEEEvi20rocsparse_direction_NS_24const_host_device_scalarIT2_EEPKiS8_PKS5_SA_S6_PS5_21rocsparse_index_base_b.kd
    .uniform_work_group_size: 1
    .uses_dynamic_stack: false
    .vgpr_count:     73
    .vgpr_spill_count: 0
    .wavefront_size: 32
    .workgroup_processor_mode: 1
  - .args:
      - .offset:         0
        .size:           4
        .value_kind:     by_value
      - .offset:         4
        .size:           4
        .value_kind:     by_value
      - .offset:         8
        .size:           16
        .value_kind:     by_value
      - .actual_access:  read_only
        .address_space:  global
        .offset:         24
        .size:           8
        .value_kind:     global_buffer
      - .actual_access:  read_only
        .address_space:  global
        .offset:         32
        .size:           8
        .value_kind:     global_buffer
      - .actual_access:  read_only
        .address_space:  global
        .offset:         40
        .size:           8
        .value_kind:     global_buffer
      - .actual_access:  read_only
        .address_space:  global
        .offset:         48
        .size:           8
        .value_kind:     global_buffer
      - .offset:         56
        .size:           16
        .value_kind:     by_value
      - .address_space:  global
        .offset:         72
        .size:           8
        .value_kind:     global_buffer
      - .offset:         80
        .size:           4
        .value_kind:     by_value
      - .offset:         84
        .size:           1
        .value_kind:     by_value
    .group_segment_fixed_size: 0
    .kernarg_segment_align: 8
    .kernarg_segment_size: 88
    .language:       OpenCL C
    .language_version:
      - 2
      - 0
    .max_flat_workgroup_size: 128
    .name:           _ZN9rocsparseL19gebsrmvn_2xn_kernelILj128ELj4ELj32E21rocsparse_complex_numIdEEEvi20rocsparse_direction_NS_24const_host_device_scalarIT2_EEPKiS8_PKS5_SA_S6_PS5_21rocsparse_index_base_b
    .private_segment_fixed_size: 0
    .sgpr_count:     18
    .sgpr_spill_count: 0
    .symbol:         _ZN9rocsparseL19gebsrmvn_2xn_kernelILj128ELj4ELj32E21rocsparse_complex_numIdEEEvi20rocsparse_direction_NS_24const_host_device_scalarIT2_EEPKiS8_PKS5_SA_S6_PS5_21rocsparse_index_base_b.kd
    .uniform_work_group_size: 1
    .uses_dynamic_stack: false
    .vgpr_count:     73
    .vgpr_spill_count: 0
    .wavefront_size: 32
    .workgroup_processor_mode: 1
  - .args:
      - .offset:         0
        .size:           4
        .value_kind:     by_value
      - .offset:         4
        .size:           4
        .value_kind:     by_value
      - .offset:         8
        .size:           16
        .value_kind:     by_value
      - .actual_access:  read_only
        .address_space:  global
        .offset:         24
        .size:           8
        .value_kind:     global_buffer
      - .actual_access:  read_only
        .address_space:  global
        .offset:         32
        .size:           8
        .value_kind:     global_buffer
      - .actual_access:  read_only
        .address_space:  global
        .offset:         40
        .size:           8
        .value_kind:     global_buffer
      - .actual_access:  read_only
        .address_space:  global
        .offset:         48
        .size:           8
        .value_kind:     global_buffer
      - .offset:         56
        .size:           16
        .value_kind:     by_value
      - .address_space:  global
        .offset:         72
        .size:           8
        .value_kind:     global_buffer
      - .offset:         80
        .size:           4
        .value_kind:     by_value
      - .offset:         84
        .size:           1
        .value_kind:     by_value
    .group_segment_fixed_size: 0
    .kernarg_segment_align: 8
    .kernarg_segment_size: 88
    .language:       OpenCL C
    .language_version:
      - 2
      - 0
    .max_flat_workgroup_size: 128
    .name:           _ZN9rocsparseL19gebsrmvn_2xn_kernelILj128ELj4ELj64E21rocsparse_complex_numIdEEEvi20rocsparse_direction_NS_24const_host_device_scalarIT2_EEPKiS8_PKS5_SA_S6_PS5_21rocsparse_index_base_b
    .private_segment_fixed_size: 0
    .sgpr_count:     18
    .sgpr_spill_count: 0
    .symbol:         _ZN9rocsparseL19gebsrmvn_2xn_kernelILj128ELj4ELj64E21rocsparse_complex_numIdEEEvi20rocsparse_direction_NS_24const_host_device_scalarIT2_EEPKiS8_PKS5_SA_S6_PS5_21rocsparse_index_base_b.kd
    .uniform_work_group_size: 1
    .uses_dynamic_stack: false
    .vgpr_count:     72
    .vgpr_spill_count: 0
    .wavefront_size: 32
    .workgroup_processor_mode: 1
  - .args:
      - .offset:         0
        .size:           4
        .value_kind:     by_value
      - .offset:         4
        .size:           4
        .value_kind:     by_value
      - .offset:         8
        .size:           16
        .value_kind:     by_value
      - .actual_access:  read_only
        .address_space:  global
        .offset:         24
        .size:           8
        .value_kind:     global_buffer
      - .actual_access:  read_only
        .address_space:  global
        .offset:         32
        .size:           8
        .value_kind:     global_buffer
      - .actual_access:  read_only
        .address_space:  global
        .offset:         40
        .size:           8
        .value_kind:     global_buffer
      - .actual_access:  read_only
        .address_space:  global
        .offset:         48
        .size:           8
        .value_kind:     global_buffer
      - .offset:         56
        .size:           16
        .value_kind:     by_value
      - .address_space:  global
        .offset:         72
        .size:           8
        .value_kind:     global_buffer
      - .offset:         80
        .size:           4
        .value_kind:     by_value
      - .offset:         84
        .size:           1
        .value_kind:     by_value
    .group_segment_fixed_size: 0
    .kernarg_segment_align: 8
    .kernarg_segment_size: 88
    .language:       OpenCL C
    .language_version:
      - 2
      - 0
    .max_flat_workgroup_size: 128
    .name:           _ZN9rocsparseL19gebsrmvn_2xn_kernelILj128ELj5ELj4E21rocsparse_complex_numIdEEEvi20rocsparse_direction_NS_24const_host_device_scalarIT2_EEPKiS8_PKS5_SA_S6_PS5_21rocsparse_index_base_b
    .private_segment_fixed_size: 0
    .sgpr_count:     18
    .sgpr_spill_count: 0
    .symbol:         _ZN9rocsparseL19gebsrmvn_2xn_kernelILj128ELj5ELj4E21rocsparse_complex_numIdEEEvi20rocsparse_direction_NS_24const_host_device_scalarIT2_EEPKiS8_PKS5_SA_S6_PS5_21rocsparse_index_base_b.kd
    .uniform_work_group_size: 1
    .uses_dynamic_stack: false
    .vgpr_count:     86
    .vgpr_spill_count: 0
    .wavefront_size: 32
    .workgroup_processor_mode: 1
  - .args:
      - .offset:         0
        .size:           4
        .value_kind:     by_value
      - .offset:         4
        .size:           4
        .value_kind:     by_value
      - .offset:         8
        .size:           16
        .value_kind:     by_value
      - .actual_access:  read_only
        .address_space:  global
        .offset:         24
        .size:           8
        .value_kind:     global_buffer
      - .actual_access:  read_only
        .address_space:  global
        .offset:         32
        .size:           8
        .value_kind:     global_buffer
      - .actual_access:  read_only
        .address_space:  global
        .offset:         40
        .size:           8
        .value_kind:     global_buffer
      - .actual_access:  read_only
        .address_space:  global
        .offset:         48
        .size:           8
        .value_kind:     global_buffer
      - .offset:         56
        .size:           16
        .value_kind:     by_value
      - .address_space:  global
        .offset:         72
        .size:           8
        .value_kind:     global_buffer
      - .offset:         80
        .size:           4
        .value_kind:     by_value
      - .offset:         84
        .size:           1
        .value_kind:     by_value
    .group_segment_fixed_size: 0
    .kernarg_segment_align: 8
    .kernarg_segment_size: 88
    .language:       OpenCL C
    .language_version:
      - 2
      - 0
    .max_flat_workgroup_size: 128
    .name:           _ZN9rocsparseL19gebsrmvn_2xn_kernelILj128ELj5ELj8E21rocsparse_complex_numIdEEEvi20rocsparse_direction_NS_24const_host_device_scalarIT2_EEPKiS8_PKS5_SA_S6_PS5_21rocsparse_index_base_b
    .private_segment_fixed_size: 0
    .sgpr_count:     18
    .sgpr_spill_count: 0
    .symbol:         _ZN9rocsparseL19gebsrmvn_2xn_kernelILj128ELj5ELj8E21rocsparse_complex_numIdEEEvi20rocsparse_direction_NS_24const_host_device_scalarIT2_EEPKiS8_PKS5_SA_S6_PS5_21rocsparse_index_base_b.kd
    .uniform_work_group_size: 1
    .uses_dynamic_stack: false
    .vgpr_count:     86
    .vgpr_spill_count: 0
    .wavefront_size: 32
    .workgroup_processor_mode: 1
  - .args:
      - .offset:         0
        .size:           4
        .value_kind:     by_value
      - .offset:         4
        .size:           4
        .value_kind:     by_value
      - .offset:         8
        .size:           16
        .value_kind:     by_value
      - .actual_access:  read_only
        .address_space:  global
        .offset:         24
        .size:           8
        .value_kind:     global_buffer
      - .actual_access:  read_only
        .address_space:  global
        .offset:         32
        .size:           8
        .value_kind:     global_buffer
      - .actual_access:  read_only
        .address_space:  global
        .offset:         40
        .size:           8
        .value_kind:     global_buffer
      - .actual_access:  read_only
        .address_space:  global
        .offset:         48
        .size:           8
        .value_kind:     global_buffer
      - .offset:         56
        .size:           16
        .value_kind:     by_value
      - .address_space:  global
        .offset:         72
        .size:           8
        .value_kind:     global_buffer
      - .offset:         80
        .size:           4
        .value_kind:     by_value
      - .offset:         84
        .size:           1
        .value_kind:     by_value
    .group_segment_fixed_size: 0
    .kernarg_segment_align: 8
    .kernarg_segment_size: 88
    .language:       OpenCL C
    .language_version:
      - 2
      - 0
    .max_flat_workgroup_size: 128
    .name:           _ZN9rocsparseL19gebsrmvn_2xn_kernelILj128ELj5ELj16E21rocsparse_complex_numIdEEEvi20rocsparse_direction_NS_24const_host_device_scalarIT2_EEPKiS8_PKS5_SA_S6_PS5_21rocsparse_index_base_b
    .private_segment_fixed_size: 0
    .sgpr_count:     18
    .sgpr_spill_count: 0
    .symbol:         _ZN9rocsparseL19gebsrmvn_2xn_kernelILj128ELj5ELj16E21rocsparse_complex_numIdEEEvi20rocsparse_direction_NS_24const_host_device_scalarIT2_EEPKiS8_PKS5_SA_S6_PS5_21rocsparse_index_base_b.kd
    .uniform_work_group_size: 1
    .uses_dynamic_stack: false
    .vgpr_count:     86
    .vgpr_spill_count: 0
    .wavefront_size: 32
    .workgroup_processor_mode: 1
  - .args:
      - .offset:         0
        .size:           4
        .value_kind:     by_value
      - .offset:         4
        .size:           4
        .value_kind:     by_value
      - .offset:         8
        .size:           16
        .value_kind:     by_value
      - .actual_access:  read_only
        .address_space:  global
        .offset:         24
        .size:           8
        .value_kind:     global_buffer
      - .actual_access:  read_only
        .address_space:  global
        .offset:         32
        .size:           8
        .value_kind:     global_buffer
      - .actual_access:  read_only
        .address_space:  global
        .offset:         40
        .size:           8
        .value_kind:     global_buffer
      - .actual_access:  read_only
        .address_space:  global
        .offset:         48
        .size:           8
        .value_kind:     global_buffer
      - .offset:         56
        .size:           16
        .value_kind:     by_value
      - .address_space:  global
        .offset:         72
        .size:           8
        .value_kind:     global_buffer
      - .offset:         80
        .size:           4
        .value_kind:     by_value
      - .offset:         84
        .size:           1
        .value_kind:     by_value
    .group_segment_fixed_size: 0
    .kernarg_segment_align: 8
    .kernarg_segment_size: 88
    .language:       OpenCL C
    .language_version:
      - 2
      - 0
    .max_flat_workgroup_size: 128
    .name:           _ZN9rocsparseL19gebsrmvn_2xn_kernelILj128ELj5ELj32E21rocsparse_complex_numIdEEEvi20rocsparse_direction_NS_24const_host_device_scalarIT2_EEPKiS8_PKS5_SA_S6_PS5_21rocsparse_index_base_b
    .private_segment_fixed_size: 0
    .sgpr_count:     18
    .sgpr_spill_count: 0
    .symbol:         _ZN9rocsparseL19gebsrmvn_2xn_kernelILj128ELj5ELj32E21rocsparse_complex_numIdEEEvi20rocsparse_direction_NS_24const_host_device_scalarIT2_EEPKiS8_PKS5_SA_S6_PS5_21rocsparse_index_base_b.kd
    .uniform_work_group_size: 1
    .uses_dynamic_stack: false
    .vgpr_count:     86
    .vgpr_spill_count: 0
    .wavefront_size: 32
    .workgroup_processor_mode: 1
  - .args:
      - .offset:         0
        .size:           4
        .value_kind:     by_value
      - .offset:         4
        .size:           4
        .value_kind:     by_value
      - .offset:         8
        .size:           16
        .value_kind:     by_value
      - .actual_access:  read_only
        .address_space:  global
        .offset:         24
        .size:           8
        .value_kind:     global_buffer
      - .actual_access:  read_only
        .address_space:  global
        .offset:         32
        .size:           8
        .value_kind:     global_buffer
      - .actual_access:  read_only
        .address_space:  global
        .offset:         40
        .size:           8
        .value_kind:     global_buffer
      - .actual_access:  read_only
        .address_space:  global
        .offset:         48
        .size:           8
        .value_kind:     global_buffer
      - .offset:         56
        .size:           16
        .value_kind:     by_value
      - .address_space:  global
        .offset:         72
        .size:           8
        .value_kind:     global_buffer
      - .offset:         80
        .size:           4
        .value_kind:     by_value
      - .offset:         84
        .size:           1
        .value_kind:     by_value
    .group_segment_fixed_size: 0
    .kernarg_segment_align: 8
    .kernarg_segment_size: 88
    .language:       OpenCL C
    .language_version:
      - 2
      - 0
    .max_flat_workgroup_size: 128
    .name:           _ZN9rocsparseL19gebsrmvn_2xn_kernelILj128ELj5ELj64E21rocsparse_complex_numIdEEEvi20rocsparse_direction_NS_24const_host_device_scalarIT2_EEPKiS8_PKS5_SA_S6_PS5_21rocsparse_index_base_b
    .private_segment_fixed_size: 0
    .sgpr_count:     18
    .sgpr_spill_count: 0
    .symbol:         _ZN9rocsparseL19gebsrmvn_2xn_kernelILj128ELj5ELj64E21rocsparse_complex_numIdEEEvi20rocsparse_direction_NS_24const_host_device_scalarIT2_EEPKiS8_PKS5_SA_S6_PS5_21rocsparse_index_base_b.kd
    .uniform_work_group_size: 1
    .uses_dynamic_stack: false
    .vgpr_count:     85
    .vgpr_spill_count: 0
    .wavefront_size: 32
    .workgroup_processor_mode: 1
  - .args:
      - .offset:         0
        .size:           4
        .value_kind:     by_value
      - .offset:         4
        .size:           4
        .value_kind:     by_value
      - .offset:         8
        .size:           16
        .value_kind:     by_value
      - .actual_access:  read_only
        .address_space:  global
        .offset:         24
        .size:           8
        .value_kind:     global_buffer
      - .actual_access:  read_only
        .address_space:  global
        .offset:         32
        .size:           8
        .value_kind:     global_buffer
      - .actual_access:  read_only
        .address_space:  global
        .offset:         40
        .size:           8
        .value_kind:     global_buffer
      - .actual_access:  read_only
        .address_space:  global
        .offset:         48
        .size:           8
        .value_kind:     global_buffer
      - .offset:         56
        .size:           16
        .value_kind:     by_value
      - .address_space:  global
        .offset:         72
        .size:           8
        .value_kind:     global_buffer
      - .offset:         80
        .size:           4
        .value_kind:     by_value
      - .offset:         84
        .size:           1
        .value_kind:     by_value
    .group_segment_fixed_size: 0
    .kernarg_segment_align: 8
    .kernarg_segment_size: 88
    .language:       OpenCL C
    .language_version:
      - 2
      - 0
    .max_flat_workgroup_size: 128
    .name:           _ZN9rocsparseL19gebsrmvn_2xn_kernelILj128ELj6ELj4E21rocsparse_complex_numIdEEEvi20rocsparse_direction_NS_24const_host_device_scalarIT2_EEPKiS8_PKS5_SA_S6_PS5_21rocsparse_index_base_b
    .private_segment_fixed_size: 0
    .sgpr_count:     18
    .sgpr_spill_count: 0
    .symbol:         _ZN9rocsparseL19gebsrmvn_2xn_kernelILj128ELj6ELj4E21rocsparse_complex_numIdEEEvi20rocsparse_direction_NS_24const_host_device_scalarIT2_EEPKiS8_PKS5_SA_S6_PS5_21rocsparse_index_base_b.kd
    .uniform_work_group_size: 1
    .uses_dynamic_stack: false
    .vgpr_count:     98
    .vgpr_spill_count: 0
    .wavefront_size: 32
    .workgroup_processor_mode: 1
  - .args:
      - .offset:         0
        .size:           4
        .value_kind:     by_value
      - .offset:         4
        .size:           4
        .value_kind:     by_value
      - .offset:         8
        .size:           16
        .value_kind:     by_value
      - .actual_access:  read_only
        .address_space:  global
        .offset:         24
        .size:           8
        .value_kind:     global_buffer
      - .actual_access:  read_only
        .address_space:  global
        .offset:         32
        .size:           8
        .value_kind:     global_buffer
      - .actual_access:  read_only
        .address_space:  global
        .offset:         40
        .size:           8
        .value_kind:     global_buffer
      - .actual_access:  read_only
        .address_space:  global
        .offset:         48
        .size:           8
        .value_kind:     global_buffer
      - .offset:         56
        .size:           16
        .value_kind:     by_value
      - .address_space:  global
        .offset:         72
        .size:           8
        .value_kind:     global_buffer
      - .offset:         80
        .size:           4
        .value_kind:     by_value
      - .offset:         84
        .size:           1
        .value_kind:     by_value
    .group_segment_fixed_size: 0
    .kernarg_segment_align: 8
    .kernarg_segment_size: 88
    .language:       OpenCL C
    .language_version:
      - 2
      - 0
    .max_flat_workgroup_size: 128
    .name:           _ZN9rocsparseL19gebsrmvn_2xn_kernelILj128ELj6ELj8E21rocsparse_complex_numIdEEEvi20rocsparse_direction_NS_24const_host_device_scalarIT2_EEPKiS8_PKS5_SA_S6_PS5_21rocsparse_index_base_b
    .private_segment_fixed_size: 0
    .sgpr_count:     18
    .sgpr_spill_count: 0
    .symbol:         _ZN9rocsparseL19gebsrmvn_2xn_kernelILj128ELj6ELj8E21rocsparse_complex_numIdEEEvi20rocsparse_direction_NS_24const_host_device_scalarIT2_EEPKiS8_PKS5_SA_S6_PS5_21rocsparse_index_base_b.kd
    .uniform_work_group_size: 1
    .uses_dynamic_stack: false
    .vgpr_count:     98
    .vgpr_spill_count: 0
    .wavefront_size: 32
    .workgroup_processor_mode: 1
  - .args:
      - .offset:         0
        .size:           4
        .value_kind:     by_value
      - .offset:         4
        .size:           4
        .value_kind:     by_value
      - .offset:         8
        .size:           16
        .value_kind:     by_value
      - .actual_access:  read_only
        .address_space:  global
        .offset:         24
        .size:           8
        .value_kind:     global_buffer
      - .actual_access:  read_only
        .address_space:  global
        .offset:         32
        .size:           8
        .value_kind:     global_buffer
      - .actual_access:  read_only
        .address_space:  global
        .offset:         40
        .size:           8
        .value_kind:     global_buffer
      - .actual_access:  read_only
        .address_space:  global
        .offset:         48
        .size:           8
        .value_kind:     global_buffer
      - .offset:         56
        .size:           16
        .value_kind:     by_value
      - .address_space:  global
        .offset:         72
        .size:           8
        .value_kind:     global_buffer
      - .offset:         80
        .size:           4
        .value_kind:     by_value
      - .offset:         84
        .size:           1
        .value_kind:     by_value
    .group_segment_fixed_size: 0
    .kernarg_segment_align: 8
    .kernarg_segment_size: 88
    .language:       OpenCL C
    .language_version:
      - 2
      - 0
    .max_flat_workgroup_size: 128
    .name:           _ZN9rocsparseL19gebsrmvn_2xn_kernelILj128ELj6ELj16E21rocsparse_complex_numIdEEEvi20rocsparse_direction_NS_24const_host_device_scalarIT2_EEPKiS8_PKS5_SA_S6_PS5_21rocsparse_index_base_b
    .private_segment_fixed_size: 0
    .sgpr_count:     18
    .sgpr_spill_count: 0
    .symbol:         _ZN9rocsparseL19gebsrmvn_2xn_kernelILj128ELj6ELj16E21rocsparse_complex_numIdEEEvi20rocsparse_direction_NS_24const_host_device_scalarIT2_EEPKiS8_PKS5_SA_S6_PS5_21rocsparse_index_base_b.kd
    .uniform_work_group_size: 1
    .uses_dynamic_stack: false
    .vgpr_count:     98
    .vgpr_spill_count: 0
    .wavefront_size: 32
    .workgroup_processor_mode: 1
  - .args:
      - .offset:         0
        .size:           4
        .value_kind:     by_value
      - .offset:         4
        .size:           4
        .value_kind:     by_value
      - .offset:         8
        .size:           16
        .value_kind:     by_value
      - .actual_access:  read_only
        .address_space:  global
        .offset:         24
        .size:           8
        .value_kind:     global_buffer
      - .actual_access:  read_only
        .address_space:  global
        .offset:         32
        .size:           8
        .value_kind:     global_buffer
      - .actual_access:  read_only
        .address_space:  global
        .offset:         40
        .size:           8
        .value_kind:     global_buffer
      - .actual_access:  read_only
        .address_space:  global
        .offset:         48
        .size:           8
        .value_kind:     global_buffer
      - .offset:         56
        .size:           16
        .value_kind:     by_value
      - .address_space:  global
        .offset:         72
        .size:           8
        .value_kind:     global_buffer
      - .offset:         80
        .size:           4
        .value_kind:     by_value
      - .offset:         84
        .size:           1
        .value_kind:     by_value
    .group_segment_fixed_size: 0
    .kernarg_segment_align: 8
    .kernarg_segment_size: 88
    .language:       OpenCL C
    .language_version:
      - 2
      - 0
    .max_flat_workgroup_size: 128
    .name:           _ZN9rocsparseL19gebsrmvn_2xn_kernelILj128ELj6ELj32E21rocsparse_complex_numIdEEEvi20rocsparse_direction_NS_24const_host_device_scalarIT2_EEPKiS8_PKS5_SA_S6_PS5_21rocsparse_index_base_b
    .private_segment_fixed_size: 0
    .sgpr_count:     18
    .sgpr_spill_count: 0
    .symbol:         _ZN9rocsparseL19gebsrmvn_2xn_kernelILj128ELj6ELj32E21rocsparse_complex_numIdEEEvi20rocsparse_direction_NS_24const_host_device_scalarIT2_EEPKiS8_PKS5_SA_S6_PS5_21rocsparse_index_base_b.kd
    .uniform_work_group_size: 1
    .uses_dynamic_stack: false
    .vgpr_count:     98
    .vgpr_spill_count: 0
    .wavefront_size: 32
    .workgroup_processor_mode: 1
  - .args:
      - .offset:         0
        .size:           4
        .value_kind:     by_value
      - .offset:         4
        .size:           4
        .value_kind:     by_value
      - .offset:         8
        .size:           16
        .value_kind:     by_value
      - .actual_access:  read_only
        .address_space:  global
        .offset:         24
        .size:           8
        .value_kind:     global_buffer
      - .actual_access:  read_only
        .address_space:  global
        .offset:         32
        .size:           8
        .value_kind:     global_buffer
      - .actual_access:  read_only
        .address_space:  global
        .offset:         40
        .size:           8
        .value_kind:     global_buffer
      - .actual_access:  read_only
        .address_space:  global
        .offset:         48
        .size:           8
        .value_kind:     global_buffer
      - .offset:         56
        .size:           16
        .value_kind:     by_value
      - .address_space:  global
        .offset:         72
        .size:           8
        .value_kind:     global_buffer
      - .offset:         80
        .size:           4
        .value_kind:     by_value
      - .offset:         84
        .size:           1
        .value_kind:     by_value
    .group_segment_fixed_size: 0
    .kernarg_segment_align: 8
    .kernarg_segment_size: 88
    .language:       OpenCL C
    .language_version:
      - 2
      - 0
    .max_flat_workgroup_size: 128
    .name:           _ZN9rocsparseL19gebsrmvn_2xn_kernelILj128ELj6ELj64E21rocsparse_complex_numIdEEEvi20rocsparse_direction_NS_24const_host_device_scalarIT2_EEPKiS8_PKS5_SA_S6_PS5_21rocsparse_index_base_b
    .private_segment_fixed_size: 0
    .sgpr_count:     18
    .sgpr_spill_count: 0
    .symbol:         _ZN9rocsparseL19gebsrmvn_2xn_kernelILj128ELj6ELj64E21rocsparse_complex_numIdEEEvi20rocsparse_direction_NS_24const_host_device_scalarIT2_EEPKiS8_PKS5_SA_S6_PS5_21rocsparse_index_base_b.kd
    .uniform_work_group_size: 1
    .uses_dynamic_stack: false
    .vgpr_count:     98
    .vgpr_spill_count: 0
    .wavefront_size: 32
    .workgroup_processor_mode: 1
  - .args:
      - .offset:         0
        .size:           4
        .value_kind:     by_value
      - .offset:         4
        .size:           4
        .value_kind:     by_value
      - .offset:         8
        .size:           16
        .value_kind:     by_value
      - .actual_access:  read_only
        .address_space:  global
        .offset:         24
        .size:           8
        .value_kind:     global_buffer
      - .actual_access:  read_only
        .address_space:  global
        .offset:         32
        .size:           8
        .value_kind:     global_buffer
      - .actual_access:  read_only
        .address_space:  global
        .offset:         40
        .size:           8
        .value_kind:     global_buffer
      - .actual_access:  read_only
        .address_space:  global
        .offset:         48
        .size:           8
        .value_kind:     global_buffer
      - .offset:         56
        .size:           16
        .value_kind:     by_value
      - .address_space:  global
        .offset:         72
        .size:           8
        .value_kind:     global_buffer
      - .offset:         80
        .size:           4
        .value_kind:     by_value
      - .offset:         84
        .size:           1
        .value_kind:     by_value
    .group_segment_fixed_size: 0
    .kernarg_segment_align: 8
    .kernarg_segment_size: 88
    .language:       OpenCL C
    .language_version:
      - 2
      - 0
    .max_flat_workgroup_size: 128
    .name:           _ZN9rocsparseL19gebsrmvn_2xn_kernelILj128ELj7ELj4E21rocsparse_complex_numIdEEEvi20rocsparse_direction_NS_24const_host_device_scalarIT2_EEPKiS8_PKS5_SA_S6_PS5_21rocsparse_index_base_b
    .private_segment_fixed_size: 0
    .sgpr_count:     18
    .sgpr_spill_count: 0
    .symbol:         _ZN9rocsparseL19gebsrmvn_2xn_kernelILj128ELj7ELj4E21rocsparse_complex_numIdEEEvi20rocsparse_direction_NS_24const_host_device_scalarIT2_EEPKiS8_PKS5_SA_S6_PS5_21rocsparse_index_base_b.kd
    .uniform_work_group_size: 1
    .uses_dynamic_stack: false
    .vgpr_count:     103
    .vgpr_spill_count: 0
    .wavefront_size: 32
    .workgroup_processor_mode: 1
  - .args:
      - .offset:         0
        .size:           4
        .value_kind:     by_value
      - .offset:         4
        .size:           4
        .value_kind:     by_value
      - .offset:         8
        .size:           16
        .value_kind:     by_value
      - .actual_access:  read_only
        .address_space:  global
        .offset:         24
        .size:           8
        .value_kind:     global_buffer
      - .actual_access:  read_only
        .address_space:  global
        .offset:         32
        .size:           8
        .value_kind:     global_buffer
      - .actual_access:  read_only
        .address_space:  global
        .offset:         40
        .size:           8
        .value_kind:     global_buffer
      - .actual_access:  read_only
        .address_space:  global
        .offset:         48
        .size:           8
        .value_kind:     global_buffer
      - .offset:         56
        .size:           16
        .value_kind:     by_value
      - .address_space:  global
        .offset:         72
        .size:           8
        .value_kind:     global_buffer
      - .offset:         80
        .size:           4
        .value_kind:     by_value
      - .offset:         84
        .size:           1
        .value_kind:     by_value
    .group_segment_fixed_size: 0
    .kernarg_segment_align: 8
    .kernarg_segment_size: 88
    .language:       OpenCL C
    .language_version:
      - 2
      - 0
    .max_flat_workgroup_size: 128
    .name:           _ZN9rocsparseL19gebsrmvn_2xn_kernelILj128ELj7ELj8E21rocsparse_complex_numIdEEEvi20rocsparse_direction_NS_24const_host_device_scalarIT2_EEPKiS8_PKS5_SA_S6_PS5_21rocsparse_index_base_b
    .private_segment_fixed_size: 0
    .sgpr_count:     18
    .sgpr_spill_count: 0
    .symbol:         _ZN9rocsparseL19gebsrmvn_2xn_kernelILj128ELj7ELj8E21rocsparse_complex_numIdEEEvi20rocsparse_direction_NS_24const_host_device_scalarIT2_EEPKiS8_PKS5_SA_S6_PS5_21rocsparse_index_base_b.kd
    .uniform_work_group_size: 1
    .uses_dynamic_stack: false
    .vgpr_count:     103
    .vgpr_spill_count: 0
    .wavefront_size: 32
    .workgroup_processor_mode: 1
  - .args:
      - .offset:         0
        .size:           4
        .value_kind:     by_value
      - .offset:         4
        .size:           4
        .value_kind:     by_value
      - .offset:         8
        .size:           16
        .value_kind:     by_value
      - .actual_access:  read_only
        .address_space:  global
        .offset:         24
        .size:           8
        .value_kind:     global_buffer
      - .actual_access:  read_only
        .address_space:  global
        .offset:         32
        .size:           8
        .value_kind:     global_buffer
      - .actual_access:  read_only
        .address_space:  global
        .offset:         40
        .size:           8
        .value_kind:     global_buffer
      - .actual_access:  read_only
        .address_space:  global
        .offset:         48
        .size:           8
        .value_kind:     global_buffer
      - .offset:         56
        .size:           16
        .value_kind:     by_value
      - .address_space:  global
        .offset:         72
        .size:           8
        .value_kind:     global_buffer
      - .offset:         80
        .size:           4
        .value_kind:     by_value
      - .offset:         84
        .size:           1
        .value_kind:     by_value
    .group_segment_fixed_size: 0
    .kernarg_segment_align: 8
    .kernarg_segment_size: 88
    .language:       OpenCL C
    .language_version:
      - 2
      - 0
    .max_flat_workgroup_size: 128
    .name:           _ZN9rocsparseL19gebsrmvn_2xn_kernelILj128ELj7ELj16E21rocsparse_complex_numIdEEEvi20rocsparse_direction_NS_24const_host_device_scalarIT2_EEPKiS8_PKS5_SA_S6_PS5_21rocsparse_index_base_b
    .private_segment_fixed_size: 0
    .sgpr_count:     18
    .sgpr_spill_count: 0
    .symbol:         _ZN9rocsparseL19gebsrmvn_2xn_kernelILj128ELj7ELj16E21rocsparse_complex_numIdEEEvi20rocsparse_direction_NS_24const_host_device_scalarIT2_EEPKiS8_PKS5_SA_S6_PS5_21rocsparse_index_base_b.kd
    .uniform_work_group_size: 1
    .uses_dynamic_stack: false
    .vgpr_count:     103
    .vgpr_spill_count: 0
    .wavefront_size: 32
    .workgroup_processor_mode: 1
  - .args:
      - .offset:         0
        .size:           4
        .value_kind:     by_value
      - .offset:         4
        .size:           4
        .value_kind:     by_value
      - .offset:         8
        .size:           16
        .value_kind:     by_value
      - .actual_access:  read_only
        .address_space:  global
        .offset:         24
        .size:           8
        .value_kind:     global_buffer
      - .actual_access:  read_only
        .address_space:  global
        .offset:         32
        .size:           8
        .value_kind:     global_buffer
      - .actual_access:  read_only
        .address_space:  global
        .offset:         40
        .size:           8
        .value_kind:     global_buffer
      - .actual_access:  read_only
        .address_space:  global
        .offset:         48
        .size:           8
        .value_kind:     global_buffer
      - .offset:         56
        .size:           16
        .value_kind:     by_value
      - .address_space:  global
        .offset:         72
        .size:           8
        .value_kind:     global_buffer
      - .offset:         80
        .size:           4
        .value_kind:     by_value
      - .offset:         84
        .size:           1
        .value_kind:     by_value
    .group_segment_fixed_size: 0
    .kernarg_segment_align: 8
    .kernarg_segment_size: 88
    .language:       OpenCL C
    .language_version:
      - 2
      - 0
    .max_flat_workgroup_size: 128
    .name:           _ZN9rocsparseL19gebsrmvn_2xn_kernelILj128ELj7ELj32E21rocsparse_complex_numIdEEEvi20rocsparse_direction_NS_24const_host_device_scalarIT2_EEPKiS8_PKS5_SA_S6_PS5_21rocsparse_index_base_b
    .private_segment_fixed_size: 0
    .sgpr_count:     18
    .sgpr_spill_count: 0
    .symbol:         _ZN9rocsparseL19gebsrmvn_2xn_kernelILj128ELj7ELj32E21rocsparse_complex_numIdEEEvi20rocsparse_direction_NS_24const_host_device_scalarIT2_EEPKiS8_PKS5_SA_S6_PS5_21rocsparse_index_base_b.kd
    .uniform_work_group_size: 1
    .uses_dynamic_stack: false
    .vgpr_count:     103
    .vgpr_spill_count: 0
    .wavefront_size: 32
    .workgroup_processor_mode: 1
  - .args:
      - .offset:         0
        .size:           4
        .value_kind:     by_value
      - .offset:         4
        .size:           4
        .value_kind:     by_value
      - .offset:         8
        .size:           16
        .value_kind:     by_value
      - .actual_access:  read_only
        .address_space:  global
        .offset:         24
        .size:           8
        .value_kind:     global_buffer
      - .actual_access:  read_only
        .address_space:  global
        .offset:         32
        .size:           8
        .value_kind:     global_buffer
      - .actual_access:  read_only
        .address_space:  global
        .offset:         40
        .size:           8
        .value_kind:     global_buffer
      - .actual_access:  read_only
        .address_space:  global
        .offset:         48
        .size:           8
        .value_kind:     global_buffer
      - .offset:         56
        .size:           16
        .value_kind:     by_value
      - .address_space:  global
        .offset:         72
        .size:           8
        .value_kind:     global_buffer
      - .offset:         80
        .size:           4
        .value_kind:     by_value
      - .offset:         84
        .size:           1
        .value_kind:     by_value
    .group_segment_fixed_size: 0
    .kernarg_segment_align: 8
    .kernarg_segment_size: 88
    .language:       OpenCL C
    .language_version:
      - 2
      - 0
    .max_flat_workgroup_size: 128
    .name:           _ZN9rocsparseL19gebsrmvn_2xn_kernelILj128ELj7ELj64E21rocsparse_complex_numIdEEEvi20rocsparse_direction_NS_24const_host_device_scalarIT2_EEPKiS8_PKS5_SA_S6_PS5_21rocsparse_index_base_b
    .private_segment_fixed_size: 0
    .sgpr_count:     18
    .sgpr_spill_count: 0
    .symbol:         _ZN9rocsparseL19gebsrmvn_2xn_kernelILj128ELj7ELj64E21rocsparse_complex_numIdEEEvi20rocsparse_direction_NS_24const_host_device_scalarIT2_EEPKiS8_PKS5_SA_S6_PS5_21rocsparse_index_base_b.kd
    .uniform_work_group_size: 1
    .uses_dynamic_stack: false
    .vgpr_count:     103
    .vgpr_spill_count: 0
    .wavefront_size: 32
    .workgroup_processor_mode: 1
  - .args:
      - .offset:         0
        .size:           4
        .value_kind:     by_value
      - .offset:         4
        .size:           4
        .value_kind:     by_value
      - .offset:         8
        .size:           16
        .value_kind:     by_value
      - .actual_access:  read_only
        .address_space:  global
        .offset:         24
        .size:           8
        .value_kind:     global_buffer
      - .actual_access:  read_only
        .address_space:  global
        .offset:         32
        .size:           8
        .value_kind:     global_buffer
      - .actual_access:  read_only
        .address_space:  global
        .offset:         40
        .size:           8
        .value_kind:     global_buffer
      - .actual_access:  read_only
        .address_space:  global
        .offset:         48
        .size:           8
        .value_kind:     global_buffer
      - .offset:         56
        .size:           16
        .value_kind:     by_value
      - .address_space:  global
        .offset:         72
        .size:           8
        .value_kind:     global_buffer
      - .offset:         80
        .size:           4
        .value_kind:     by_value
      - .offset:         84
        .size:           1
        .value_kind:     by_value
    .group_segment_fixed_size: 0
    .kernarg_segment_align: 8
    .kernarg_segment_size: 88
    .language:       OpenCL C
    .language_version:
      - 2
      - 0
    .max_flat_workgroup_size: 128
    .name:           _ZN9rocsparseL19gebsrmvn_2xn_kernelILj128ELj8ELj4E21rocsparse_complex_numIdEEEvi20rocsparse_direction_NS_24const_host_device_scalarIT2_EEPKiS8_PKS5_SA_S6_PS5_21rocsparse_index_base_b
    .private_segment_fixed_size: 0
    .sgpr_count:     18
    .sgpr_spill_count: 0
    .symbol:         _ZN9rocsparseL19gebsrmvn_2xn_kernelILj128ELj8ELj4E21rocsparse_complex_numIdEEEvi20rocsparse_direction_NS_24const_host_device_scalarIT2_EEPKiS8_PKS5_SA_S6_PS5_21rocsparse_index_base_b.kd
    .uniform_work_group_size: 1
    .uses_dynamic_stack: false
    .vgpr_count:     119
    .vgpr_spill_count: 0
    .wavefront_size: 32
    .workgroup_processor_mode: 1
  - .args:
      - .offset:         0
        .size:           4
        .value_kind:     by_value
      - .offset:         4
        .size:           4
        .value_kind:     by_value
      - .offset:         8
        .size:           16
        .value_kind:     by_value
      - .actual_access:  read_only
        .address_space:  global
        .offset:         24
        .size:           8
        .value_kind:     global_buffer
      - .actual_access:  read_only
        .address_space:  global
        .offset:         32
        .size:           8
        .value_kind:     global_buffer
      - .actual_access:  read_only
        .address_space:  global
        .offset:         40
        .size:           8
        .value_kind:     global_buffer
      - .actual_access:  read_only
        .address_space:  global
        .offset:         48
        .size:           8
        .value_kind:     global_buffer
      - .offset:         56
        .size:           16
        .value_kind:     by_value
      - .address_space:  global
        .offset:         72
        .size:           8
        .value_kind:     global_buffer
      - .offset:         80
        .size:           4
        .value_kind:     by_value
      - .offset:         84
        .size:           1
        .value_kind:     by_value
    .group_segment_fixed_size: 0
    .kernarg_segment_align: 8
    .kernarg_segment_size: 88
    .language:       OpenCL C
    .language_version:
      - 2
      - 0
    .max_flat_workgroup_size: 128
    .name:           _ZN9rocsparseL19gebsrmvn_2xn_kernelILj128ELj8ELj8E21rocsparse_complex_numIdEEEvi20rocsparse_direction_NS_24const_host_device_scalarIT2_EEPKiS8_PKS5_SA_S6_PS5_21rocsparse_index_base_b
    .private_segment_fixed_size: 0
    .sgpr_count:     18
    .sgpr_spill_count: 0
    .symbol:         _ZN9rocsparseL19gebsrmvn_2xn_kernelILj128ELj8ELj8E21rocsparse_complex_numIdEEEvi20rocsparse_direction_NS_24const_host_device_scalarIT2_EEPKiS8_PKS5_SA_S6_PS5_21rocsparse_index_base_b.kd
    .uniform_work_group_size: 1
    .uses_dynamic_stack: false
    .vgpr_count:     119
    .vgpr_spill_count: 0
    .wavefront_size: 32
    .workgroup_processor_mode: 1
  - .args:
      - .offset:         0
        .size:           4
        .value_kind:     by_value
      - .offset:         4
        .size:           4
        .value_kind:     by_value
      - .offset:         8
        .size:           16
        .value_kind:     by_value
      - .actual_access:  read_only
        .address_space:  global
        .offset:         24
        .size:           8
        .value_kind:     global_buffer
      - .actual_access:  read_only
        .address_space:  global
        .offset:         32
        .size:           8
        .value_kind:     global_buffer
      - .actual_access:  read_only
        .address_space:  global
        .offset:         40
        .size:           8
        .value_kind:     global_buffer
      - .actual_access:  read_only
        .address_space:  global
        .offset:         48
        .size:           8
        .value_kind:     global_buffer
      - .offset:         56
        .size:           16
        .value_kind:     by_value
      - .address_space:  global
        .offset:         72
        .size:           8
        .value_kind:     global_buffer
      - .offset:         80
        .size:           4
        .value_kind:     by_value
      - .offset:         84
        .size:           1
        .value_kind:     by_value
    .group_segment_fixed_size: 0
    .kernarg_segment_align: 8
    .kernarg_segment_size: 88
    .language:       OpenCL C
    .language_version:
      - 2
      - 0
    .max_flat_workgroup_size: 128
    .name:           _ZN9rocsparseL19gebsrmvn_2xn_kernelILj128ELj8ELj16E21rocsparse_complex_numIdEEEvi20rocsparse_direction_NS_24const_host_device_scalarIT2_EEPKiS8_PKS5_SA_S6_PS5_21rocsparse_index_base_b
    .private_segment_fixed_size: 0
    .sgpr_count:     18
    .sgpr_spill_count: 0
    .symbol:         _ZN9rocsparseL19gebsrmvn_2xn_kernelILj128ELj8ELj16E21rocsparse_complex_numIdEEEvi20rocsparse_direction_NS_24const_host_device_scalarIT2_EEPKiS8_PKS5_SA_S6_PS5_21rocsparse_index_base_b.kd
    .uniform_work_group_size: 1
    .uses_dynamic_stack: false
    .vgpr_count:     119
    .vgpr_spill_count: 0
    .wavefront_size: 32
    .workgroup_processor_mode: 1
  - .args:
      - .offset:         0
        .size:           4
        .value_kind:     by_value
      - .offset:         4
        .size:           4
        .value_kind:     by_value
      - .offset:         8
        .size:           16
        .value_kind:     by_value
      - .actual_access:  read_only
        .address_space:  global
        .offset:         24
        .size:           8
        .value_kind:     global_buffer
      - .actual_access:  read_only
        .address_space:  global
        .offset:         32
        .size:           8
        .value_kind:     global_buffer
      - .actual_access:  read_only
        .address_space:  global
        .offset:         40
        .size:           8
        .value_kind:     global_buffer
      - .actual_access:  read_only
        .address_space:  global
        .offset:         48
        .size:           8
        .value_kind:     global_buffer
      - .offset:         56
        .size:           16
        .value_kind:     by_value
      - .address_space:  global
        .offset:         72
        .size:           8
        .value_kind:     global_buffer
      - .offset:         80
        .size:           4
        .value_kind:     by_value
      - .offset:         84
        .size:           1
        .value_kind:     by_value
    .group_segment_fixed_size: 0
    .kernarg_segment_align: 8
    .kernarg_segment_size: 88
    .language:       OpenCL C
    .language_version:
      - 2
      - 0
    .max_flat_workgroup_size: 128
    .name:           _ZN9rocsparseL19gebsrmvn_2xn_kernelILj128ELj8ELj32E21rocsparse_complex_numIdEEEvi20rocsparse_direction_NS_24const_host_device_scalarIT2_EEPKiS8_PKS5_SA_S6_PS5_21rocsparse_index_base_b
    .private_segment_fixed_size: 0
    .sgpr_count:     18
    .sgpr_spill_count: 0
    .symbol:         _ZN9rocsparseL19gebsrmvn_2xn_kernelILj128ELj8ELj32E21rocsparse_complex_numIdEEEvi20rocsparse_direction_NS_24const_host_device_scalarIT2_EEPKiS8_PKS5_SA_S6_PS5_21rocsparse_index_base_b.kd
    .uniform_work_group_size: 1
    .uses_dynamic_stack: false
    .vgpr_count:     119
    .vgpr_spill_count: 0
    .wavefront_size: 32
    .workgroup_processor_mode: 1
  - .args:
      - .offset:         0
        .size:           4
        .value_kind:     by_value
      - .offset:         4
        .size:           4
        .value_kind:     by_value
      - .offset:         8
        .size:           16
        .value_kind:     by_value
      - .actual_access:  read_only
        .address_space:  global
        .offset:         24
        .size:           8
        .value_kind:     global_buffer
      - .actual_access:  read_only
        .address_space:  global
        .offset:         32
        .size:           8
        .value_kind:     global_buffer
      - .actual_access:  read_only
        .address_space:  global
        .offset:         40
        .size:           8
        .value_kind:     global_buffer
      - .actual_access:  read_only
        .address_space:  global
        .offset:         48
        .size:           8
        .value_kind:     global_buffer
      - .offset:         56
        .size:           16
        .value_kind:     by_value
      - .address_space:  global
        .offset:         72
        .size:           8
        .value_kind:     global_buffer
      - .offset:         80
        .size:           4
        .value_kind:     by_value
      - .offset:         84
        .size:           1
        .value_kind:     by_value
    .group_segment_fixed_size: 0
    .kernarg_segment_align: 8
    .kernarg_segment_size: 88
    .language:       OpenCL C
    .language_version:
      - 2
      - 0
    .max_flat_workgroup_size: 128
    .name:           _ZN9rocsparseL19gebsrmvn_2xn_kernelILj128ELj8ELj64E21rocsparse_complex_numIdEEEvi20rocsparse_direction_NS_24const_host_device_scalarIT2_EEPKiS8_PKS5_SA_S6_PS5_21rocsparse_index_base_b
    .private_segment_fixed_size: 0
    .sgpr_count:     18
    .sgpr_spill_count: 0
    .symbol:         _ZN9rocsparseL19gebsrmvn_2xn_kernelILj128ELj8ELj64E21rocsparse_complex_numIdEEEvi20rocsparse_direction_NS_24const_host_device_scalarIT2_EEPKiS8_PKS5_SA_S6_PS5_21rocsparse_index_base_b.kd
    .uniform_work_group_size: 1
    .uses_dynamic_stack: false
    .vgpr_count:     119
    .vgpr_spill_count: 0
    .wavefront_size: 32
    .workgroup_processor_mode: 1
  - .args:
      - .offset:         0
        .size:           4
        .value_kind:     by_value
      - .offset:         4
        .size:           4
        .value_kind:     by_value
      - .offset:         8
        .size:           16
        .value_kind:     by_value
      - .actual_access:  read_only
        .address_space:  global
        .offset:         24
        .size:           8
        .value_kind:     global_buffer
      - .actual_access:  read_only
        .address_space:  global
        .offset:         32
        .size:           8
        .value_kind:     global_buffer
      - .actual_access:  read_only
        .address_space:  global
        .offset:         40
        .size:           8
        .value_kind:     global_buffer
      - .actual_access:  read_only
        .address_space:  global
        .offset:         48
        .size:           8
        .value_kind:     global_buffer
      - .offset:         56
        .size:           16
        .value_kind:     by_value
      - .address_space:  global
        .offset:         72
        .size:           8
        .value_kind:     global_buffer
      - .offset:         80
        .size:           4
        .value_kind:     by_value
      - .offset:         84
        .size:           1
        .value_kind:     by_value
    .group_segment_fixed_size: 0
    .kernarg_segment_align: 8
    .kernarg_segment_size: 88
    .language:       OpenCL C
    .language_version:
      - 2
      - 0
    .max_flat_workgroup_size: 128
    .name:           _ZN9rocsparseL19gebsrmvn_2xn_kernelILj128ELj9ELj4E21rocsparse_complex_numIdEEEvi20rocsparse_direction_NS_24const_host_device_scalarIT2_EEPKiS8_PKS5_SA_S6_PS5_21rocsparse_index_base_b
    .private_segment_fixed_size: 0
    .sgpr_count:     18
    .sgpr_spill_count: 0
    .symbol:         _ZN9rocsparseL19gebsrmvn_2xn_kernelILj128ELj9ELj4E21rocsparse_complex_numIdEEEvi20rocsparse_direction_NS_24const_host_device_scalarIT2_EEPKiS8_PKS5_SA_S6_PS5_21rocsparse_index_base_b.kd
    .uniform_work_group_size: 1
    .uses_dynamic_stack: false
    .vgpr_count:     109
    .vgpr_spill_count: 0
    .wavefront_size: 32
    .workgroup_processor_mode: 1
  - .args:
      - .offset:         0
        .size:           4
        .value_kind:     by_value
      - .offset:         4
        .size:           4
        .value_kind:     by_value
      - .offset:         8
        .size:           16
        .value_kind:     by_value
      - .actual_access:  read_only
        .address_space:  global
        .offset:         24
        .size:           8
        .value_kind:     global_buffer
      - .actual_access:  read_only
        .address_space:  global
        .offset:         32
        .size:           8
        .value_kind:     global_buffer
      - .actual_access:  read_only
        .address_space:  global
        .offset:         40
        .size:           8
        .value_kind:     global_buffer
      - .actual_access:  read_only
        .address_space:  global
        .offset:         48
        .size:           8
        .value_kind:     global_buffer
      - .offset:         56
        .size:           16
        .value_kind:     by_value
      - .address_space:  global
        .offset:         72
        .size:           8
        .value_kind:     global_buffer
      - .offset:         80
        .size:           4
        .value_kind:     by_value
      - .offset:         84
        .size:           1
        .value_kind:     by_value
    .group_segment_fixed_size: 0
    .kernarg_segment_align: 8
    .kernarg_segment_size: 88
    .language:       OpenCL C
    .language_version:
      - 2
      - 0
    .max_flat_workgroup_size: 128
    .name:           _ZN9rocsparseL19gebsrmvn_2xn_kernelILj128ELj9ELj8E21rocsparse_complex_numIdEEEvi20rocsparse_direction_NS_24const_host_device_scalarIT2_EEPKiS8_PKS5_SA_S6_PS5_21rocsparse_index_base_b
    .private_segment_fixed_size: 0
    .sgpr_count:     18
    .sgpr_spill_count: 0
    .symbol:         _ZN9rocsparseL19gebsrmvn_2xn_kernelILj128ELj9ELj8E21rocsparse_complex_numIdEEEvi20rocsparse_direction_NS_24const_host_device_scalarIT2_EEPKiS8_PKS5_SA_S6_PS5_21rocsparse_index_base_b.kd
    .uniform_work_group_size: 1
    .uses_dynamic_stack: false
    .vgpr_count:     109
    .vgpr_spill_count: 0
    .wavefront_size: 32
    .workgroup_processor_mode: 1
  - .args:
      - .offset:         0
        .size:           4
        .value_kind:     by_value
      - .offset:         4
        .size:           4
        .value_kind:     by_value
      - .offset:         8
        .size:           16
        .value_kind:     by_value
      - .actual_access:  read_only
        .address_space:  global
        .offset:         24
        .size:           8
        .value_kind:     global_buffer
      - .actual_access:  read_only
        .address_space:  global
        .offset:         32
        .size:           8
        .value_kind:     global_buffer
      - .actual_access:  read_only
        .address_space:  global
        .offset:         40
        .size:           8
        .value_kind:     global_buffer
      - .actual_access:  read_only
        .address_space:  global
        .offset:         48
        .size:           8
        .value_kind:     global_buffer
      - .offset:         56
        .size:           16
        .value_kind:     by_value
      - .address_space:  global
        .offset:         72
        .size:           8
        .value_kind:     global_buffer
      - .offset:         80
        .size:           4
        .value_kind:     by_value
      - .offset:         84
        .size:           1
        .value_kind:     by_value
    .group_segment_fixed_size: 0
    .kernarg_segment_align: 8
    .kernarg_segment_size: 88
    .language:       OpenCL C
    .language_version:
      - 2
      - 0
    .max_flat_workgroup_size: 128
    .name:           _ZN9rocsparseL19gebsrmvn_2xn_kernelILj128ELj9ELj16E21rocsparse_complex_numIdEEEvi20rocsparse_direction_NS_24const_host_device_scalarIT2_EEPKiS8_PKS5_SA_S6_PS5_21rocsparse_index_base_b
    .private_segment_fixed_size: 0
    .sgpr_count:     18
    .sgpr_spill_count: 0
    .symbol:         _ZN9rocsparseL19gebsrmvn_2xn_kernelILj128ELj9ELj16E21rocsparse_complex_numIdEEEvi20rocsparse_direction_NS_24const_host_device_scalarIT2_EEPKiS8_PKS5_SA_S6_PS5_21rocsparse_index_base_b.kd
    .uniform_work_group_size: 1
    .uses_dynamic_stack: false
    .vgpr_count:     109
    .vgpr_spill_count: 0
    .wavefront_size: 32
    .workgroup_processor_mode: 1
  - .args:
      - .offset:         0
        .size:           4
        .value_kind:     by_value
      - .offset:         4
        .size:           4
        .value_kind:     by_value
      - .offset:         8
        .size:           16
        .value_kind:     by_value
      - .actual_access:  read_only
        .address_space:  global
        .offset:         24
        .size:           8
        .value_kind:     global_buffer
      - .actual_access:  read_only
        .address_space:  global
        .offset:         32
        .size:           8
        .value_kind:     global_buffer
      - .actual_access:  read_only
        .address_space:  global
        .offset:         40
        .size:           8
        .value_kind:     global_buffer
      - .actual_access:  read_only
        .address_space:  global
        .offset:         48
        .size:           8
        .value_kind:     global_buffer
      - .offset:         56
        .size:           16
        .value_kind:     by_value
      - .address_space:  global
        .offset:         72
        .size:           8
        .value_kind:     global_buffer
      - .offset:         80
        .size:           4
        .value_kind:     by_value
      - .offset:         84
        .size:           1
        .value_kind:     by_value
    .group_segment_fixed_size: 0
    .kernarg_segment_align: 8
    .kernarg_segment_size: 88
    .language:       OpenCL C
    .language_version:
      - 2
      - 0
    .max_flat_workgroup_size: 128
    .name:           _ZN9rocsparseL19gebsrmvn_2xn_kernelILj128ELj9ELj32E21rocsparse_complex_numIdEEEvi20rocsparse_direction_NS_24const_host_device_scalarIT2_EEPKiS8_PKS5_SA_S6_PS5_21rocsparse_index_base_b
    .private_segment_fixed_size: 0
    .sgpr_count:     18
    .sgpr_spill_count: 0
    .symbol:         _ZN9rocsparseL19gebsrmvn_2xn_kernelILj128ELj9ELj32E21rocsparse_complex_numIdEEEvi20rocsparse_direction_NS_24const_host_device_scalarIT2_EEPKiS8_PKS5_SA_S6_PS5_21rocsparse_index_base_b.kd
    .uniform_work_group_size: 1
    .uses_dynamic_stack: false
    .vgpr_count:     109
    .vgpr_spill_count: 0
    .wavefront_size: 32
    .workgroup_processor_mode: 1
  - .args:
      - .offset:         0
        .size:           4
        .value_kind:     by_value
      - .offset:         4
        .size:           4
        .value_kind:     by_value
      - .offset:         8
        .size:           16
        .value_kind:     by_value
      - .actual_access:  read_only
        .address_space:  global
        .offset:         24
        .size:           8
        .value_kind:     global_buffer
      - .actual_access:  read_only
        .address_space:  global
        .offset:         32
        .size:           8
        .value_kind:     global_buffer
      - .actual_access:  read_only
        .address_space:  global
        .offset:         40
        .size:           8
        .value_kind:     global_buffer
      - .actual_access:  read_only
        .address_space:  global
        .offset:         48
        .size:           8
        .value_kind:     global_buffer
      - .offset:         56
        .size:           16
        .value_kind:     by_value
      - .address_space:  global
        .offset:         72
        .size:           8
        .value_kind:     global_buffer
      - .offset:         80
        .size:           4
        .value_kind:     by_value
      - .offset:         84
        .size:           1
        .value_kind:     by_value
    .group_segment_fixed_size: 0
    .kernarg_segment_align: 8
    .kernarg_segment_size: 88
    .language:       OpenCL C
    .language_version:
      - 2
      - 0
    .max_flat_workgroup_size: 128
    .name:           _ZN9rocsparseL19gebsrmvn_2xn_kernelILj128ELj9ELj64E21rocsparse_complex_numIdEEEvi20rocsparse_direction_NS_24const_host_device_scalarIT2_EEPKiS8_PKS5_SA_S6_PS5_21rocsparse_index_base_b
    .private_segment_fixed_size: 0
    .sgpr_count:     18
    .sgpr_spill_count: 0
    .symbol:         _ZN9rocsparseL19gebsrmvn_2xn_kernelILj128ELj9ELj64E21rocsparse_complex_numIdEEEvi20rocsparse_direction_NS_24const_host_device_scalarIT2_EEPKiS8_PKS5_SA_S6_PS5_21rocsparse_index_base_b.kd
    .uniform_work_group_size: 1
    .uses_dynamic_stack: false
    .vgpr_count:     109
    .vgpr_spill_count: 0
    .wavefront_size: 32
    .workgroup_processor_mode: 1
  - .args:
      - .offset:         0
        .size:           4
        .value_kind:     by_value
      - .offset:         4
        .size:           4
        .value_kind:     by_value
      - .offset:         8
        .size:           16
        .value_kind:     by_value
      - .actual_access:  read_only
        .address_space:  global
        .offset:         24
        .size:           8
        .value_kind:     global_buffer
      - .actual_access:  read_only
        .address_space:  global
        .offset:         32
        .size:           8
        .value_kind:     global_buffer
      - .actual_access:  read_only
        .address_space:  global
        .offset:         40
        .size:           8
        .value_kind:     global_buffer
      - .actual_access:  read_only
        .address_space:  global
        .offset:         48
        .size:           8
        .value_kind:     global_buffer
      - .offset:         56
        .size:           16
        .value_kind:     by_value
      - .address_space:  global
        .offset:         72
        .size:           8
        .value_kind:     global_buffer
      - .offset:         80
        .size:           4
        .value_kind:     by_value
      - .offset:         84
        .size:           1
        .value_kind:     by_value
    .group_segment_fixed_size: 0
    .kernarg_segment_align: 8
    .kernarg_segment_size: 88
    .language:       OpenCL C
    .language_version:
      - 2
      - 0
    .max_flat_workgroup_size: 128
    .name:           _ZN9rocsparseL19gebsrmvn_2xn_kernelILj128ELj10ELj4E21rocsparse_complex_numIdEEEvi20rocsparse_direction_NS_24const_host_device_scalarIT2_EEPKiS8_PKS5_SA_S6_PS5_21rocsparse_index_base_b
    .private_segment_fixed_size: 0
    .sgpr_count:     18
    .sgpr_spill_count: 0
    .symbol:         _ZN9rocsparseL19gebsrmvn_2xn_kernelILj128ELj10ELj4E21rocsparse_complex_numIdEEEvi20rocsparse_direction_NS_24const_host_device_scalarIT2_EEPKiS8_PKS5_SA_S6_PS5_21rocsparse_index_base_b.kd
    .uniform_work_group_size: 1
    .uses_dynamic_stack: false
    .vgpr_count:     50
    .vgpr_spill_count: 0
    .wavefront_size: 32
    .workgroup_processor_mode: 1
  - .args:
      - .offset:         0
        .size:           4
        .value_kind:     by_value
      - .offset:         4
        .size:           4
        .value_kind:     by_value
      - .offset:         8
        .size:           16
        .value_kind:     by_value
      - .actual_access:  read_only
        .address_space:  global
        .offset:         24
        .size:           8
        .value_kind:     global_buffer
      - .actual_access:  read_only
        .address_space:  global
        .offset:         32
        .size:           8
        .value_kind:     global_buffer
      - .actual_access:  read_only
        .address_space:  global
        .offset:         40
        .size:           8
        .value_kind:     global_buffer
      - .actual_access:  read_only
        .address_space:  global
        .offset:         48
        .size:           8
        .value_kind:     global_buffer
      - .offset:         56
        .size:           16
        .value_kind:     by_value
      - .address_space:  global
        .offset:         72
        .size:           8
        .value_kind:     global_buffer
      - .offset:         80
        .size:           4
        .value_kind:     by_value
      - .offset:         84
        .size:           1
        .value_kind:     by_value
    .group_segment_fixed_size: 0
    .kernarg_segment_align: 8
    .kernarg_segment_size: 88
    .language:       OpenCL C
    .language_version:
      - 2
      - 0
    .max_flat_workgroup_size: 128
    .name:           _ZN9rocsparseL19gebsrmvn_2xn_kernelILj128ELj10ELj8E21rocsparse_complex_numIdEEEvi20rocsparse_direction_NS_24const_host_device_scalarIT2_EEPKiS8_PKS5_SA_S6_PS5_21rocsparse_index_base_b
    .private_segment_fixed_size: 0
    .sgpr_count:     18
    .sgpr_spill_count: 0
    .symbol:         _ZN9rocsparseL19gebsrmvn_2xn_kernelILj128ELj10ELj8E21rocsparse_complex_numIdEEEvi20rocsparse_direction_NS_24const_host_device_scalarIT2_EEPKiS8_PKS5_SA_S6_PS5_21rocsparse_index_base_b.kd
    .uniform_work_group_size: 1
    .uses_dynamic_stack: false
    .vgpr_count:     50
    .vgpr_spill_count: 0
    .wavefront_size: 32
    .workgroup_processor_mode: 1
  - .args:
      - .offset:         0
        .size:           4
        .value_kind:     by_value
      - .offset:         4
        .size:           4
        .value_kind:     by_value
      - .offset:         8
        .size:           16
        .value_kind:     by_value
      - .actual_access:  read_only
        .address_space:  global
        .offset:         24
        .size:           8
        .value_kind:     global_buffer
      - .actual_access:  read_only
        .address_space:  global
        .offset:         32
        .size:           8
        .value_kind:     global_buffer
      - .actual_access:  read_only
        .address_space:  global
        .offset:         40
        .size:           8
        .value_kind:     global_buffer
      - .actual_access:  read_only
        .address_space:  global
        .offset:         48
        .size:           8
        .value_kind:     global_buffer
      - .offset:         56
        .size:           16
        .value_kind:     by_value
      - .address_space:  global
        .offset:         72
        .size:           8
        .value_kind:     global_buffer
      - .offset:         80
        .size:           4
        .value_kind:     by_value
      - .offset:         84
        .size:           1
        .value_kind:     by_value
    .group_segment_fixed_size: 0
    .kernarg_segment_align: 8
    .kernarg_segment_size: 88
    .language:       OpenCL C
    .language_version:
      - 2
      - 0
    .max_flat_workgroup_size: 128
    .name:           _ZN9rocsparseL19gebsrmvn_2xn_kernelILj128ELj10ELj16E21rocsparse_complex_numIdEEEvi20rocsparse_direction_NS_24const_host_device_scalarIT2_EEPKiS8_PKS5_SA_S6_PS5_21rocsparse_index_base_b
    .private_segment_fixed_size: 0
    .sgpr_count:     18
    .sgpr_spill_count: 0
    .symbol:         _ZN9rocsparseL19gebsrmvn_2xn_kernelILj128ELj10ELj16E21rocsparse_complex_numIdEEEvi20rocsparse_direction_NS_24const_host_device_scalarIT2_EEPKiS8_PKS5_SA_S6_PS5_21rocsparse_index_base_b.kd
    .uniform_work_group_size: 1
    .uses_dynamic_stack: false
    .vgpr_count:     50
    .vgpr_spill_count: 0
    .wavefront_size: 32
    .workgroup_processor_mode: 1
  - .args:
      - .offset:         0
        .size:           4
        .value_kind:     by_value
      - .offset:         4
        .size:           4
        .value_kind:     by_value
      - .offset:         8
        .size:           16
        .value_kind:     by_value
      - .actual_access:  read_only
        .address_space:  global
        .offset:         24
        .size:           8
        .value_kind:     global_buffer
      - .actual_access:  read_only
        .address_space:  global
        .offset:         32
        .size:           8
        .value_kind:     global_buffer
      - .actual_access:  read_only
        .address_space:  global
        .offset:         40
        .size:           8
        .value_kind:     global_buffer
      - .actual_access:  read_only
        .address_space:  global
        .offset:         48
        .size:           8
        .value_kind:     global_buffer
      - .offset:         56
        .size:           16
        .value_kind:     by_value
      - .address_space:  global
        .offset:         72
        .size:           8
        .value_kind:     global_buffer
      - .offset:         80
        .size:           4
        .value_kind:     by_value
      - .offset:         84
        .size:           1
        .value_kind:     by_value
    .group_segment_fixed_size: 0
    .kernarg_segment_align: 8
    .kernarg_segment_size: 88
    .language:       OpenCL C
    .language_version:
      - 2
      - 0
    .max_flat_workgroup_size: 128
    .name:           _ZN9rocsparseL19gebsrmvn_2xn_kernelILj128ELj10ELj32E21rocsparse_complex_numIdEEEvi20rocsparse_direction_NS_24const_host_device_scalarIT2_EEPKiS8_PKS5_SA_S6_PS5_21rocsparse_index_base_b
    .private_segment_fixed_size: 0
    .sgpr_count:     18
    .sgpr_spill_count: 0
    .symbol:         _ZN9rocsparseL19gebsrmvn_2xn_kernelILj128ELj10ELj32E21rocsparse_complex_numIdEEEvi20rocsparse_direction_NS_24const_host_device_scalarIT2_EEPKiS8_PKS5_SA_S6_PS5_21rocsparse_index_base_b.kd
    .uniform_work_group_size: 1
    .uses_dynamic_stack: false
    .vgpr_count:     50
    .vgpr_spill_count: 0
    .wavefront_size: 32
    .workgroup_processor_mode: 1
  - .args:
      - .offset:         0
        .size:           4
        .value_kind:     by_value
      - .offset:         4
        .size:           4
        .value_kind:     by_value
      - .offset:         8
        .size:           16
        .value_kind:     by_value
      - .actual_access:  read_only
        .address_space:  global
        .offset:         24
        .size:           8
        .value_kind:     global_buffer
      - .actual_access:  read_only
        .address_space:  global
        .offset:         32
        .size:           8
        .value_kind:     global_buffer
      - .actual_access:  read_only
        .address_space:  global
        .offset:         40
        .size:           8
        .value_kind:     global_buffer
      - .actual_access:  read_only
        .address_space:  global
        .offset:         48
        .size:           8
        .value_kind:     global_buffer
      - .offset:         56
        .size:           16
        .value_kind:     by_value
      - .address_space:  global
        .offset:         72
        .size:           8
        .value_kind:     global_buffer
      - .offset:         80
        .size:           4
        .value_kind:     by_value
      - .offset:         84
        .size:           1
        .value_kind:     by_value
    .group_segment_fixed_size: 0
    .kernarg_segment_align: 8
    .kernarg_segment_size: 88
    .language:       OpenCL C
    .language_version:
      - 2
      - 0
    .max_flat_workgroup_size: 128
    .name:           _ZN9rocsparseL19gebsrmvn_2xn_kernelILj128ELj10ELj64E21rocsparse_complex_numIdEEEvi20rocsparse_direction_NS_24const_host_device_scalarIT2_EEPKiS8_PKS5_SA_S6_PS5_21rocsparse_index_base_b
    .private_segment_fixed_size: 0
    .sgpr_count:     18
    .sgpr_spill_count: 0
    .symbol:         _ZN9rocsparseL19gebsrmvn_2xn_kernelILj128ELj10ELj64E21rocsparse_complex_numIdEEEvi20rocsparse_direction_NS_24const_host_device_scalarIT2_EEPKiS8_PKS5_SA_S6_PS5_21rocsparse_index_base_b.kd
    .uniform_work_group_size: 1
    .uses_dynamic_stack: false
    .vgpr_count:     50
    .vgpr_spill_count: 0
    .wavefront_size: 32
    .workgroup_processor_mode: 1
  - .args:
      - .offset:         0
        .size:           4
        .value_kind:     by_value
      - .offset:         4
        .size:           4
        .value_kind:     by_value
      - .offset:         8
        .size:           16
        .value_kind:     by_value
      - .actual_access:  read_only
        .address_space:  global
        .offset:         24
        .size:           8
        .value_kind:     global_buffer
      - .actual_access:  read_only
        .address_space:  global
        .offset:         32
        .size:           8
        .value_kind:     global_buffer
      - .actual_access:  read_only
        .address_space:  global
        .offset:         40
        .size:           8
        .value_kind:     global_buffer
      - .actual_access:  read_only
        .address_space:  global
        .offset:         48
        .size:           8
        .value_kind:     global_buffer
      - .offset:         56
        .size:           16
        .value_kind:     by_value
      - .address_space:  global
        .offset:         72
        .size:           8
        .value_kind:     global_buffer
      - .offset:         80
        .size:           4
        .value_kind:     by_value
      - .offset:         84
        .size:           1
        .value_kind:     by_value
    .group_segment_fixed_size: 0
    .kernarg_segment_align: 8
    .kernarg_segment_size: 88
    .language:       OpenCL C
    .language_version:
      - 2
      - 0
    .max_flat_workgroup_size: 128
    .name:           _ZN9rocsparseL19gebsrmvn_2xn_kernelILj128ELj11ELj4E21rocsparse_complex_numIdEEEvi20rocsparse_direction_NS_24const_host_device_scalarIT2_EEPKiS8_PKS5_SA_S6_PS5_21rocsparse_index_base_b
    .private_segment_fixed_size: 0
    .sgpr_count:     18
    .sgpr_spill_count: 0
    .symbol:         _ZN9rocsparseL19gebsrmvn_2xn_kernelILj128ELj11ELj4E21rocsparse_complex_numIdEEEvi20rocsparse_direction_NS_24const_host_device_scalarIT2_EEPKiS8_PKS5_SA_S6_PS5_21rocsparse_index_base_b.kd
    .uniform_work_group_size: 1
    .uses_dynamic_stack: false
    .vgpr_count:     64
    .vgpr_spill_count: 0
    .wavefront_size: 32
    .workgroup_processor_mode: 1
  - .args:
      - .offset:         0
        .size:           4
        .value_kind:     by_value
      - .offset:         4
        .size:           4
        .value_kind:     by_value
      - .offset:         8
        .size:           16
        .value_kind:     by_value
      - .actual_access:  read_only
        .address_space:  global
        .offset:         24
        .size:           8
        .value_kind:     global_buffer
      - .actual_access:  read_only
        .address_space:  global
        .offset:         32
        .size:           8
        .value_kind:     global_buffer
      - .actual_access:  read_only
        .address_space:  global
        .offset:         40
        .size:           8
        .value_kind:     global_buffer
      - .actual_access:  read_only
        .address_space:  global
        .offset:         48
        .size:           8
        .value_kind:     global_buffer
      - .offset:         56
        .size:           16
        .value_kind:     by_value
      - .address_space:  global
        .offset:         72
        .size:           8
        .value_kind:     global_buffer
      - .offset:         80
        .size:           4
        .value_kind:     by_value
      - .offset:         84
        .size:           1
        .value_kind:     by_value
    .group_segment_fixed_size: 0
    .kernarg_segment_align: 8
    .kernarg_segment_size: 88
    .language:       OpenCL C
    .language_version:
      - 2
      - 0
    .max_flat_workgroup_size: 128
    .name:           _ZN9rocsparseL19gebsrmvn_2xn_kernelILj128ELj11ELj8E21rocsparse_complex_numIdEEEvi20rocsparse_direction_NS_24const_host_device_scalarIT2_EEPKiS8_PKS5_SA_S6_PS5_21rocsparse_index_base_b
    .private_segment_fixed_size: 0
    .sgpr_count:     18
    .sgpr_spill_count: 0
    .symbol:         _ZN9rocsparseL19gebsrmvn_2xn_kernelILj128ELj11ELj8E21rocsparse_complex_numIdEEEvi20rocsparse_direction_NS_24const_host_device_scalarIT2_EEPKiS8_PKS5_SA_S6_PS5_21rocsparse_index_base_b.kd
    .uniform_work_group_size: 1
    .uses_dynamic_stack: false
    .vgpr_count:     64
    .vgpr_spill_count: 0
    .wavefront_size: 32
    .workgroup_processor_mode: 1
  - .args:
      - .offset:         0
        .size:           4
        .value_kind:     by_value
      - .offset:         4
        .size:           4
        .value_kind:     by_value
      - .offset:         8
        .size:           16
        .value_kind:     by_value
      - .actual_access:  read_only
        .address_space:  global
        .offset:         24
        .size:           8
        .value_kind:     global_buffer
      - .actual_access:  read_only
        .address_space:  global
        .offset:         32
        .size:           8
        .value_kind:     global_buffer
      - .actual_access:  read_only
        .address_space:  global
        .offset:         40
        .size:           8
        .value_kind:     global_buffer
      - .actual_access:  read_only
        .address_space:  global
        .offset:         48
        .size:           8
        .value_kind:     global_buffer
      - .offset:         56
        .size:           16
        .value_kind:     by_value
      - .address_space:  global
        .offset:         72
        .size:           8
        .value_kind:     global_buffer
      - .offset:         80
        .size:           4
        .value_kind:     by_value
      - .offset:         84
        .size:           1
        .value_kind:     by_value
    .group_segment_fixed_size: 0
    .kernarg_segment_align: 8
    .kernarg_segment_size: 88
    .language:       OpenCL C
    .language_version:
      - 2
      - 0
    .max_flat_workgroup_size: 128
    .name:           _ZN9rocsparseL19gebsrmvn_2xn_kernelILj128ELj11ELj16E21rocsparse_complex_numIdEEEvi20rocsparse_direction_NS_24const_host_device_scalarIT2_EEPKiS8_PKS5_SA_S6_PS5_21rocsparse_index_base_b
    .private_segment_fixed_size: 0
    .sgpr_count:     18
    .sgpr_spill_count: 0
    .symbol:         _ZN9rocsparseL19gebsrmvn_2xn_kernelILj128ELj11ELj16E21rocsparse_complex_numIdEEEvi20rocsparse_direction_NS_24const_host_device_scalarIT2_EEPKiS8_PKS5_SA_S6_PS5_21rocsparse_index_base_b.kd
    .uniform_work_group_size: 1
    .uses_dynamic_stack: false
    .vgpr_count:     64
    .vgpr_spill_count: 0
    .wavefront_size: 32
    .workgroup_processor_mode: 1
  - .args:
      - .offset:         0
        .size:           4
        .value_kind:     by_value
      - .offset:         4
        .size:           4
        .value_kind:     by_value
      - .offset:         8
        .size:           16
        .value_kind:     by_value
      - .actual_access:  read_only
        .address_space:  global
        .offset:         24
        .size:           8
        .value_kind:     global_buffer
      - .actual_access:  read_only
        .address_space:  global
        .offset:         32
        .size:           8
        .value_kind:     global_buffer
      - .actual_access:  read_only
        .address_space:  global
        .offset:         40
        .size:           8
        .value_kind:     global_buffer
      - .actual_access:  read_only
        .address_space:  global
        .offset:         48
        .size:           8
        .value_kind:     global_buffer
      - .offset:         56
        .size:           16
        .value_kind:     by_value
      - .address_space:  global
        .offset:         72
        .size:           8
        .value_kind:     global_buffer
      - .offset:         80
        .size:           4
        .value_kind:     by_value
      - .offset:         84
        .size:           1
        .value_kind:     by_value
    .group_segment_fixed_size: 0
    .kernarg_segment_align: 8
    .kernarg_segment_size: 88
    .language:       OpenCL C
    .language_version:
      - 2
      - 0
    .max_flat_workgroup_size: 128
    .name:           _ZN9rocsparseL19gebsrmvn_2xn_kernelILj128ELj11ELj32E21rocsparse_complex_numIdEEEvi20rocsparse_direction_NS_24const_host_device_scalarIT2_EEPKiS8_PKS5_SA_S6_PS5_21rocsparse_index_base_b
    .private_segment_fixed_size: 0
    .sgpr_count:     18
    .sgpr_spill_count: 0
    .symbol:         _ZN9rocsparseL19gebsrmvn_2xn_kernelILj128ELj11ELj32E21rocsparse_complex_numIdEEEvi20rocsparse_direction_NS_24const_host_device_scalarIT2_EEPKiS8_PKS5_SA_S6_PS5_21rocsparse_index_base_b.kd
    .uniform_work_group_size: 1
    .uses_dynamic_stack: false
    .vgpr_count:     64
    .vgpr_spill_count: 0
    .wavefront_size: 32
    .workgroup_processor_mode: 1
  - .args:
      - .offset:         0
        .size:           4
        .value_kind:     by_value
      - .offset:         4
        .size:           4
        .value_kind:     by_value
      - .offset:         8
        .size:           16
        .value_kind:     by_value
      - .actual_access:  read_only
        .address_space:  global
        .offset:         24
        .size:           8
        .value_kind:     global_buffer
      - .actual_access:  read_only
        .address_space:  global
        .offset:         32
        .size:           8
        .value_kind:     global_buffer
      - .actual_access:  read_only
        .address_space:  global
        .offset:         40
        .size:           8
        .value_kind:     global_buffer
      - .actual_access:  read_only
        .address_space:  global
        .offset:         48
        .size:           8
        .value_kind:     global_buffer
      - .offset:         56
        .size:           16
        .value_kind:     by_value
      - .address_space:  global
        .offset:         72
        .size:           8
        .value_kind:     global_buffer
      - .offset:         80
        .size:           4
        .value_kind:     by_value
      - .offset:         84
        .size:           1
        .value_kind:     by_value
    .group_segment_fixed_size: 0
    .kernarg_segment_align: 8
    .kernarg_segment_size: 88
    .language:       OpenCL C
    .language_version:
      - 2
      - 0
    .max_flat_workgroup_size: 128
    .name:           _ZN9rocsparseL19gebsrmvn_2xn_kernelILj128ELj11ELj64E21rocsparse_complex_numIdEEEvi20rocsparse_direction_NS_24const_host_device_scalarIT2_EEPKiS8_PKS5_SA_S6_PS5_21rocsparse_index_base_b
    .private_segment_fixed_size: 0
    .sgpr_count:     18
    .sgpr_spill_count: 0
    .symbol:         _ZN9rocsparseL19gebsrmvn_2xn_kernelILj128ELj11ELj64E21rocsparse_complex_numIdEEEvi20rocsparse_direction_NS_24const_host_device_scalarIT2_EEPKiS8_PKS5_SA_S6_PS5_21rocsparse_index_base_b.kd
    .uniform_work_group_size: 1
    .uses_dynamic_stack: false
    .vgpr_count:     64
    .vgpr_spill_count: 0
    .wavefront_size: 32
    .workgroup_processor_mode: 1
  - .args:
      - .offset:         0
        .size:           4
        .value_kind:     by_value
      - .offset:         4
        .size:           4
        .value_kind:     by_value
      - .offset:         8
        .size:           16
        .value_kind:     by_value
      - .actual_access:  read_only
        .address_space:  global
        .offset:         24
        .size:           8
        .value_kind:     global_buffer
      - .actual_access:  read_only
        .address_space:  global
        .offset:         32
        .size:           8
        .value_kind:     global_buffer
      - .actual_access:  read_only
        .address_space:  global
        .offset:         40
        .size:           8
        .value_kind:     global_buffer
      - .actual_access:  read_only
        .address_space:  global
        .offset:         48
        .size:           8
        .value_kind:     global_buffer
      - .offset:         56
        .size:           16
        .value_kind:     by_value
      - .address_space:  global
        .offset:         72
        .size:           8
        .value_kind:     global_buffer
      - .offset:         80
        .size:           4
        .value_kind:     by_value
      - .offset:         84
        .size:           1
        .value_kind:     by_value
    .group_segment_fixed_size: 0
    .kernarg_segment_align: 8
    .kernarg_segment_size: 88
    .language:       OpenCL C
    .language_version:
      - 2
      - 0
    .max_flat_workgroup_size: 128
    .name:           _ZN9rocsparseL19gebsrmvn_2xn_kernelILj128ELj12ELj4E21rocsparse_complex_numIdEEEvi20rocsparse_direction_NS_24const_host_device_scalarIT2_EEPKiS8_PKS5_SA_S6_PS5_21rocsparse_index_base_b
    .private_segment_fixed_size: 0
    .sgpr_count:     18
    .sgpr_spill_count: 0
    .symbol:         _ZN9rocsparseL19gebsrmvn_2xn_kernelILj128ELj12ELj4E21rocsparse_complex_numIdEEEvi20rocsparse_direction_NS_24const_host_device_scalarIT2_EEPKiS8_PKS5_SA_S6_PS5_21rocsparse_index_base_b.kd
    .uniform_work_group_size: 1
    .uses_dynamic_stack: false
    .vgpr_count:     76
    .vgpr_spill_count: 0
    .wavefront_size: 32
    .workgroup_processor_mode: 1
  - .args:
      - .offset:         0
        .size:           4
        .value_kind:     by_value
      - .offset:         4
        .size:           4
        .value_kind:     by_value
      - .offset:         8
        .size:           16
        .value_kind:     by_value
      - .actual_access:  read_only
        .address_space:  global
        .offset:         24
        .size:           8
        .value_kind:     global_buffer
      - .actual_access:  read_only
        .address_space:  global
        .offset:         32
        .size:           8
        .value_kind:     global_buffer
      - .actual_access:  read_only
        .address_space:  global
        .offset:         40
        .size:           8
        .value_kind:     global_buffer
      - .actual_access:  read_only
        .address_space:  global
        .offset:         48
        .size:           8
        .value_kind:     global_buffer
      - .offset:         56
        .size:           16
        .value_kind:     by_value
      - .address_space:  global
        .offset:         72
        .size:           8
        .value_kind:     global_buffer
      - .offset:         80
        .size:           4
        .value_kind:     by_value
      - .offset:         84
        .size:           1
        .value_kind:     by_value
    .group_segment_fixed_size: 0
    .kernarg_segment_align: 8
    .kernarg_segment_size: 88
    .language:       OpenCL C
    .language_version:
      - 2
      - 0
    .max_flat_workgroup_size: 128
    .name:           _ZN9rocsparseL19gebsrmvn_2xn_kernelILj128ELj12ELj8E21rocsparse_complex_numIdEEEvi20rocsparse_direction_NS_24const_host_device_scalarIT2_EEPKiS8_PKS5_SA_S6_PS5_21rocsparse_index_base_b
    .private_segment_fixed_size: 0
    .sgpr_count:     18
    .sgpr_spill_count: 0
    .symbol:         _ZN9rocsparseL19gebsrmvn_2xn_kernelILj128ELj12ELj8E21rocsparse_complex_numIdEEEvi20rocsparse_direction_NS_24const_host_device_scalarIT2_EEPKiS8_PKS5_SA_S6_PS5_21rocsparse_index_base_b.kd
    .uniform_work_group_size: 1
    .uses_dynamic_stack: false
    .vgpr_count:     76
    .vgpr_spill_count: 0
    .wavefront_size: 32
    .workgroup_processor_mode: 1
  - .args:
      - .offset:         0
        .size:           4
        .value_kind:     by_value
      - .offset:         4
        .size:           4
        .value_kind:     by_value
      - .offset:         8
        .size:           16
        .value_kind:     by_value
      - .actual_access:  read_only
        .address_space:  global
        .offset:         24
        .size:           8
        .value_kind:     global_buffer
      - .actual_access:  read_only
        .address_space:  global
        .offset:         32
        .size:           8
        .value_kind:     global_buffer
      - .actual_access:  read_only
        .address_space:  global
        .offset:         40
        .size:           8
        .value_kind:     global_buffer
      - .actual_access:  read_only
        .address_space:  global
        .offset:         48
        .size:           8
        .value_kind:     global_buffer
      - .offset:         56
        .size:           16
        .value_kind:     by_value
      - .address_space:  global
        .offset:         72
        .size:           8
        .value_kind:     global_buffer
      - .offset:         80
        .size:           4
        .value_kind:     by_value
      - .offset:         84
        .size:           1
        .value_kind:     by_value
    .group_segment_fixed_size: 0
    .kernarg_segment_align: 8
    .kernarg_segment_size: 88
    .language:       OpenCL C
    .language_version:
      - 2
      - 0
    .max_flat_workgroup_size: 128
    .name:           _ZN9rocsparseL19gebsrmvn_2xn_kernelILj128ELj12ELj16E21rocsparse_complex_numIdEEEvi20rocsparse_direction_NS_24const_host_device_scalarIT2_EEPKiS8_PKS5_SA_S6_PS5_21rocsparse_index_base_b
    .private_segment_fixed_size: 0
    .sgpr_count:     18
    .sgpr_spill_count: 0
    .symbol:         _ZN9rocsparseL19gebsrmvn_2xn_kernelILj128ELj12ELj16E21rocsparse_complex_numIdEEEvi20rocsparse_direction_NS_24const_host_device_scalarIT2_EEPKiS8_PKS5_SA_S6_PS5_21rocsparse_index_base_b.kd
    .uniform_work_group_size: 1
    .uses_dynamic_stack: false
    .vgpr_count:     76
    .vgpr_spill_count: 0
    .wavefront_size: 32
    .workgroup_processor_mode: 1
  - .args:
      - .offset:         0
        .size:           4
        .value_kind:     by_value
      - .offset:         4
        .size:           4
        .value_kind:     by_value
      - .offset:         8
        .size:           16
        .value_kind:     by_value
      - .actual_access:  read_only
        .address_space:  global
        .offset:         24
        .size:           8
        .value_kind:     global_buffer
      - .actual_access:  read_only
        .address_space:  global
        .offset:         32
        .size:           8
        .value_kind:     global_buffer
      - .actual_access:  read_only
        .address_space:  global
        .offset:         40
        .size:           8
        .value_kind:     global_buffer
      - .actual_access:  read_only
        .address_space:  global
        .offset:         48
        .size:           8
        .value_kind:     global_buffer
      - .offset:         56
        .size:           16
        .value_kind:     by_value
      - .address_space:  global
        .offset:         72
        .size:           8
        .value_kind:     global_buffer
      - .offset:         80
        .size:           4
        .value_kind:     by_value
      - .offset:         84
        .size:           1
        .value_kind:     by_value
    .group_segment_fixed_size: 0
    .kernarg_segment_align: 8
    .kernarg_segment_size: 88
    .language:       OpenCL C
    .language_version:
      - 2
      - 0
    .max_flat_workgroup_size: 128
    .name:           _ZN9rocsparseL19gebsrmvn_2xn_kernelILj128ELj12ELj32E21rocsparse_complex_numIdEEEvi20rocsparse_direction_NS_24const_host_device_scalarIT2_EEPKiS8_PKS5_SA_S6_PS5_21rocsparse_index_base_b
    .private_segment_fixed_size: 0
    .sgpr_count:     18
    .sgpr_spill_count: 0
    .symbol:         _ZN9rocsparseL19gebsrmvn_2xn_kernelILj128ELj12ELj32E21rocsparse_complex_numIdEEEvi20rocsparse_direction_NS_24const_host_device_scalarIT2_EEPKiS8_PKS5_SA_S6_PS5_21rocsparse_index_base_b.kd
    .uniform_work_group_size: 1
    .uses_dynamic_stack: false
    .vgpr_count:     76
    .vgpr_spill_count: 0
    .wavefront_size: 32
    .workgroup_processor_mode: 1
  - .args:
      - .offset:         0
        .size:           4
        .value_kind:     by_value
      - .offset:         4
        .size:           4
        .value_kind:     by_value
      - .offset:         8
        .size:           16
        .value_kind:     by_value
      - .actual_access:  read_only
        .address_space:  global
        .offset:         24
        .size:           8
        .value_kind:     global_buffer
      - .actual_access:  read_only
        .address_space:  global
        .offset:         32
        .size:           8
        .value_kind:     global_buffer
      - .actual_access:  read_only
        .address_space:  global
        .offset:         40
        .size:           8
        .value_kind:     global_buffer
      - .actual_access:  read_only
        .address_space:  global
        .offset:         48
        .size:           8
        .value_kind:     global_buffer
      - .offset:         56
        .size:           16
        .value_kind:     by_value
      - .address_space:  global
        .offset:         72
        .size:           8
        .value_kind:     global_buffer
      - .offset:         80
        .size:           4
        .value_kind:     by_value
      - .offset:         84
        .size:           1
        .value_kind:     by_value
    .group_segment_fixed_size: 0
    .kernarg_segment_align: 8
    .kernarg_segment_size: 88
    .language:       OpenCL C
    .language_version:
      - 2
      - 0
    .max_flat_workgroup_size: 128
    .name:           _ZN9rocsparseL19gebsrmvn_2xn_kernelILj128ELj12ELj64E21rocsparse_complex_numIdEEEvi20rocsparse_direction_NS_24const_host_device_scalarIT2_EEPKiS8_PKS5_SA_S6_PS5_21rocsparse_index_base_b
    .private_segment_fixed_size: 0
    .sgpr_count:     18
    .sgpr_spill_count: 0
    .symbol:         _ZN9rocsparseL19gebsrmvn_2xn_kernelILj128ELj12ELj64E21rocsparse_complex_numIdEEEvi20rocsparse_direction_NS_24const_host_device_scalarIT2_EEPKiS8_PKS5_SA_S6_PS5_21rocsparse_index_base_b.kd
    .uniform_work_group_size: 1
    .uses_dynamic_stack: false
    .vgpr_count:     76
    .vgpr_spill_count: 0
    .wavefront_size: 32
    .workgroup_processor_mode: 1
  - .args:
      - .offset:         0
        .size:           4
        .value_kind:     by_value
      - .offset:         4
        .size:           4
        .value_kind:     by_value
      - .offset:         8
        .size:           16
        .value_kind:     by_value
      - .actual_access:  read_only
        .address_space:  global
        .offset:         24
        .size:           8
        .value_kind:     global_buffer
      - .actual_access:  read_only
        .address_space:  global
        .offset:         32
        .size:           8
        .value_kind:     global_buffer
      - .actual_access:  read_only
        .address_space:  global
        .offset:         40
        .size:           8
        .value_kind:     global_buffer
      - .actual_access:  read_only
        .address_space:  global
        .offset:         48
        .size:           8
        .value_kind:     global_buffer
      - .offset:         56
        .size:           16
        .value_kind:     by_value
      - .address_space:  global
        .offset:         72
        .size:           8
        .value_kind:     global_buffer
      - .offset:         80
        .size:           4
        .value_kind:     by_value
      - .offset:         84
        .size:           1
        .value_kind:     by_value
    .group_segment_fixed_size: 0
    .kernarg_segment_align: 8
    .kernarg_segment_size: 88
    .language:       OpenCL C
    .language_version:
      - 2
      - 0
    .max_flat_workgroup_size: 128
    .name:           _ZN9rocsparseL19gebsrmvn_2xn_kernelILj128ELj13ELj4E21rocsparse_complex_numIdEEEvi20rocsparse_direction_NS_24const_host_device_scalarIT2_EEPKiS8_PKS5_SA_S6_PS5_21rocsparse_index_base_b
    .private_segment_fixed_size: 0
    .sgpr_count:     18
    .sgpr_spill_count: 0
    .symbol:         _ZN9rocsparseL19gebsrmvn_2xn_kernelILj128ELj13ELj4E21rocsparse_complex_numIdEEEvi20rocsparse_direction_NS_24const_host_device_scalarIT2_EEPKiS8_PKS5_SA_S6_PS5_21rocsparse_index_base_b.kd
    .uniform_work_group_size: 1
    .uses_dynamic_stack: false
    .vgpr_count:     70
    .vgpr_spill_count: 0
    .wavefront_size: 32
    .workgroup_processor_mode: 1
  - .args:
      - .offset:         0
        .size:           4
        .value_kind:     by_value
      - .offset:         4
        .size:           4
        .value_kind:     by_value
      - .offset:         8
        .size:           16
        .value_kind:     by_value
      - .actual_access:  read_only
        .address_space:  global
        .offset:         24
        .size:           8
        .value_kind:     global_buffer
      - .actual_access:  read_only
        .address_space:  global
        .offset:         32
        .size:           8
        .value_kind:     global_buffer
      - .actual_access:  read_only
        .address_space:  global
        .offset:         40
        .size:           8
        .value_kind:     global_buffer
      - .actual_access:  read_only
        .address_space:  global
        .offset:         48
        .size:           8
        .value_kind:     global_buffer
      - .offset:         56
        .size:           16
        .value_kind:     by_value
      - .address_space:  global
        .offset:         72
        .size:           8
        .value_kind:     global_buffer
      - .offset:         80
        .size:           4
        .value_kind:     by_value
      - .offset:         84
        .size:           1
        .value_kind:     by_value
    .group_segment_fixed_size: 0
    .kernarg_segment_align: 8
    .kernarg_segment_size: 88
    .language:       OpenCL C
    .language_version:
      - 2
      - 0
    .max_flat_workgroup_size: 128
    .name:           _ZN9rocsparseL19gebsrmvn_2xn_kernelILj128ELj13ELj8E21rocsparse_complex_numIdEEEvi20rocsparse_direction_NS_24const_host_device_scalarIT2_EEPKiS8_PKS5_SA_S6_PS5_21rocsparse_index_base_b
    .private_segment_fixed_size: 0
    .sgpr_count:     18
    .sgpr_spill_count: 0
    .symbol:         _ZN9rocsparseL19gebsrmvn_2xn_kernelILj128ELj13ELj8E21rocsparse_complex_numIdEEEvi20rocsparse_direction_NS_24const_host_device_scalarIT2_EEPKiS8_PKS5_SA_S6_PS5_21rocsparse_index_base_b.kd
    .uniform_work_group_size: 1
    .uses_dynamic_stack: false
    .vgpr_count:     70
    .vgpr_spill_count: 0
    .wavefront_size: 32
    .workgroup_processor_mode: 1
  - .args:
      - .offset:         0
        .size:           4
        .value_kind:     by_value
      - .offset:         4
        .size:           4
        .value_kind:     by_value
      - .offset:         8
        .size:           16
        .value_kind:     by_value
      - .actual_access:  read_only
        .address_space:  global
        .offset:         24
        .size:           8
        .value_kind:     global_buffer
      - .actual_access:  read_only
        .address_space:  global
        .offset:         32
        .size:           8
        .value_kind:     global_buffer
      - .actual_access:  read_only
        .address_space:  global
        .offset:         40
        .size:           8
        .value_kind:     global_buffer
      - .actual_access:  read_only
        .address_space:  global
        .offset:         48
        .size:           8
        .value_kind:     global_buffer
      - .offset:         56
        .size:           16
        .value_kind:     by_value
      - .address_space:  global
        .offset:         72
        .size:           8
        .value_kind:     global_buffer
      - .offset:         80
        .size:           4
        .value_kind:     by_value
      - .offset:         84
        .size:           1
        .value_kind:     by_value
    .group_segment_fixed_size: 0
    .kernarg_segment_align: 8
    .kernarg_segment_size: 88
    .language:       OpenCL C
    .language_version:
      - 2
      - 0
    .max_flat_workgroup_size: 128
    .name:           _ZN9rocsparseL19gebsrmvn_2xn_kernelILj128ELj13ELj16E21rocsparse_complex_numIdEEEvi20rocsparse_direction_NS_24const_host_device_scalarIT2_EEPKiS8_PKS5_SA_S6_PS5_21rocsparse_index_base_b
    .private_segment_fixed_size: 0
    .sgpr_count:     18
    .sgpr_spill_count: 0
    .symbol:         _ZN9rocsparseL19gebsrmvn_2xn_kernelILj128ELj13ELj16E21rocsparse_complex_numIdEEEvi20rocsparse_direction_NS_24const_host_device_scalarIT2_EEPKiS8_PKS5_SA_S6_PS5_21rocsparse_index_base_b.kd
    .uniform_work_group_size: 1
    .uses_dynamic_stack: false
    .vgpr_count:     70
    .vgpr_spill_count: 0
    .wavefront_size: 32
    .workgroup_processor_mode: 1
  - .args:
      - .offset:         0
        .size:           4
        .value_kind:     by_value
      - .offset:         4
        .size:           4
        .value_kind:     by_value
      - .offset:         8
        .size:           16
        .value_kind:     by_value
      - .actual_access:  read_only
        .address_space:  global
        .offset:         24
        .size:           8
        .value_kind:     global_buffer
      - .actual_access:  read_only
        .address_space:  global
        .offset:         32
        .size:           8
        .value_kind:     global_buffer
      - .actual_access:  read_only
        .address_space:  global
        .offset:         40
        .size:           8
        .value_kind:     global_buffer
      - .actual_access:  read_only
        .address_space:  global
        .offset:         48
        .size:           8
        .value_kind:     global_buffer
      - .offset:         56
        .size:           16
        .value_kind:     by_value
      - .address_space:  global
        .offset:         72
        .size:           8
        .value_kind:     global_buffer
      - .offset:         80
        .size:           4
        .value_kind:     by_value
      - .offset:         84
        .size:           1
        .value_kind:     by_value
    .group_segment_fixed_size: 0
    .kernarg_segment_align: 8
    .kernarg_segment_size: 88
    .language:       OpenCL C
    .language_version:
      - 2
      - 0
    .max_flat_workgroup_size: 128
    .name:           _ZN9rocsparseL19gebsrmvn_2xn_kernelILj128ELj13ELj32E21rocsparse_complex_numIdEEEvi20rocsparse_direction_NS_24const_host_device_scalarIT2_EEPKiS8_PKS5_SA_S6_PS5_21rocsparse_index_base_b
    .private_segment_fixed_size: 0
    .sgpr_count:     18
    .sgpr_spill_count: 0
    .symbol:         _ZN9rocsparseL19gebsrmvn_2xn_kernelILj128ELj13ELj32E21rocsparse_complex_numIdEEEvi20rocsparse_direction_NS_24const_host_device_scalarIT2_EEPKiS8_PKS5_SA_S6_PS5_21rocsparse_index_base_b.kd
    .uniform_work_group_size: 1
    .uses_dynamic_stack: false
    .vgpr_count:     70
    .vgpr_spill_count: 0
    .wavefront_size: 32
    .workgroup_processor_mode: 1
  - .args:
      - .offset:         0
        .size:           4
        .value_kind:     by_value
      - .offset:         4
        .size:           4
        .value_kind:     by_value
      - .offset:         8
        .size:           16
        .value_kind:     by_value
      - .actual_access:  read_only
        .address_space:  global
        .offset:         24
        .size:           8
        .value_kind:     global_buffer
      - .actual_access:  read_only
        .address_space:  global
        .offset:         32
        .size:           8
        .value_kind:     global_buffer
      - .actual_access:  read_only
        .address_space:  global
        .offset:         40
        .size:           8
        .value_kind:     global_buffer
      - .actual_access:  read_only
        .address_space:  global
        .offset:         48
        .size:           8
        .value_kind:     global_buffer
      - .offset:         56
        .size:           16
        .value_kind:     by_value
      - .address_space:  global
        .offset:         72
        .size:           8
        .value_kind:     global_buffer
      - .offset:         80
        .size:           4
        .value_kind:     by_value
      - .offset:         84
        .size:           1
        .value_kind:     by_value
    .group_segment_fixed_size: 0
    .kernarg_segment_align: 8
    .kernarg_segment_size: 88
    .language:       OpenCL C
    .language_version:
      - 2
      - 0
    .max_flat_workgroup_size: 128
    .name:           _ZN9rocsparseL19gebsrmvn_2xn_kernelILj128ELj13ELj64E21rocsparse_complex_numIdEEEvi20rocsparse_direction_NS_24const_host_device_scalarIT2_EEPKiS8_PKS5_SA_S6_PS5_21rocsparse_index_base_b
    .private_segment_fixed_size: 0
    .sgpr_count:     18
    .sgpr_spill_count: 0
    .symbol:         _ZN9rocsparseL19gebsrmvn_2xn_kernelILj128ELj13ELj64E21rocsparse_complex_numIdEEEvi20rocsparse_direction_NS_24const_host_device_scalarIT2_EEPKiS8_PKS5_SA_S6_PS5_21rocsparse_index_base_b.kd
    .uniform_work_group_size: 1
    .uses_dynamic_stack: false
    .vgpr_count:     70
    .vgpr_spill_count: 0
    .wavefront_size: 32
    .workgroup_processor_mode: 1
  - .args:
      - .offset:         0
        .size:           4
        .value_kind:     by_value
      - .offset:         4
        .size:           4
        .value_kind:     by_value
      - .offset:         8
        .size:           16
        .value_kind:     by_value
      - .actual_access:  read_only
        .address_space:  global
        .offset:         24
        .size:           8
        .value_kind:     global_buffer
      - .actual_access:  read_only
        .address_space:  global
        .offset:         32
        .size:           8
        .value_kind:     global_buffer
      - .actual_access:  read_only
        .address_space:  global
        .offset:         40
        .size:           8
        .value_kind:     global_buffer
      - .actual_access:  read_only
        .address_space:  global
        .offset:         48
        .size:           8
        .value_kind:     global_buffer
      - .offset:         56
        .size:           16
        .value_kind:     by_value
      - .address_space:  global
        .offset:         72
        .size:           8
        .value_kind:     global_buffer
      - .offset:         80
        .size:           4
        .value_kind:     by_value
      - .offset:         84
        .size:           1
        .value_kind:     by_value
    .group_segment_fixed_size: 0
    .kernarg_segment_align: 8
    .kernarg_segment_size: 88
    .language:       OpenCL C
    .language_version:
      - 2
      - 0
    .max_flat_workgroup_size: 128
    .name:           _ZN9rocsparseL19gebsrmvn_2xn_kernelILj128ELj14ELj4E21rocsparse_complex_numIdEEEvi20rocsparse_direction_NS_24const_host_device_scalarIT2_EEPKiS8_PKS5_SA_S6_PS5_21rocsparse_index_base_b
    .private_segment_fixed_size: 0
    .sgpr_count:     18
    .sgpr_spill_count: 0
    .symbol:         _ZN9rocsparseL19gebsrmvn_2xn_kernelILj128ELj14ELj4E21rocsparse_complex_numIdEEEvi20rocsparse_direction_NS_24const_host_device_scalarIT2_EEPKiS8_PKS5_SA_S6_PS5_21rocsparse_index_base_b.kd
    .uniform_work_group_size: 1
    .uses_dynamic_stack: false
    .vgpr_count:     50
    .vgpr_spill_count: 0
    .wavefront_size: 32
    .workgroup_processor_mode: 1
  - .args:
      - .offset:         0
        .size:           4
        .value_kind:     by_value
      - .offset:         4
        .size:           4
        .value_kind:     by_value
      - .offset:         8
        .size:           16
        .value_kind:     by_value
      - .actual_access:  read_only
        .address_space:  global
        .offset:         24
        .size:           8
        .value_kind:     global_buffer
      - .actual_access:  read_only
        .address_space:  global
        .offset:         32
        .size:           8
        .value_kind:     global_buffer
      - .actual_access:  read_only
        .address_space:  global
        .offset:         40
        .size:           8
        .value_kind:     global_buffer
      - .actual_access:  read_only
        .address_space:  global
        .offset:         48
        .size:           8
        .value_kind:     global_buffer
      - .offset:         56
        .size:           16
        .value_kind:     by_value
      - .address_space:  global
        .offset:         72
        .size:           8
        .value_kind:     global_buffer
      - .offset:         80
        .size:           4
        .value_kind:     by_value
      - .offset:         84
        .size:           1
        .value_kind:     by_value
    .group_segment_fixed_size: 0
    .kernarg_segment_align: 8
    .kernarg_segment_size: 88
    .language:       OpenCL C
    .language_version:
      - 2
      - 0
    .max_flat_workgroup_size: 128
    .name:           _ZN9rocsparseL19gebsrmvn_2xn_kernelILj128ELj14ELj8E21rocsparse_complex_numIdEEEvi20rocsparse_direction_NS_24const_host_device_scalarIT2_EEPKiS8_PKS5_SA_S6_PS5_21rocsparse_index_base_b
    .private_segment_fixed_size: 0
    .sgpr_count:     18
    .sgpr_spill_count: 0
    .symbol:         _ZN9rocsparseL19gebsrmvn_2xn_kernelILj128ELj14ELj8E21rocsparse_complex_numIdEEEvi20rocsparse_direction_NS_24const_host_device_scalarIT2_EEPKiS8_PKS5_SA_S6_PS5_21rocsparse_index_base_b.kd
    .uniform_work_group_size: 1
    .uses_dynamic_stack: false
    .vgpr_count:     50
    .vgpr_spill_count: 0
    .wavefront_size: 32
    .workgroup_processor_mode: 1
  - .args:
      - .offset:         0
        .size:           4
        .value_kind:     by_value
      - .offset:         4
        .size:           4
        .value_kind:     by_value
      - .offset:         8
        .size:           16
        .value_kind:     by_value
      - .actual_access:  read_only
        .address_space:  global
        .offset:         24
        .size:           8
        .value_kind:     global_buffer
      - .actual_access:  read_only
        .address_space:  global
        .offset:         32
        .size:           8
        .value_kind:     global_buffer
      - .actual_access:  read_only
        .address_space:  global
        .offset:         40
        .size:           8
        .value_kind:     global_buffer
      - .actual_access:  read_only
        .address_space:  global
        .offset:         48
        .size:           8
        .value_kind:     global_buffer
      - .offset:         56
        .size:           16
        .value_kind:     by_value
      - .address_space:  global
        .offset:         72
        .size:           8
        .value_kind:     global_buffer
      - .offset:         80
        .size:           4
        .value_kind:     by_value
      - .offset:         84
        .size:           1
        .value_kind:     by_value
    .group_segment_fixed_size: 0
    .kernarg_segment_align: 8
    .kernarg_segment_size: 88
    .language:       OpenCL C
    .language_version:
      - 2
      - 0
    .max_flat_workgroup_size: 128
    .name:           _ZN9rocsparseL19gebsrmvn_2xn_kernelILj128ELj14ELj16E21rocsparse_complex_numIdEEEvi20rocsparse_direction_NS_24const_host_device_scalarIT2_EEPKiS8_PKS5_SA_S6_PS5_21rocsparse_index_base_b
    .private_segment_fixed_size: 0
    .sgpr_count:     18
    .sgpr_spill_count: 0
    .symbol:         _ZN9rocsparseL19gebsrmvn_2xn_kernelILj128ELj14ELj16E21rocsparse_complex_numIdEEEvi20rocsparse_direction_NS_24const_host_device_scalarIT2_EEPKiS8_PKS5_SA_S6_PS5_21rocsparse_index_base_b.kd
    .uniform_work_group_size: 1
    .uses_dynamic_stack: false
    .vgpr_count:     50
    .vgpr_spill_count: 0
    .wavefront_size: 32
    .workgroup_processor_mode: 1
  - .args:
      - .offset:         0
        .size:           4
        .value_kind:     by_value
      - .offset:         4
        .size:           4
        .value_kind:     by_value
      - .offset:         8
        .size:           16
        .value_kind:     by_value
      - .actual_access:  read_only
        .address_space:  global
        .offset:         24
        .size:           8
        .value_kind:     global_buffer
      - .actual_access:  read_only
        .address_space:  global
        .offset:         32
        .size:           8
        .value_kind:     global_buffer
      - .actual_access:  read_only
        .address_space:  global
        .offset:         40
        .size:           8
        .value_kind:     global_buffer
      - .actual_access:  read_only
        .address_space:  global
        .offset:         48
        .size:           8
        .value_kind:     global_buffer
      - .offset:         56
        .size:           16
        .value_kind:     by_value
      - .address_space:  global
        .offset:         72
        .size:           8
        .value_kind:     global_buffer
      - .offset:         80
        .size:           4
        .value_kind:     by_value
      - .offset:         84
        .size:           1
        .value_kind:     by_value
    .group_segment_fixed_size: 0
    .kernarg_segment_align: 8
    .kernarg_segment_size: 88
    .language:       OpenCL C
    .language_version:
      - 2
      - 0
    .max_flat_workgroup_size: 128
    .name:           _ZN9rocsparseL19gebsrmvn_2xn_kernelILj128ELj14ELj32E21rocsparse_complex_numIdEEEvi20rocsparse_direction_NS_24const_host_device_scalarIT2_EEPKiS8_PKS5_SA_S6_PS5_21rocsparse_index_base_b
    .private_segment_fixed_size: 0
    .sgpr_count:     18
    .sgpr_spill_count: 0
    .symbol:         _ZN9rocsparseL19gebsrmvn_2xn_kernelILj128ELj14ELj32E21rocsparse_complex_numIdEEEvi20rocsparse_direction_NS_24const_host_device_scalarIT2_EEPKiS8_PKS5_SA_S6_PS5_21rocsparse_index_base_b.kd
    .uniform_work_group_size: 1
    .uses_dynamic_stack: false
    .vgpr_count:     50
    .vgpr_spill_count: 0
    .wavefront_size: 32
    .workgroup_processor_mode: 1
  - .args:
      - .offset:         0
        .size:           4
        .value_kind:     by_value
      - .offset:         4
        .size:           4
        .value_kind:     by_value
      - .offset:         8
        .size:           16
        .value_kind:     by_value
      - .actual_access:  read_only
        .address_space:  global
        .offset:         24
        .size:           8
        .value_kind:     global_buffer
      - .actual_access:  read_only
        .address_space:  global
        .offset:         32
        .size:           8
        .value_kind:     global_buffer
      - .actual_access:  read_only
        .address_space:  global
        .offset:         40
        .size:           8
        .value_kind:     global_buffer
      - .actual_access:  read_only
        .address_space:  global
        .offset:         48
        .size:           8
        .value_kind:     global_buffer
      - .offset:         56
        .size:           16
        .value_kind:     by_value
      - .address_space:  global
        .offset:         72
        .size:           8
        .value_kind:     global_buffer
      - .offset:         80
        .size:           4
        .value_kind:     by_value
      - .offset:         84
        .size:           1
        .value_kind:     by_value
    .group_segment_fixed_size: 0
    .kernarg_segment_align: 8
    .kernarg_segment_size: 88
    .language:       OpenCL C
    .language_version:
      - 2
      - 0
    .max_flat_workgroup_size: 128
    .name:           _ZN9rocsparseL19gebsrmvn_2xn_kernelILj128ELj14ELj64E21rocsparse_complex_numIdEEEvi20rocsparse_direction_NS_24const_host_device_scalarIT2_EEPKiS8_PKS5_SA_S6_PS5_21rocsparse_index_base_b
    .private_segment_fixed_size: 0
    .sgpr_count:     18
    .sgpr_spill_count: 0
    .symbol:         _ZN9rocsparseL19gebsrmvn_2xn_kernelILj128ELj14ELj64E21rocsparse_complex_numIdEEEvi20rocsparse_direction_NS_24const_host_device_scalarIT2_EEPKiS8_PKS5_SA_S6_PS5_21rocsparse_index_base_b.kd
    .uniform_work_group_size: 1
    .uses_dynamic_stack: false
    .vgpr_count:     50
    .vgpr_spill_count: 0
    .wavefront_size: 32
    .workgroup_processor_mode: 1
  - .args:
      - .offset:         0
        .size:           4
        .value_kind:     by_value
      - .offset:         4
        .size:           4
        .value_kind:     by_value
      - .offset:         8
        .size:           16
        .value_kind:     by_value
      - .actual_access:  read_only
        .address_space:  global
        .offset:         24
        .size:           8
        .value_kind:     global_buffer
      - .actual_access:  read_only
        .address_space:  global
        .offset:         32
        .size:           8
        .value_kind:     global_buffer
      - .actual_access:  read_only
        .address_space:  global
        .offset:         40
        .size:           8
        .value_kind:     global_buffer
      - .actual_access:  read_only
        .address_space:  global
        .offset:         48
        .size:           8
        .value_kind:     global_buffer
      - .offset:         56
        .size:           16
        .value_kind:     by_value
      - .address_space:  global
        .offset:         72
        .size:           8
        .value_kind:     global_buffer
      - .offset:         80
        .size:           4
        .value_kind:     by_value
      - .offset:         84
        .size:           1
        .value_kind:     by_value
    .group_segment_fixed_size: 0
    .kernarg_segment_align: 8
    .kernarg_segment_size: 88
    .language:       OpenCL C
    .language_version:
      - 2
      - 0
    .max_flat_workgroup_size: 128
    .name:           _ZN9rocsparseL19gebsrmvn_2xn_kernelILj128ELj15ELj4E21rocsparse_complex_numIdEEEvi20rocsparse_direction_NS_24const_host_device_scalarIT2_EEPKiS8_PKS5_SA_S6_PS5_21rocsparse_index_base_b
    .private_segment_fixed_size: 0
    .sgpr_count:     18
    .sgpr_spill_count: 0
    .symbol:         _ZN9rocsparseL19gebsrmvn_2xn_kernelILj128ELj15ELj4E21rocsparse_complex_numIdEEEvi20rocsparse_direction_NS_24const_host_device_scalarIT2_EEPKiS8_PKS5_SA_S6_PS5_21rocsparse_index_base_b.kd
    .uniform_work_group_size: 1
    .uses_dynamic_stack: false
    .vgpr_count:     62
    .vgpr_spill_count: 0
    .wavefront_size: 32
    .workgroup_processor_mode: 1
  - .args:
      - .offset:         0
        .size:           4
        .value_kind:     by_value
      - .offset:         4
        .size:           4
        .value_kind:     by_value
      - .offset:         8
        .size:           16
        .value_kind:     by_value
      - .actual_access:  read_only
        .address_space:  global
        .offset:         24
        .size:           8
        .value_kind:     global_buffer
      - .actual_access:  read_only
        .address_space:  global
        .offset:         32
        .size:           8
        .value_kind:     global_buffer
      - .actual_access:  read_only
        .address_space:  global
        .offset:         40
        .size:           8
        .value_kind:     global_buffer
      - .actual_access:  read_only
        .address_space:  global
        .offset:         48
        .size:           8
        .value_kind:     global_buffer
      - .offset:         56
        .size:           16
        .value_kind:     by_value
      - .address_space:  global
        .offset:         72
        .size:           8
        .value_kind:     global_buffer
      - .offset:         80
        .size:           4
        .value_kind:     by_value
      - .offset:         84
        .size:           1
        .value_kind:     by_value
    .group_segment_fixed_size: 0
    .kernarg_segment_align: 8
    .kernarg_segment_size: 88
    .language:       OpenCL C
    .language_version:
      - 2
      - 0
    .max_flat_workgroup_size: 128
    .name:           _ZN9rocsparseL19gebsrmvn_2xn_kernelILj128ELj15ELj8E21rocsparse_complex_numIdEEEvi20rocsparse_direction_NS_24const_host_device_scalarIT2_EEPKiS8_PKS5_SA_S6_PS5_21rocsparse_index_base_b
    .private_segment_fixed_size: 0
    .sgpr_count:     18
    .sgpr_spill_count: 0
    .symbol:         _ZN9rocsparseL19gebsrmvn_2xn_kernelILj128ELj15ELj8E21rocsparse_complex_numIdEEEvi20rocsparse_direction_NS_24const_host_device_scalarIT2_EEPKiS8_PKS5_SA_S6_PS5_21rocsparse_index_base_b.kd
    .uniform_work_group_size: 1
    .uses_dynamic_stack: false
    .vgpr_count:     62
    .vgpr_spill_count: 0
    .wavefront_size: 32
    .workgroup_processor_mode: 1
  - .args:
      - .offset:         0
        .size:           4
        .value_kind:     by_value
      - .offset:         4
        .size:           4
        .value_kind:     by_value
      - .offset:         8
        .size:           16
        .value_kind:     by_value
      - .actual_access:  read_only
        .address_space:  global
        .offset:         24
        .size:           8
        .value_kind:     global_buffer
      - .actual_access:  read_only
        .address_space:  global
        .offset:         32
        .size:           8
        .value_kind:     global_buffer
      - .actual_access:  read_only
        .address_space:  global
        .offset:         40
        .size:           8
        .value_kind:     global_buffer
      - .actual_access:  read_only
        .address_space:  global
        .offset:         48
        .size:           8
        .value_kind:     global_buffer
      - .offset:         56
        .size:           16
        .value_kind:     by_value
      - .address_space:  global
        .offset:         72
        .size:           8
        .value_kind:     global_buffer
      - .offset:         80
        .size:           4
        .value_kind:     by_value
      - .offset:         84
        .size:           1
        .value_kind:     by_value
    .group_segment_fixed_size: 0
    .kernarg_segment_align: 8
    .kernarg_segment_size: 88
    .language:       OpenCL C
    .language_version:
      - 2
      - 0
    .max_flat_workgroup_size: 128
    .name:           _ZN9rocsparseL19gebsrmvn_2xn_kernelILj128ELj15ELj16E21rocsparse_complex_numIdEEEvi20rocsparse_direction_NS_24const_host_device_scalarIT2_EEPKiS8_PKS5_SA_S6_PS5_21rocsparse_index_base_b
    .private_segment_fixed_size: 0
    .sgpr_count:     18
    .sgpr_spill_count: 0
    .symbol:         _ZN9rocsparseL19gebsrmvn_2xn_kernelILj128ELj15ELj16E21rocsparse_complex_numIdEEEvi20rocsparse_direction_NS_24const_host_device_scalarIT2_EEPKiS8_PKS5_SA_S6_PS5_21rocsparse_index_base_b.kd
    .uniform_work_group_size: 1
    .uses_dynamic_stack: false
    .vgpr_count:     62
    .vgpr_spill_count: 0
    .wavefront_size: 32
    .workgroup_processor_mode: 1
  - .args:
      - .offset:         0
        .size:           4
        .value_kind:     by_value
      - .offset:         4
        .size:           4
        .value_kind:     by_value
      - .offset:         8
        .size:           16
        .value_kind:     by_value
      - .actual_access:  read_only
        .address_space:  global
        .offset:         24
        .size:           8
        .value_kind:     global_buffer
      - .actual_access:  read_only
        .address_space:  global
        .offset:         32
        .size:           8
        .value_kind:     global_buffer
      - .actual_access:  read_only
        .address_space:  global
        .offset:         40
        .size:           8
        .value_kind:     global_buffer
      - .actual_access:  read_only
        .address_space:  global
        .offset:         48
        .size:           8
        .value_kind:     global_buffer
      - .offset:         56
        .size:           16
        .value_kind:     by_value
      - .address_space:  global
        .offset:         72
        .size:           8
        .value_kind:     global_buffer
      - .offset:         80
        .size:           4
        .value_kind:     by_value
      - .offset:         84
        .size:           1
        .value_kind:     by_value
    .group_segment_fixed_size: 0
    .kernarg_segment_align: 8
    .kernarg_segment_size: 88
    .language:       OpenCL C
    .language_version:
      - 2
      - 0
    .max_flat_workgroup_size: 128
    .name:           _ZN9rocsparseL19gebsrmvn_2xn_kernelILj128ELj15ELj32E21rocsparse_complex_numIdEEEvi20rocsparse_direction_NS_24const_host_device_scalarIT2_EEPKiS8_PKS5_SA_S6_PS5_21rocsparse_index_base_b
    .private_segment_fixed_size: 0
    .sgpr_count:     18
    .sgpr_spill_count: 0
    .symbol:         _ZN9rocsparseL19gebsrmvn_2xn_kernelILj128ELj15ELj32E21rocsparse_complex_numIdEEEvi20rocsparse_direction_NS_24const_host_device_scalarIT2_EEPKiS8_PKS5_SA_S6_PS5_21rocsparse_index_base_b.kd
    .uniform_work_group_size: 1
    .uses_dynamic_stack: false
    .vgpr_count:     62
    .vgpr_spill_count: 0
    .wavefront_size: 32
    .workgroup_processor_mode: 1
  - .args:
      - .offset:         0
        .size:           4
        .value_kind:     by_value
      - .offset:         4
        .size:           4
        .value_kind:     by_value
      - .offset:         8
        .size:           16
        .value_kind:     by_value
      - .actual_access:  read_only
        .address_space:  global
        .offset:         24
        .size:           8
        .value_kind:     global_buffer
      - .actual_access:  read_only
        .address_space:  global
        .offset:         32
        .size:           8
        .value_kind:     global_buffer
      - .actual_access:  read_only
        .address_space:  global
        .offset:         40
        .size:           8
        .value_kind:     global_buffer
      - .actual_access:  read_only
        .address_space:  global
        .offset:         48
        .size:           8
        .value_kind:     global_buffer
      - .offset:         56
        .size:           16
        .value_kind:     by_value
      - .address_space:  global
        .offset:         72
        .size:           8
        .value_kind:     global_buffer
      - .offset:         80
        .size:           4
        .value_kind:     by_value
      - .offset:         84
        .size:           1
        .value_kind:     by_value
    .group_segment_fixed_size: 0
    .kernarg_segment_align: 8
    .kernarg_segment_size: 88
    .language:       OpenCL C
    .language_version:
      - 2
      - 0
    .max_flat_workgroup_size: 128
    .name:           _ZN9rocsparseL19gebsrmvn_2xn_kernelILj128ELj15ELj64E21rocsparse_complex_numIdEEEvi20rocsparse_direction_NS_24const_host_device_scalarIT2_EEPKiS8_PKS5_SA_S6_PS5_21rocsparse_index_base_b
    .private_segment_fixed_size: 0
    .sgpr_count:     18
    .sgpr_spill_count: 0
    .symbol:         _ZN9rocsparseL19gebsrmvn_2xn_kernelILj128ELj15ELj64E21rocsparse_complex_numIdEEEvi20rocsparse_direction_NS_24const_host_device_scalarIT2_EEPKiS8_PKS5_SA_S6_PS5_21rocsparse_index_base_b.kd
    .uniform_work_group_size: 1
    .uses_dynamic_stack: false
    .vgpr_count:     62
    .vgpr_spill_count: 0
    .wavefront_size: 32
    .workgroup_processor_mode: 1
  - .args:
      - .offset:         0
        .size:           4
        .value_kind:     by_value
      - .offset:         4
        .size:           4
        .value_kind:     by_value
      - .offset:         8
        .size:           16
        .value_kind:     by_value
      - .actual_access:  read_only
        .address_space:  global
        .offset:         24
        .size:           8
        .value_kind:     global_buffer
      - .actual_access:  read_only
        .address_space:  global
        .offset:         32
        .size:           8
        .value_kind:     global_buffer
      - .actual_access:  read_only
        .address_space:  global
        .offset:         40
        .size:           8
        .value_kind:     global_buffer
      - .actual_access:  read_only
        .address_space:  global
        .offset:         48
        .size:           8
        .value_kind:     global_buffer
      - .offset:         56
        .size:           16
        .value_kind:     by_value
      - .address_space:  global
        .offset:         72
        .size:           8
        .value_kind:     global_buffer
      - .offset:         80
        .size:           4
        .value_kind:     by_value
      - .offset:         84
        .size:           1
        .value_kind:     by_value
    .group_segment_fixed_size: 0
    .kernarg_segment_align: 8
    .kernarg_segment_size: 88
    .language:       OpenCL C
    .language_version:
      - 2
      - 0
    .max_flat_workgroup_size: 128
    .name:           _ZN9rocsparseL19gebsrmvn_2xn_kernelILj128ELj16ELj4E21rocsparse_complex_numIdEEEvi20rocsparse_direction_NS_24const_host_device_scalarIT2_EEPKiS8_PKS5_SA_S6_PS5_21rocsparse_index_base_b
    .private_segment_fixed_size: 0
    .sgpr_count:     18
    .sgpr_spill_count: 0
    .symbol:         _ZN9rocsparseL19gebsrmvn_2xn_kernelILj128ELj16ELj4E21rocsparse_complex_numIdEEEvi20rocsparse_direction_NS_24const_host_device_scalarIT2_EEPKiS8_PKS5_SA_S6_PS5_21rocsparse_index_base_b.kd
    .uniform_work_group_size: 1
    .uses_dynamic_stack: false
    .vgpr_count:     78
    .vgpr_spill_count: 0
    .wavefront_size: 32
    .workgroup_processor_mode: 1
  - .args:
      - .offset:         0
        .size:           4
        .value_kind:     by_value
      - .offset:         4
        .size:           4
        .value_kind:     by_value
      - .offset:         8
        .size:           16
        .value_kind:     by_value
      - .actual_access:  read_only
        .address_space:  global
        .offset:         24
        .size:           8
        .value_kind:     global_buffer
      - .actual_access:  read_only
        .address_space:  global
        .offset:         32
        .size:           8
        .value_kind:     global_buffer
      - .actual_access:  read_only
        .address_space:  global
        .offset:         40
        .size:           8
        .value_kind:     global_buffer
      - .actual_access:  read_only
        .address_space:  global
        .offset:         48
        .size:           8
        .value_kind:     global_buffer
      - .offset:         56
        .size:           16
        .value_kind:     by_value
      - .address_space:  global
        .offset:         72
        .size:           8
        .value_kind:     global_buffer
      - .offset:         80
        .size:           4
        .value_kind:     by_value
      - .offset:         84
        .size:           1
        .value_kind:     by_value
    .group_segment_fixed_size: 0
    .kernarg_segment_align: 8
    .kernarg_segment_size: 88
    .language:       OpenCL C
    .language_version:
      - 2
      - 0
    .max_flat_workgroup_size: 128
    .name:           _ZN9rocsparseL19gebsrmvn_2xn_kernelILj128ELj16ELj8E21rocsparse_complex_numIdEEEvi20rocsparse_direction_NS_24const_host_device_scalarIT2_EEPKiS8_PKS5_SA_S6_PS5_21rocsparse_index_base_b
    .private_segment_fixed_size: 0
    .sgpr_count:     18
    .sgpr_spill_count: 0
    .symbol:         _ZN9rocsparseL19gebsrmvn_2xn_kernelILj128ELj16ELj8E21rocsparse_complex_numIdEEEvi20rocsparse_direction_NS_24const_host_device_scalarIT2_EEPKiS8_PKS5_SA_S6_PS5_21rocsparse_index_base_b.kd
    .uniform_work_group_size: 1
    .uses_dynamic_stack: false
    .vgpr_count:     78
    .vgpr_spill_count: 0
    .wavefront_size: 32
    .workgroup_processor_mode: 1
  - .args:
      - .offset:         0
        .size:           4
        .value_kind:     by_value
      - .offset:         4
        .size:           4
        .value_kind:     by_value
      - .offset:         8
        .size:           16
        .value_kind:     by_value
      - .actual_access:  read_only
        .address_space:  global
        .offset:         24
        .size:           8
        .value_kind:     global_buffer
      - .actual_access:  read_only
        .address_space:  global
        .offset:         32
        .size:           8
        .value_kind:     global_buffer
      - .actual_access:  read_only
        .address_space:  global
        .offset:         40
        .size:           8
        .value_kind:     global_buffer
      - .actual_access:  read_only
        .address_space:  global
        .offset:         48
        .size:           8
        .value_kind:     global_buffer
      - .offset:         56
        .size:           16
        .value_kind:     by_value
      - .address_space:  global
        .offset:         72
        .size:           8
        .value_kind:     global_buffer
      - .offset:         80
        .size:           4
        .value_kind:     by_value
      - .offset:         84
        .size:           1
        .value_kind:     by_value
    .group_segment_fixed_size: 0
    .kernarg_segment_align: 8
    .kernarg_segment_size: 88
    .language:       OpenCL C
    .language_version:
      - 2
      - 0
    .max_flat_workgroup_size: 128
    .name:           _ZN9rocsparseL19gebsrmvn_2xn_kernelILj128ELj16ELj16E21rocsparse_complex_numIdEEEvi20rocsparse_direction_NS_24const_host_device_scalarIT2_EEPKiS8_PKS5_SA_S6_PS5_21rocsparse_index_base_b
    .private_segment_fixed_size: 0
    .sgpr_count:     18
    .sgpr_spill_count: 0
    .symbol:         _ZN9rocsparseL19gebsrmvn_2xn_kernelILj128ELj16ELj16E21rocsparse_complex_numIdEEEvi20rocsparse_direction_NS_24const_host_device_scalarIT2_EEPKiS8_PKS5_SA_S6_PS5_21rocsparse_index_base_b.kd
    .uniform_work_group_size: 1
    .uses_dynamic_stack: false
    .vgpr_count:     78
    .vgpr_spill_count: 0
    .wavefront_size: 32
    .workgroup_processor_mode: 1
  - .args:
      - .offset:         0
        .size:           4
        .value_kind:     by_value
      - .offset:         4
        .size:           4
        .value_kind:     by_value
      - .offset:         8
        .size:           16
        .value_kind:     by_value
      - .actual_access:  read_only
        .address_space:  global
        .offset:         24
        .size:           8
        .value_kind:     global_buffer
      - .actual_access:  read_only
        .address_space:  global
        .offset:         32
        .size:           8
        .value_kind:     global_buffer
      - .actual_access:  read_only
        .address_space:  global
        .offset:         40
        .size:           8
        .value_kind:     global_buffer
      - .actual_access:  read_only
        .address_space:  global
        .offset:         48
        .size:           8
        .value_kind:     global_buffer
      - .offset:         56
        .size:           16
        .value_kind:     by_value
      - .address_space:  global
        .offset:         72
        .size:           8
        .value_kind:     global_buffer
      - .offset:         80
        .size:           4
        .value_kind:     by_value
      - .offset:         84
        .size:           1
        .value_kind:     by_value
    .group_segment_fixed_size: 0
    .kernarg_segment_align: 8
    .kernarg_segment_size: 88
    .language:       OpenCL C
    .language_version:
      - 2
      - 0
    .max_flat_workgroup_size: 128
    .name:           _ZN9rocsparseL19gebsrmvn_2xn_kernelILj128ELj16ELj32E21rocsparse_complex_numIdEEEvi20rocsparse_direction_NS_24const_host_device_scalarIT2_EEPKiS8_PKS5_SA_S6_PS5_21rocsparse_index_base_b
    .private_segment_fixed_size: 0
    .sgpr_count:     18
    .sgpr_spill_count: 0
    .symbol:         _ZN9rocsparseL19gebsrmvn_2xn_kernelILj128ELj16ELj32E21rocsparse_complex_numIdEEEvi20rocsparse_direction_NS_24const_host_device_scalarIT2_EEPKiS8_PKS5_SA_S6_PS5_21rocsparse_index_base_b.kd
    .uniform_work_group_size: 1
    .uses_dynamic_stack: false
    .vgpr_count:     78
    .vgpr_spill_count: 0
    .wavefront_size: 32
    .workgroup_processor_mode: 1
  - .args:
      - .offset:         0
        .size:           4
        .value_kind:     by_value
      - .offset:         4
        .size:           4
        .value_kind:     by_value
      - .offset:         8
        .size:           16
        .value_kind:     by_value
      - .actual_access:  read_only
        .address_space:  global
        .offset:         24
        .size:           8
        .value_kind:     global_buffer
      - .actual_access:  read_only
        .address_space:  global
        .offset:         32
        .size:           8
        .value_kind:     global_buffer
      - .actual_access:  read_only
        .address_space:  global
        .offset:         40
        .size:           8
        .value_kind:     global_buffer
      - .actual_access:  read_only
        .address_space:  global
        .offset:         48
        .size:           8
        .value_kind:     global_buffer
      - .offset:         56
        .size:           16
        .value_kind:     by_value
      - .address_space:  global
        .offset:         72
        .size:           8
        .value_kind:     global_buffer
      - .offset:         80
        .size:           4
        .value_kind:     by_value
      - .offset:         84
        .size:           1
        .value_kind:     by_value
    .group_segment_fixed_size: 0
    .kernarg_segment_align: 8
    .kernarg_segment_size: 88
    .language:       OpenCL C
    .language_version:
      - 2
      - 0
    .max_flat_workgroup_size: 128
    .name:           _ZN9rocsparseL19gebsrmvn_2xn_kernelILj128ELj16ELj64E21rocsparse_complex_numIdEEEvi20rocsparse_direction_NS_24const_host_device_scalarIT2_EEPKiS8_PKS5_SA_S6_PS5_21rocsparse_index_base_b
    .private_segment_fixed_size: 0
    .sgpr_count:     18
    .sgpr_spill_count: 0
    .symbol:         _ZN9rocsparseL19gebsrmvn_2xn_kernelILj128ELj16ELj64E21rocsparse_complex_numIdEEEvi20rocsparse_direction_NS_24const_host_device_scalarIT2_EEPKiS8_PKS5_SA_S6_PS5_21rocsparse_index_base_b.kd
    .uniform_work_group_size: 1
    .uses_dynamic_stack: false
    .vgpr_count:     78
    .vgpr_spill_count: 0
    .wavefront_size: 32
    .workgroup_processor_mode: 1
  - .args:
      - .offset:         0
        .size:           4
        .value_kind:     by_value
      - .offset:         4
        .size:           4
        .value_kind:     by_value
      - .offset:         8
        .size:           16
        .value_kind:     by_value
      - .actual_access:  read_only
        .address_space:  global
        .offset:         24
        .size:           8
        .value_kind:     global_buffer
      - .actual_access:  read_only
        .address_space:  global
        .offset:         32
        .size:           8
        .value_kind:     global_buffer
      - .actual_access:  read_only
        .address_space:  global
        .offset:         40
        .size:           8
        .value_kind:     global_buffer
      - .offset:         48
        .size:           4
        .value_kind:     by_value
      - .offset:         52
        .size:           4
        .value_kind:     by_value
      - .actual_access:  read_only
        .address_space:  global
        .offset:         56
        .size:           8
        .value_kind:     global_buffer
      - .offset:         64
        .size:           16
        .value_kind:     by_value
      - .address_space:  global
        .offset:         80
        .size:           8
        .value_kind:     global_buffer
      - .offset:         88
        .size:           4
        .value_kind:     by_value
      - .offset:         92
        .size:           1
        .value_kind:     by_value
    .group_segment_fixed_size: 0
    .kernarg_segment_align: 8
    .kernarg_segment_size: 96
    .language:       OpenCL C
    .language_version:
      - 2
      - 0
    .max_flat_workgroup_size: 32
    .name:           _ZN9rocsparseL23gebsrmvn_general_kernelILj32ELj32E21rocsparse_complex_numIdEEEvi20rocsparse_direction_NS_24const_host_device_scalarIT1_EEPKiS8_PKS5_iiSA_S6_PS5_21rocsparse_index_base_b
    .private_segment_fixed_size: 0
    .sgpr_count:     28
    .sgpr_spill_count: 0
    .symbol:         _ZN9rocsparseL23gebsrmvn_general_kernelILj32ELj32E21rocsparse_complex_numIdEEEvi20rocsparse_direction_NS_24const_host_device_scalarIT1_EEPKiS8_PKS5_iiSA_S6_PS5_21rocsparse_index_base_b.kd
    .uniform_work_group_size: 1
    .uses_dynamic_stack: false
    .vgpr_count:     32
    .vgpr_spill_count: 0
    .wavefront_size: 32
    .workgroup_processor_mode: 1
amdhsa.target:   amdgcn-amd-amdhsa--gfx1030
amdhsa.version:
  - 1
  - 2
...

	.end_amdgpu_metadata
